;; amdgpu-corpus repo=vllm-project/vllm kind=compiled arch=gfx90a opt=O3
	.text
	.amdgcn_target "amdgcn-amd-amdhsa--gfx90a"
	.amdhsa_code_object_version 6
	.section	.text._ZN4vllm3moe10topkGatingILi1ELi1ELi4ELi4ELi64EifLNS0_11ScoringFuncE0EEEvPKT5_PKbPfiPT4_PiiiibPKf,"axG",@progbits,_ZN4vllm3moe10topkGatingILi1ELi1ELi4ELi4ELi64EifLNS0_11ScoringFuncE0EEEvPKT5_PKbPfiPT4_PiiiibPKf,comdat
	.protected	_ZN4vllm3moe10topkGatingILi1ELi1ELi4ELi4ELi64EifLNS0_11ScoringFuncE0EEEvPKT5_PKbPfiPT4_PiiiibPKf ; -- Begin function _ZN4vllm3moe10topkGatingILi1ELi1ELi4ELi4ELi64EifLNS0_11ScoringFuncE0EEEvPKT5_PKbPfiPT4_PiiiibPKf
	.globl	_ZN4vllm3moe10topkGatingILi1ELi1ELi4ELi4ELi64EifLNS0_11ScoringFuncE0EEEvPKT5_PKbPfiPT4_PiiiibPKf
	.p2align	8
	.type	_ZN4vllm3moe10topkGatingILi1ELi1ELi4ELi4ELi64EifLNS0_11ScoringFuncE0EEEvPKT5_PKbPfiPT4_PiiiibPKf,@function
_ZN4vllm3moe10topkGatingILi1ELi1ELi4ELi4ELi64EifLNS0_11ScoringFuncE0EEEvPKT5_PKbPfiPT4_PiiiibPKf: ; @_ZN4vllm3moe10topkGatingILi1ELi1ELi4ELi4ELi64EifLNS0_11ScoringFuncE0EEEvPKT5_PKbPfiPT4_PiiiibPKf
; %bb.0:
	s_load_dword s18, s[4:5], 0x18
	v_bfe_u32 v1, v0, 10, 10
	s_lshl_b32 s0, s6, 8
	v_lshlrev_b32_e32 v1, 6, v1
	v_and_b32_e32 v0, 0x3ff, v0
	v_add3_u32 v0, v1, v0, s0
	s_waitcnt lgkmcnt(0)
	v_cmp_gt_i32_e32 vcc, s18, v0
	s_and_saveexec_b64 s[0:1], vcc
	s_cbranch_execz .LBB0_17
; %bb.1:
	s_load_dwordx4 s[12:15], s[4:5], 0x0
	s_load_dwordx2 s[2:3], s[4:5], 0x10
	v_ashrrev_i32_e32 v1, 31, v0
	s_waitcnt lgkmcnt(0)
	s_cmp_eq_u64 s[14:15], 0
	s_cbranch_scc1 .LBB0_3
; %bb.2:
	v_mov_b32_e32 v3, s15
	v_add_co_u32_e32 v2, vcc, s14, v0
	v_addc_co_u32_e32 v3, vcc, v3, v1, vcc
	global_load_ubyte v2, v[2:3], off
	s_waitcnt vmcnt(0)
	v_and_b32_e32 v2, 1, v2
	v_cmp_eq_u32_e32 vcc, 1, v2
	s_xor_b64 s[0:1], vcc, -1
	s_orn2_b64 s[16:17], s[0:1], exec
	s_branch .LBB0_4
.LBB0_3:
	s_mov_b64 s[16:17], -1
.LBB0_4:
	s_load_dwordx4 s[8:11], s[4:5], 0x30
	s_waitcnt lgkmcnt(0)
	s_bitcmp1_b32 s11, 0
	s_cselect_b64 s[0:1], -1, 0
	s_cmp_gt_i32 s8, 0
	s_cselect_b64 s[14:15], -1, 0
	s_cmp_lt_i32 s8, 1
	s_cbranch_scc1 .LBB0_8
; %bb.5:
	v_lshlrev_b64 v[2:3], 2, v[0:1]
	v_mov_b32_e32 v1, s13
	v_add_co_u32_e32 v2, vcc, s12, v2
	v_addc_co_u32_e32 v3, vcc, v1, v3, vcc
	global_load_dword v4, v[2:3], off
	s_mov_b32 s19, 0x3fb8aa3b
	v_mul_lo_u32 v2, v0, s8
	s_load_dwordx4 s[4:7], s[4:5], 0x20
	s_cmp_lt_i32 s9, 1
	v_ashrrev_i32_e32 v3, 31, v2
	s_cselect_b64 s[12:13], -1, 0
	s_cmp_gt_i32 s10, 0
	v_lshlrev_b64 v[6:7], 2, v[2:3]
	v_mov_b32_e32 v5, s3
	s_cselect_b64 s[10:11], -1, 0
	v_add_co_u32_e32 v2, vcc, s2, v6
	s_sub_i32 s9, 0, s9
	s_and_b64 s[10:11], s[12:13], s[10:11]
	v_addc_co_u32_e32 v3, vcc, v5, v7, vcc
	v_mov_b32_e32 v9, s9
	s_and_b64 vcc, s[16:17], s[10:11]
	v_cndmask_b32_e32 v9, 1, v9, vcc
	s_waitcnt lgkmcnt(0)
	v_mov_b32_e32 v5, s5
	s_mov_b32 s20, 0xc2ce8ed0
	s_mov_b32 s21, 0x42b17218
	v_mov_b32_e32 v10, 0x7f800000
	v_mov_b32_e32 v11, s7
	s_movk_i32 s22, 0x1f8
	v_mov_b32_e32 v1, 0
	v_mov_b32_e32 v8, v0
	s_waitcnt vmcnt(0)
	v_sub_f32_e32 v12, v4, v4
	v_mul_f32_e32 v4, 0x3fb8aa3b, v12
	v_fma_f32 v13, v12, s19, -v4
	v_rndne_f32_e32 v14, v4
	v_fmac_f32_e32 v13, 0x32a5705f, v12
	v_sub_f32_e32 v4, v4, v14
	v_add_f32_e32 v4, v4, v13
	v_cvt_i32_f32_e32 v14, v14
	v_exp_f32_e32 v13, v4
	v_add_co_u32_e32 v4, vcc, s4, v6
	v_addc_co_u32_e32 v5, vcc, v5, v7, vcc
	v_ldexp_f32 v13, v13, v14
	v_cmp_ngt_f32_e32 vcc, s20, v12
	v_cndmask_b32_e32 v13, 0, v13, vcc
	v_cmp_nlt_f32_e32 vcc, s21, v12
	v_cndmask_b32_e32 v10, v10, v13, vcc
	v_div_scale_f32 v12, s[4:5], v10, v10, 1.0
	v_rcp_f32_e32 v13, v12
	v_add_co_u32_e32 v6, vcc, s6, v6
	v_addc_co_u32_e32 v7, vcc, v11, v7, vcc
	v_fma_f32 v14, -v12, v13, 1.0
	v_div_scale_f32 v11, vcc, 1.0, v10, 1.0
	v_fmac_f32_e32 v13, v14, v13
	v_mul_f32_e32 v14, v11, v13
	v_fma_f32 v15, -v12, v14, v11
	v_fmac_f32_e32 v14, v15, v13
	v_fma_f32 v11, -v12, v14, v11
	v_div_fmas_f32 v11, v11, v13, v14
	v_div_fixup_f32 v11, v11, v10, 1.0
	v_mul_f32_e32 v10, v10, v11
	v_cmp_class_f32_e64 vcc, v10, s22
	v_cndmask_b32_e32 v10, 0, v10, vcc
	s_mov_b32 s4, s8
.LBB0_6:                                ; =>This Inner Loop Header: Depth=1
	global_store_dword v[2:3], v10, off
	global_store_dword v[4:5], v9, off
	;; [unrolled: 1-line block ×3, first 2 shown]
	v_add_co_u32_e32 v2, vcc, 4, v2
	v_addc_co_u32_e32 v3, vcc, 0, v3, vcc
	v_add_co_u32_e32 v4, vcc, 4, v4
	v_addc_co_u32_e32 v5, vcc, 0, v5, vcc
	v_add_f32_e32 v11, v1, v10
	s_add_i32 s4, s4, -1
	v_add_co_u32_e32 v6, vcc, 4, v6
	v_cndmask_b32_e64 v1, v1, v11, s[0:1]
	v_add_u32_e32 v8, s18, v8
	s_cmp_lg_u32 s4, 0
	v_addc_co_u32_e32 v7, vcc, 0, v7, vcc
	s_cbranch_scc1 .LBB0_6
; %bb.7:
	s_andn2_b64 vcc, exec, s[0:1]
	s_cbranch_vccz .LBB0_9
	s_branch .LBB0_17
.LBB0_8:
	v_mov_b32_e32 v1, 0
	s_andn2_b64 vcc, exec, s[0:1]
	s_cbranch_vccnz .LBB0_17
.LBB0_9:
	s_andn2_b64 vcc, exec, s[14:15]
	s_cbranch_vccnz .LBB0_17
; %bb.10:
	v_cmp_lt_f32_e32 vcc, 0, v1
	s_mov_b32 s4, 0
	v_cndmask_b32_e32 v2, 1.0, v1, vcc
	v_mul_lo_u32 v0, v0, s8
	s_cmp_eq_u32 s8, 1
	s_mov_b64 s[0:1], -1
	s_cbranch_scc1 .LBB0_14
; %bb.11:
	s_and_b32 s4, s8, 0x7ffffffe
	v_mov_b32_e32 v1, v2
	v_mov_b32_e32 v3, s3
	s_mov_b32 s5, s4
	v_mov_b32_e32 v4, v0
.LBB0_12:                               ; =>This Inner Loop Header: Depth=1
	v_ashrrev_i32_e32 v5, 31, v4
	v_lshlrev_b64 v[6:7], 2, v[4:5]
	v_add_co_u32_e32 v6, vcc, s2, v6
	v_addc_co_u32_e32 v7, vcc, v3, v7, vcc
	global_load_dwordx2 v[8:9], v[6:7], off
	s_add_i32 s5, s5, -2
	s_cmp_lg_u32 s5, 0
	v_add_u32_e32 v4, 2, v4
	s_waitcnt vmcnt(0)
	v_div_scale_f32 v5, s[0:1], v1, v1, v9
	v_div_scale_f32 v11, s[0:1], v2, v2, v8
	v_rcp_f32_e32 v12, v5
	v_rcp_f32_e32 v13, v11
	v_div_scale_f32 v10, vcc, v9, v1, v9
	v_fma_f32 v15, -v5, v12, 1.0
	v_fma_f32 v16, -v11, v13, 1.0
	v_fmac_f32_e32 v12, v15, v12
	v_div_scale_f32 v14, s[0:1], v8, v2, v8
	v_fmac_f32_e32 v13, v16, v13
	v_mul_f32_e32 v15, v10, v12
	v_mul_f32_e32 v16, v14, v13
	v_fma_f32 v17, -v5, v15, v10
	v_fma_f32 v18, -v11, v16, v14
	v_fmac_f32_e32 v15, v17, v12
	v_fmac_f32_e32 v16, v18, v13
	v_fma_f32 v5, -v5, v15, v10
	v_fma_f32 v10, -v11, v16, v14
	v_div_fmas_f32 v5, v5, v12, v15
	s_mov_b64 vcc, s[0:1]
	v_div_fixup_f32 v9, v5, v1, v9
	v_div_fmas_f32 v5, v10, v13, v16
	v_div_fixup_f32 v8, v5, v2, v8
	global_store_dwordx2 v[6:7], v[8:9], off
	s_cbranch_scc1 .LBB0_12
; %bb.13:
	s_cmp_lg_u32 s4, s8
	s_cselect_b64 s[0:1], -1, 0
.LBB0_14:
	s_and_b64 vcc, exec, s[0:1]
	s_cbranch_vccz .LBB0_17
; %bb.15:
	v_ashrrev_i32_e32 v1, 31, v0
	v_add_co_u32_e32 v0, vcc, s4, v0
	v_addc_co_u32_e32 v1, vcc, 0, v1, vcc
	v_lshlrev_b64 v[0:1], 2, v[0:1]
	v_mov_b32_e32 v3, s3
	v_add_co_u32_e32 v0, vcc, s2, v0
	s_sub_i32 s0, s8, s4
	v_addc_co_u32_e32 v1, vcc, v3, v1, vcc
.LBB0_16:                               ; =>This Inner Loop Header: Depth=1
	global_load_dword v3, v[0:1], off
	s_add_i32 s0, s0, -1
	s_cmp_lg_u32 s0, 0
	s_waitcnt vmcnt(0)
	v_div_scale_f32 v4, s[2:3], v2, v2, v3
	v_rcp_f32_e32 v5, v4
	v_div_scale_f32 v6, vcc, v3, v2, v3
	v_fma_f32 v7, -v4, v5, 1.0
	v_fmac_f32_e32 v5, v7, v5
	v_mul_f32_e32 v7, v6, v5
	v_fma_f32 v8, -v4, v7, v6
	v_fmac_f32_e32 v7, v8, v5
	v_fma_f32 v4, -v4, v7, v6
	v_div_fmas_f32 v4, v4, v5, v7
	v_div_fixup_f32 v3, v4, v2, v3
	global_store_dword v[0:1], v3, off
	v_add_co_u32_e32 v0, vcc, 4, v0
	v_addc_co_u32_e32 v1, vcc, 0, v1, vcc
	s_cbranch_scc1 .LBB0_16
.LBB0_17:
	s_endpgm
	.section	.rodata,"a",@progbits
	.p2align	6, 0x0
	.amdhsa_kernel _ZN4vllm3moe10topkGatingILi1ELi1ELi4ELi4ELi64EifLNS0_11ScoringFuncE0EEEvPKT5_PKbPfiPT4_PiiiibPKf
		.amdhsa_group_segment_fixed_size 0
		.amdhsa_private_segment_fixed_size 0
		.amdhsa_kernarg_size 72
		.amdhsa_user_sgpr_count 6
		.amdhsa_user_sgpr_private_segment_buffer 1
		.amdhsa_user_sgpr_dispatch_ptr 0
		.amdhsa_user_sgpr_queue_ptr 0
		.amdhsa_user_sgpr_kernarg_segment_ptr 1
		.amdhsa_user_sgpr_dispatch_id 0
		.amdhsa_user_sgpr_flat_scratch_init 0
		.amdhsa_user_sgpr_kernarg_preload_length 0
		.amdhsa_user_sgpr_kernarg_preload_offset 0
		.amdhsa_user_sgpr_private_segment_size 0
		.amdhsa_uses_dynamic_stack 0
		.amdhsa_system_sgpr_private_segment_wavefront_offset 0
		.amdhsa_system_sgpr_workgroup_id_x 1
		.amdhsa_system_sgpr_workgroup_id_y 0
		.amdhsa_system_sgpr_workgroup_id_z 0
		.amdhsa_system_sgpr_workgroup_info 0
		.amdhsa_system_vgpr_workitem_id 1
		.amdhsa_next_free_vgpr 19
		.amdhsa_next_free_sgpr 23
		.amdhsa_accum_offset 20
		.amdhsa_reserve_vcc 1
		.amdhsa_reserve_flat_scratch 0
		.amdhsa_float_round_mode_32 0
		.amdhsa_float_round_mode_16_64 0
		.amdhsa_float_denorm_mode_32 3
		.amdhsa_float_denorm_mode_16_64 3
		.amdhsa_dx10_clamp 1
		.amdhsa_ieee_mode 1
		.amdhsa_fp16_overflow 0
		.amdhsa_tg_split 0
		.amdhsa_exception_fp_ieee_invalid_op 0
		.amdhsa_exception_fp_denorm_src 0
		.amdhsa_exception_fp_ieee_div_zero 0
		.amdhsa_exception_fp_ieee_overflow 0
		.amdhsa_exception_fp_ieee_underflow 0
		.amdhsa_exception_fp_ieee_inexact 0
		.amdhsa_exception_int_div_zero 0
	.end_amdhsa_kernel
	.section	.text._ZN4vllm3moe10topkGatingILi1ELi1ELi4ELi4ELi64EifLNS0_11ScoringFuncE0EEEvPKT5_PKbPfiPT4_PiiiibPKf,"axG",@progbits,_ZN4vllm3moe10topkGatingILi1ELi1ELi4ELi4ELi64EifLNS0_11ScoringFuncE0EEEvPKT5_PKbPfiPT4_PiiiibPKf,comdat
.Lfunc_end0:
	.size	_ZN4vllm3moe10topkGatingILi1ELi1ELi4ELi4ELi64EifLNS0_11ScoringFuncE0EEEvPKT5_PKbPfiPT4_PiiiibPKf, .Lfunc_end0-_ZN4vllm3moe10topkGatingILi1ELi1ELi4ELi4ELi64EifLNS0_11ScoringFuncE0EEEvPKT5_PKbPfiPT4_PiiiibPKf
                                        ; -- End function
	.section	.AMDGPU.csdata,"",@progbits
; Kernel info:
; codeLenInByte = 1052
; NumSgprs: 27
; NumVgprs: 19
; NumAgprs: 0
; TotalNumVgprs: 19
; ScratchSize: 0
; MemoryBound: 0
; FloatMode: 240
; IeeeMode: 1
; LDSByteSize: 0 bytes/workgroup (compile time only)
; SGPRBlocks: 3
; VGPRBlocks: 2
; NumSGPRsForWavesPerEU: 27
; NumVGPRsForWavesPerEU: 19
; AccumOffset: 20
; Occupancy: 8
; WaveLimiterHint : 0
; COMPUTE_PGM_RSRC2:SCRATCH_EN: 0
; COMPUTE_PGM_RSRC2:USER_SGPR: 6
; COMPUTE_PGM_RSRC2:TRAP_HANDLER: 0
; COMPUTE_PGM_RSRC2:TGID_X_EN: 1
; COMPUTE_PGM_RSRC2:TGID_Y_EN: 0
; COMPUTE_PGM_RSRC2:TGID_Z_EN: 0
; COMPUTE_PGM_RSRC2:TIDIG_COMP_CNT: 1
; COMPUTE_PGM_RSRC3_GFX90A:ACCUM_OFFSET: 4
; COMPUTE_PGM_RSRC3_GFX90A:TG_SPLIT: 0
	.section	.text._ZN4vllm3moe10topkGatingILi1ELi1ELi4ELi4ELi32EifLNS0_11ScoringFuncE0EEEvPKT5_PKbPfiPT4_PiiiibPKf,"axG",@progbits,_ZN4vllm3moe10topkGatingILi1ELi1ELi4ELi4ELi32EifLNS0_11ScoringFuncE0EEEvPKT5_PKbPfiPT4_PiiiibPKf,comdat
	.protected	_ZN4vllm3moe10topkGatingILi1ELi1ELi4ELi4ELi32EifLNS0_11ScoringFuncE0EEEvPKT5_PKbPfiPT4_PiiiibPKf ; -- Begin function _ZN4vllm3moe10topkGatingILi1ELi1ELi4ELi4ELi32EifLNS0_11ScoringFuncE0EEEvPKT5_PKbPfiPT4_PiiiibPKf
	.globl	_ZN4vllm3moe10topkGatingILi1ELi1ELi4ELi4ELi32EifLNS0_11ScoringFuncE0EEEvPKT5_PKbPfiPT4_PiiiibPKf
	.p2align	8
	.type	_ZN4vllm3moe10topkGatingILi1ELi1ELi4ELi4ELi32EifLNS0_11ScoringFuncE0EEEvPKT5_PKbPfiPT4_PiiiibPKf,@function
_ZN4vllm3moe10topkGatingILi1ELi1ELi4ELi4ELi32EifLNS0_11ScoringFuncE0EEEvPKT5_PKbPfiPT4_PiiiibPKf: ; @_ZN4vllm3moe10topkGatingILi1ELi1ELi4ELi4ELi32EifLNS0_11ScoringFuncE0EEEvPKT5_PKbPfiPT4_PiiiibPKf
; %bb.0:
	s_load_dword s18, s[4:5], 0x18
	v_bfe_u32 v1, v0, 10, 10
	s_lshl_b32 s0, s6, 7
	v_lshlrev_b32_e32 v1, 5, v1
	v_and_b32_e32 v0, 0x3ff, v0
	v_add3_u32 v0, v1, v0, s0
	s_waitcnt lgkmcnt(0)
	v_cmp_gt_i32_e32 vcc, s18, v0
	s_and_saveexec_b64 s[0:1], vcc
	s_cbranch_execz .LBB1_17
; %bb.1:
	s_load_dwordx4 s[12:15], s[4:5], 0x0
	s_load_dwordx2 s[2:3], s[4:5], 0x10
	v_ashrrev_i32_e32 v1, 31, v0
	s_waitcnt lgkmcnt(0)
	s_cmp_eq_u64 s[14:15], 0
	s_cbranch_scc1 .LBB1_3
; %bb.2:
	v_mov_b32_e32 v3, s15
	v_add_co_u32_e32 v2, vcc, s14, v0
	v_addc_co_u32_e32 v3, vcc, v3, v1, vcc
	global_load_ubyte v2, v[2:3], off
	s_waitcnt vmcnt(0)
	v_and_b32_e32 v2, 1, v2
	v_cmp_eq_u32_e32 vcc, 1, v2
	s_xor_b64 s[0:1], vcc, -1
	s_orn2_b64 s[16:17], s[0:1], exec
	s_branch .LBB1_4
.LBB1_3:
	s_mov_b64 s[16:17], -1
.LBB1_4:
	s_load_dwordx4 s[8:11], s[4:5], 0x30
	s_waitcnt lgkmcnt(0)
	s_bitcmp1_b32 s11, 0
	s_cselect_b64 s[0:1], -1, 0
	s_cmp_gt_i32 s8, 0
	s_cselect_b64 s[14:15], -1, 0
	s_cmp_lt_i32 s8, 1
	s_cbranch_scc1 .LBB1_8
; %bb.5:
	v_lshlrev_b64 v[2:3], 2, v[0:1]
	v_mov_b32_e32 v1, s13
	v_add_co_u32_e32 v2, vcc, s12, v2
	v_addc_co_u32_e32 v3, vcc, v1, v3, vcc
	global_load_dword v4, v[2:3], off
	s_mov_b32 s19, 0x3fb8aa3b
	v_mul_lo_u32 v2, v0, s8
	s_load_dwordx4 s[4:7], s[4:5], 0x20
	s_cmp_lt_i32 s9, 1
	v_ashrrev_i32_e32 v3, 31, v2
	s_cselect_b64 s[12:13], -1, 0
	s_cmp_gt_i32 s10, 0
	v_lshlrev_b64 v[6:7], 2, v[2:3]
	v_mov_b32_e32 v5, s3
	s_cselect_b64 s[10:11], -1, 0
	v_add_co_u32_e32 v2, vcc, s2, v6
	s_sub_i32 s9, 0, s9
	s_and_b64 s[10:11], s[12:13], s[10:11]
	v_addc_co_u32_e32 v3, vcc, v5, v7, vcc
	v_mov_b32_e32 v9, s9
	s_and_b64 vcc, s[16:17], s[10:11]
	v_cndmask_b32_e32 v9, 1, v9, vcc
	s_waitcnt lgkmcnt(0)
	v_mov_b32_e32 v5, s5
	s_mov_b32 s20, 0xc2ce8ed0
	s_mov_b32 s21, 0x42b17218
	v_mov_b32_e32 v10, 0x7f800000
	v_mov_b32_e32 v11, s7
	s_movk_i32 s22, 0x1f8
	v_mov_b32_e32 v1, 0
	v_mov_b32_e32 v8, v0
	s_waitcnt vmcnt(0)
	v_sub_f32_e32 v12, v4, v4
	v_mul_f32_e32 v4, 0x3fb8aa3b, v12
	v_fma_f32 v13, v12, s19, -v4
	v_rndne_f32_e32 v14, v4
	v_fmac_f32_e32 v13, 0x32a5705f, v12
	v_sub_f32_e32 v4, v4, v14
	v_add_f32_e32 v4, v4, v13
	v_cvt_i32_f32_e32 v14, v14
	v_exp_f32_e32 v13, v4
	v_add_co_u32_e32 v4, vcc, s4, v6
	v_addc_co_u32_e32 v5, vcc, v5, v7, vcc
	v_ldexp_f32 v13, v13, v14
	v_cmp_ngt_f32_e32 vcc, s20, v12
	v_cndmask_b32_e32 v13, 0, v13, vcc
	v_cmp_nlt_f32_e32 vcc, s21, v12
	v_cndmask_b32_e32 v10, v10, v13, vcc
	v_div_scale_f32 v12, s[4:5], v10, v10, 1.0
	v_rcp_f32_e32 v13, v12
	v_add_co_u32_e32 v6, vcc, s6, v6
	v_addc_co_u32_e32 v7, vcc, v11, v7, vcc
	v_fma_f32 v14, -v12, v13, 1.0
	v_div_scale_f32 v11, vcc, 1.0, v10, 1.0
	v_fmac_f32_e32 v13, v14, v13
	v_mul_f32_e32 v14, v11, v13
	v_fma_f32 v15, -v12, v14, v11
	v_fmac_f32_e32 v14, v15, v13
	v_fma_f32 v11, -v12, v14, v11
	v_div_fmas_f32 v11, v11, v13, v14
	v_div_fixup_f32 v11, v11, v10, 1.0
	v_mul_f32_e32 v10, v10, v11
	v_cmp_class_f32_e64 vcc, v10, s22
	v_cndmask_b32_e32 v10, 0, v10, vcc
	s_mov_b32 s4, s8
.LBB1_6:                                ; =>This Inner Loop Header: Depth=1
	global_store_dword v[2:3], v10, off
	global_store_dword v[4:5], v9, off
	;; [unrolled: 1-line block ×3, first 2 shown]
	v_add_co_u32_e32 v2, vcc, 4, v2
	v_addc_co_u32_e32 v3, vcc, 0, v3, vcc
	v_add_co_u32_e32 v4, vcc, 4, v4
	v_addc_co_u32_e32 v5, vcc, 0, v5, vcc
	v_add_f32_e32 v11, v1, v10
	s_add_i32 s4, s4, -1
	v_add_co_u32_e32 v6, vcc, 4, v6
	v_cndmask_b32_e64 v1, v1, v11, s[0:1]
	v_add_u32_e32 v8, s18, v8
	s_cmp_lg_u32 s4, 0
	v_addc_co_u32_e32 v7, vcc, 0, v7, vcc
	s_cbranch_scc1 .LBB1_6
; %bb.7:
	s_andn2_b64 vcc, exec, s[0:1]
	s_cbranch_vccz .LBB1_9
	s_branch .LBB1_17
.LBB1_8:
	v_mov_b32_e32 v1, 0
	s_andn2_b64 vcc, exec, s[0:1]
	s_cbranch_vccnz .LBB1_17
.LBB1_9:
	s_andn2_b64 vcc, exec, s[14:15]
	s_cbranch_vccnz .LBB1_17
; %bb.10:
	v_cmp_lt_f32_e32 vcc, 0, v1
	s_mov_b32 s4, 0
	v_cndmask_b32_e32 v2, 1.0, v1, vcc
	v_mul_lo_u32 v0, v0, s8
	s_cmp_eq_u32 s8, 1
	s_mov_b64 s[0:1], -1
	s_cbranch_scc1 .LBB1_14
; %bb.11:
	s_and_b32 s4, s8, 0x7ffffffe
	v_mov_b32_e32 v1, v2
	v_mov_b32_e32 v3, s3
	s_mov_b32 s5, s4
	v_mov_b32_e32 v4, v0
.LBB1_12:                               ; =>This Inner Loop Header: Depth=1
	v_ashrrev_i32_e32 v5, 31, v4
	v_lshlrev_b64 v[6:7], 2, v[4:5]
	v_add_co_u32_e32 v6, vcc, s2, v6
	v_addc_co_u32_e32 v7, vcc, v3, v7, vcc
	global_load_dwordx2 v[8:9], v[6:7], off
	s_add_i32 s5, s5, -2
	s_cmp_lg_u32 s5, 0
	v_add_u32_e32 v4, 2, v4
	s_waitcnt vmcnt(0)
	v_div_scale_f32 v5, s[0:1], v1, v1, v9
	v_div_scale_f32 v11, s[0:1], v2, v2, v8
	v_rcp_f32_e32 v12, v5
	v_rcp_f32_e32 v13, v11
	v_div_scale_f32 v10, vcc, v9, v1, v9
	v_fma_f32 v15, -v5, v12, 1.0
	v_fma_f32 v16, -v11, v13, 1.0
	v_fmac_f32_e32 v12, v15, v12
	v_div_scale_f32 v14, s[0:1], v8, v2, v8
	v_fmac_f32_e32 v13, v16, v13
	v_mul_f32_e32 v15, v10, v12
	v_mul_f32_e32 v16, v14, v13
	v_fma_f32 v17, -v5, v15, v10
	v_fma_f32 v18, -v11, v16, v14
	v_fmac_f32_e32 v15, v17, v12
	v_fmac_f32_e32 v16, v18, v13
	v_fma_f32 v5, -v5, v15, v10
	v_fma_f32 v10, -v11, v16, v14
	v_div_fmas_f32 v5, v5, v12, v15
	s_mov_b64 vcc, s[0:1]
	v_div_fixup_f32 v9, v5, v1, v9
	v_div_fmas_f32 v5, v10, v13, v16
	v_div_fixup_f32 v8, v5, v2, v8
	global_store_dwordx2 v[6:7], v[8:9], off
	s_cbranch_scc1 .LBB1_12
; %bb.13:
	s_cmp_lg_u32 s4, s8
	s_cselect_b64 s[0:1], -1, 0
.LBB1_14:
	s_and_b64 vcc, exec, s[0:1]
	s_cbranch_vccz .LBB1_17
; %bb.15:
	v_ashrrev_i32_e32 v1, 31, v0
	v_add_co_u32_e32 v0, vcc, s4, v0
	v_addc_co_u32_e32 v1, vcc, 0, v1, vcc
	v_lshlrev_b64 v[0:1], 2, v[0:1]
	v_mov_b32_e32 v3, s3
	v_add_co_u32_e32 v0, vcc, s2, v0
	s_sub_i32 s0, s8, s4
	v_addc_co_u32_e32 v1, vcc, v3, v1, vcc
.LBB1_16:                               ; =>This Inner Loop Header: Depth=1
	global_load_dword v3, v[0:1], off
	s_add_i32 s0, s0, -1
	s_cmp_lg_u32 s0, 0
	s_waitcnt vmcnt(0)
	v_div_scale_f32 v4, s[2:3], v2, v2, v3
	v_rcp_f32_e32 v5, v4
	v_div_scale_f32 v6, vcc, v3, v2, v3
	v_fma_f32 v7, -v4, v5, 1.0
	v_fmac_f32_e32 v5, v7, v5
	v_mul_f32_e32 v7, v6, v5
	v_fma_f32 v8, -v4, v7, v6
	v_fmac_f32_e32 v7, v8, v5
	v_fma_f32 v4, -v4, v7, v6
	v_div_fmas_f32 v4, v4, v5, v7
	v_div_fixup_f32 v3, v4, v2, v3
	global_store_dword v[0:1], v3, off
	v_add_co_u32_e32 v0, vcc, 4, v0
	v_addc_co_u32_e32 v1, vcc, 0, v1, vcc
	s_cbranch_scc1 .LBB1_16
.LBB1_17:
	s_endpgm
	.section	.rodata,"a",@progbits
	.p2align	6, 0x0
	.amdhsa_kernel _ZN4vllm3moe10topkGatingILi1ELi1ELi4ELi4ELi32EifLNS0_11ScoringFuncE0EEEvPKT5_PKbPfiPT4_PiiiibPKf
		.amdhsa_group_segment_fixed_size 0
		.amdhsa_private_segment_fixed_size 0
		.amdhsa_kernarg_size 72
		.amdhsa_user_sgpr_count 6
		.amdhsa_user_sgpr_private_segment_buffer 1
		.amdhsa_user_sgpr_dispatch_ptr 0
		.amdhsa_user_sgpr_queue_ptr 0
		.amdhsa_user_sgpr_kernarg_segment_ptr 1
		.amdhsa_user_sgpr_dispatch_id 0
		.amdhsa_user_sgpr_flat_scratch_init 0
		.amdhsa_user_sgpr_kernarg_preload_length 0
		.amdhsa_user_sgpr_kernarg_preload_offset 0
		.amdhsa_user_sgpr_private_segment_size 0
		.amdhsa_uses_dynamic_stack 0
		.amdhsa_system_sgpr_private_segment_wavefront_offset 0
		.amdhsa_system_sgpr_workgroup_id_x 1
		.amdhsa_system_sgpr_workgroup_id_y 0
		.amdhsa_system_sgpr_workgroup_id_z 0
		.amdhsa_system_sgpr_workgroup_info 0
		.amdhsa_system_vgpr_workitem_id 1
		.amdhsa_next_free_vgpr 19
		.amdhsa_next_free_sgpr 23
		.amdhsa_accum_offset 20
		.amdhsa_reserve_vcc 1
		.amdhsa_reserve_flat_scratch 0
		.amdhsa_float_round_mode_32 0
		.amdhsa_float_round_mode_16_64 0
		.amdhsa_float_denorm_mode_32 3
		.amdhsa_float_denorm_mode_16_64 3
		.amdhsa_dx10_clamp 1
		.amdhsa_ieee_mode 1
		.amdhsa_fp16_overflow 0
		.amdhsa_tg_split 0
		.amdhsa_exception_fp_ieee_invalid_op 0
		.amdhsa_exception_fp_denorm_src 0
		.amdhsa_exception_fp_ieee_div_zero 0
		.amdhsa_exception_fp_ieee_overflow 0
		.amdhsa_exception_fp_ieee_underflow 0
		.amdhsa_exception_fp_ieee_inexact 0
		.amdhsa_exception_int_div_zero 0
	.end_amdhsa_kernel
	.section	.text._ZN4vllm3moe10topkGatingILi1ELi1ELi4ELi4ELi32EifLNS0_11ScoringFuncE0EEEvPKT5_PKbPfiPT4_PiiiibPKf,"axG",@progbits,_ZN4vllm3moe10topkGatingILi1ELi1ELi4ELi4ELi32EifLNS0_11ScoringFuncE0EEEvPKT5_PKbPfiPT4_PiiiibPKf,comdat
.Lfunc_end1:
	.size	_ZN4vllm3moe10topkGatingILi1ELi1ELi4ELi4ELi32EifLNS0_11ScoringFuncE0EEEvPKT5_PKbPfiPT4_PiiiibPKf, .Lfunc_end1-_ZN4vllm3moe10topkGatingILi1ELi1ELi4ELi4ELi32EifLNS0_11ScoringFuncE0EEEvPKT5_PKbPfiPT4_PiiiibPKf
                                        ; -- End function
	.section	.AMDGPU.csdata,"",@progbits
; Kernel info:
; codeLenInByte = 1052
; NumSgprs: 27
; NumVgprs: 19
; NumAgprs: 0
; TotalNumVgprs: 19
; ScratchSize: 0
; MemoryBound: 0
; FloatMode: 240
; IeeeMode: 1
; LDSByteSize: 0 bytes/workgroup (compile time only)
; SGPRBlocks: 3
; VGPRBlocks: 2
; NumSGPRsForWavesPerEU: 27
; NumVGPRsForWavesPerEU: 19
; AccumOffset: 20
; Occupancy: 8
; WaveLimiterHint : 0
; COMPUTE_PGM_RSRC2:SCRATCH_EN: 0
; COMPUTE_PGM_RSRC2:USER_SGPR: 6
; COMPUTE_PGM_RSRC2:TRAP_HANDLER: 0
; COMPUTE_PGM_RSRC2:TGID_X_EN: 1
; COMPUTE_PGM_RSRC2:TGID_Y_EN: 0
; COMPUTE_PGM_RSRC2:TGID_Z_EN: 0
; COMPUTE_PGM_RSRC2:TIDIG_COMP_CNT: 1
; COMPUTE_PGM_RSRC3_GFX90A:ACCUM_OFFSET: 4
; COMPUTE_PGM_RSRC3_GFX90A:TG_SPLIT: 0
	.section	.text._ZN4vllm3moe10topkGatingILi2ELi2ELi4ELi8ELi64EifLNS0_11ScoringFuncE0EEEvPKT5_PKbPfiPT4_PiiiibPKf,"axG",@progbits,_ZN4vllm3moe10topkGatingILi2ELi2ELi4ELi8ELi64EifLNS0_11ScoringFuncE0EEEvPKT5_PKbPfiPT4_PiiiibPKf,comdat
	.protected	_ZN4vllm3moe10topkGatingILi2ELi2ELi4ELi8ELi64EifLNS0_11ScoringFuncE0EEEvPKT5_PKbPfiPT4_PiiiibPKf ; -- Begin function _ZN4vllm3moe10topkGatingILi2ELi2ELi4ELi8ELi64EifLNS0_11ScoringFuncE0EEEvPKT5_PKbPfiPT4_PiiiibPKf
	.globl	_ZN4vllm3moe10topkGatingILi2ELi2ELi4ELi8ELi64EifLNS0_11ScoringFuncE0EEEvPKT5_PKbPfiPT4_PiiiibPKf
	.p2align	8
	.type	_ZN4vllm3moe10topkGatingILi2ELi2ELi4ELi8ELi64EifLNS0_11ScoringFuncE0EEEvPKT5_PKbPfiPT4_PiiiibPKf,@function
_ZN4vllm3moe10topkGatingILi2ELi2ELi4ELi8ELi64EifLNS0_11ScoringFuncE0EEEvPKT5_PKbPfiPT4_PiiiibPKf: ; @_ZN4vllm3moe10topkGatingILi2ELi2ELi4ELi8ELi64EifLNS0_11ScoringFuncE0EEEvPKT5_PKbPfiPT4_PiiiibPKf
; %bb.0:
	s_load_dword s16, s[4:5], 0x18
	v_bfe_u32 v1, v0, 10, 10
	s_lshl_b32 s0, s6, 8
	v_lshlrev_b32_e32 v1, 6, v1
	v_and_b32_e32 v0, 0x3ff, v0
	v_add3_u32 v10, v1, v0, s0
	s_waitcnt lgkmcnt(0)
	v_cmp_gt_i32_e32 vcc, s16, v10
	s_and_saveexec_b64 s[0:1], vcc
	s_cbranch_execz .LBB2_19
; %bb.1:
	s_load_dwordx4 s[0:3], s[4:5], 0x0
	s_load_dwordx2 s[6:7], s[4:5], 0x10
	s_waitcnt lgkmcnt(0)
	s_cmp_eq_u64 s[2:3], 0
	s_cbranch_scc1 .LBB2_3
; %bb.2:
	v_ashrrev_i32_e32 v1, 31, v10
	v_mov_b32_e32 v2, s3
	v_add_co_u32_e32 v0, vcc, s2, v10
	v_addc_co_u32_e32 v1, vcc, v2, v1, vcc
	global_load_ubyte v0, v[0:1], off
	s_waitcnt vmcnt(0)
	v_and_b32_e32 v0, 1, v0
	v_cmp_eq_u32_e32 vcc, 1, v0
	s_xor_b64 s[2:3], vcc, -1
	s_orn2_b64 s[12:13], s[2:3], exec
	s_branch .LBB2_4
.LBB2_3:
	s_mov_b64 s[12:13], -1
.LBB2_4:
	v_lshlrev_b32_e32 v0, 1, v10
	v_ashrrev_i32_e32 v1, 31, v0
	v_lshlrev_b64 v[0:1], 2, v[0:1]
	v_mov_b32_e32 v2, s1
	v_add_co_u32_e32 v0, vcc, s0, v0
	v_addc_co_u32_e32 v1, vcc, v2, v1, vcc
	global_load_dwordx2 v[0:1], v[0:1], off
	s_mov_b32 s2, 0x3fb8aa3b
	s_mov_b32 s3, 0xc2ce8ed0
	;; [unrolled: 1-line block ×3, first 2 shown]
	s_load_dwordx2 s[0:1], s[4:5], 0x40
	s_mov_b32 s9, 0x7f800000
	s_waitcnt lgkmcnt(0)
	s_cmp_eq_u64 s[0:1], 0
	s_waitcnt vmcnt(0)
	v_max_f32_e32 v2, v1, v1
	v_max_f32_e32 v3, v0, v0
	v_max_f32_e32 v2, v3, v2
	v_pk_add_f32 v[0:1], v[0:1], v[2:3] op_sel_hi:[1,0] neg_lo:[0,1] neg_hi:[0,1]
	v_mul_f32_e32 v2, 0x3fb8aa3b, v1
	v_mul_f32_e32 v3, 0x3fb8aa3b, v0
	v_fma_f32 v4, v1, s2, -v2
	v_rndne_f32_e32 v5, v2
	v_fma_f32 v6, v0, s2, -v3
	v_rndne_f32_e32 v7, v3
	v_fmac_f32_e32 v4, 0x32a5705f, v1
	v_sub_f32_e32 v2, v2, v5
	v_fmac_f32_e32 v6, 0x32a5705f, v0
	v_sub_f32_e32 v3, v3, v7
	v_add_f32_e32 v2, v2, v4
	v_cvt_i32_f32_e32 v5, v5
	v_add_f32_e32 v3, v3, v6
	v_exp_f32_e32 v2, v2
	v_cvt_i32_f32_e32 v7, v7
	v_exp_f32_e32 v3, v3
	v_cmp_ngt_f32_e32 vcc, s3, v1
	v_ldexp_f32 v2, v2, v5
	v_cndmask_b32_e32 v2, 0, v2, vcc
	v_ldexp_f32 v3, v3, v7
	v_cmp_ngt_f32_e32 vcc, s3, v0
	v_mov_b32_e32 v4, 0x7f800000
	v_cndmask_b32_e32 v3, 0, v3, vcc
	v_cmp_nlt_f32_e32 vcc, s8, v1
	v_cndmask_b32_e32 v1, v4, v2, vcc
	v_cmp_nlt_f32_e32 vcc, s8, v0
	v_cndmask_b32_e32 v0, v4, v3, vcc
	v_add_f32_e32 v2, v0, v1
	v_div_scale_f32 v3, s[2:3], v2, v2, 1.0
	v_rcp_f32_e32 v4, v3
	v_div_scale_f32 v5, vcc, 1.0, v2, 1.0
	s_movk_i32 s2, 0x1f8
	v_fma_f32 v6, -v3, v4, 1.0
	v_fmac_f32_e32 v4, v6, v4
	v_mul_f32_e32 v6, v5, v4
	v_fma_f32 v7, -v3, v6, v5
	v_fmac_f32_e32 v6, v7, v4
	v_fma_f32 v3, -v3, v6, v5
	v_div_fmas_f32 v3, v3, v4, v6
	v_div_fixup_f32 v2, v3, v2, 1.0
	v_pk_mul_f32 v[0:1], v[2:3], v[0:1] op_sel_hi:[0,1]
	v_cmp_nlg_f32_e64 vcc, |v0|, s9
	v_cndmask_b32_e32 v1, v1, v1, vcc
	v_cndmask_b32_e64 v0, v0, 0, vcc
	v_cmp_class_f32_e64 vcc, v1, s2
	v_cndmask_b32_e32 v1, 0, v1, vcc
	v_pk_mov_b32 v[2:3], v[0:1], v[0:1] op_sel:[0,1]
	s_cbranch_scc1 .LBB2_6
; %bb.5:
	s_load_dwordx2 s[0:1], s[0:1], 0x0
	s_waitcnt lgkmcnt(0)
	v_pk_add_f32 v[2:3], v[0:1], s[0:1]
.LBB2_6:
	s_load_dwordx4 s[8:11], s[4:5], 0x30
	s_waitcnt lgkmcnt(0)
	s_bitcmp1_b32 s11, 0
	s_cselect_b64 vcc, -1, 0
	s_cmp_gt_i32 s8, 0
	s_cselect_b64 s[14:15], -1, 0
	s_cmp_lt_i32 s8, 1
	s_cbranch_scc1 .LBB2_10
; %bb.7:
	s_load_dwordx4 s[20:23], s[4:5], 0x20
	v_mul_lo_u32 v4, v10, s8
	v_ashrrev_i32_e32 v5, 31, v4
	v_lshlrev_b64 v[8:9], 2, v[4:5]
	v_mov_b32_e32 v5, s7
	v_add_co_u32_e64 v4, s[0:1], s6, v8
	v_addc_co_u32_e64 v5, s[0:1], v5, v9, s[0:1]
	s_waitcnt lgkmcnt(0)
	v_mov_b32_e32 v7, s21
	v_add_co_u32_e64 v6, s[0:1], s20, v8
	v_addc_co_u32_e64 v7, s[0:1], v7, v9, s[0:1]
	v_mov_b32_e32 v11, s23
	v_add_co_u32_e64 v8, s[0:1], s22, v8
	v_addc_co_u32_e64 v9, s[0:1], v11, v9, s[0:1]
	s_mov_b32 s11, 0
	v_mov_b32_e32 v11, 0
	v_mov_b32_e32 v12, 0xc61c4000
	;; [unrolled: 1-line block ×3, first 2 shown]
.LBB2_8:                                ; =>This Inner Loop Header: Depth=1
	v_cmp_gt_f32_e64 s[0:1], v3, v2
	v_cndmask_b32_e64 v15, 0, 1, s[0:1]
	v_cmp_le_i32_e64 s[2:3], s9, v15
	v_cmp_gt_i32_e64 s[4:5], s10, v15
	s_and_b64 s[2:3], s[2:3], s[4:5]
	v_cndmask_b32_e64 v14, v0, v1, s[0:1]
	v_subrev_u32_e32 v15, s9, v15
	s_and_b64 s[2:3], s[12:13], s[2:3]
	s_add_i32 s11, s11, 1
	global_store_dword v[4:5], v14, off
	v_cndmask_b32_e64 v15, 2, v15, s[2:3]
	v_add_f32_e32 v14, v11, v14
	s_cmp_lt_i32 s11, s8
	global_store_dword v[6:7], v15, off
	global_store_dword v[8:9], v13, off
	v_cndmask_b32_e32 v11, v11, v14, vcc
	v_cndmask_b32_e64 v14, v12, v2, s[0:1]
	v_cndmask_b32_e64 v15, v3, v12, s[0:1]
	s_cselect_b64 s[0:1], -1, 0
	v_cndmask_b32_e64 v3, v3, v15, s[0:1]
	v_cndmask_b32_e64 v2, v2, v14, s[0:1]
	v_add_co_u32_e64 v4, s[0:1], 4, v4
	v_addc_co_u32_e64 v5, s[0:1], 0, v5, s[0:1]
	v_add_co_u32_e64 v6, s[0:1], 4, v6
	v_addc_co_u32_e64 v7, s[0:1], 0, v7, s[0:1]
	v_add_co_u32_e64 v8, s[0:1], 4, v8
	v_add_u32_e32 v13, s16, v13
	s_cmp_eq_u32 s8, s11
	v_addc_co_u32_e64 v9, s[0:1], 0, v9, s[0:1]
	s_cbranch_scc0 .LBB2_8
; %bb.9:
	s_and_b64 vcc, exec, vcc
	s_cbranch_vccnz .LBB2_11
	s_branch .LBB2_19
.LBB2_10:
	v_mov_b32_e32 v11, 0
	s_and_b64 vcc, exec, vcc
	s_cbranch_vccz .LBB2_19
.LBB2_11:
	s_andn2_b64 vcc, exec, s[14:15]
	s_cbranch_vccnz .LBB2_19
; %bb.12:
	v_cmp_lt_f32_e32 vcc, 0, v11
	s_mov_b32 s2, 0
	v_cndmask_b32_e32 v0, 1.0, v11, vcc
	v_mul_lo_u32 v4, v10, s8
	s_cmp_eq_u32 s8, 1
	s_mov_b64 s[0:1], -1
	s_cbranch_scc1 .LBB2_16
; %bb.13:
	s_and_b32 s2, s8, 0x7ffffffe
	v_mov_b32_e32 v1, v0
	v_mov_b32_e32 v5, s7
	s_mov_b32 s3, s2
	v_mov_b32_e32 v2, v4
.LBB2_14:                               ; =>This Inner Loop Header: Depth=1
	v_ashrrev_i32_e32 v3, 31, v2
	v_lshlrev_b64 v[6:7], 2, v[2:3]
	v_add_co_u32_e32 v6, vcc, s6, v6
	v_addc_co_u32_e32 v7, vcc, v5, v7, vcc
	global_load_dwordx2 v[8:9], v[6:7], off
	s_add_i32 s3, s3, -2
	s_cmp_lg_u32 s3, 0
	v_add_u32_e32 v2, 2, v2
	s_waitcnt vmcnt(0)
	v_div_scale_f32 v3, s[0:1], v1, v1, v9
	v_div_scale_f32 v11, s[0:1], v0, v0, v8
	v_rcp_f32_e32 v12, v3
	v_rcp_f32_e32 v13, v11
	v_div_scale_f32 v10, vcc, v9, v1, v9
	v_fma_f32 v15, -v3, v12, 1.0
	v_fma_f32 v16, -v11, v13, 1.0
	v_fmac_f32_e32 v12, v15, v12
	v_div_scale_f32 v14, s[0:1], v8, v0, v8
	v_fmac_f32_e32 v13, v16, v13
	v_mul_f32_e32 v15, v10, v12
	v_mul_f32_e32 v16, v14, v13
	v_fma_f32 v17, -v3, v15, v10
	v_fma_f32 v18, -v11, v16, v14
	v_fmac_f32_e32 v15, v17, v12
	v_fmac_f32_e32 v16, v18, v13
	v_fma_f32 v3, -v3, v15, v10
	v_fma_f32 v10, -v11, v16, v14
	v_div_fmas_f32 v3, v3, v12, v15
	s_mov_b64 vcc, s[0:1]
	v_div_fixup_f32 v9, v3, v1, v9
	v_div_fmas_f32 v3, v10, v13, v16
	v_div_fixup_f32 v8, v3, v0, v8
	global_store_dwordx2 v[6:7], v[8:9], off
	s_cbranch_scc1 .LBB2_14
; %bb.15:
	s_cmp_lg_u32 s2, s8
	s_cselect_b64 s[0:1], -1, 0
.LBB2_16:
	s_and_b64 vcc, exec, s[0:1]
	s_cbranch_vccz .LBB2_19
; %bb.17:
	v_ashrrev_i32_e32 v1, 31, v4
	v_add_co_u32_e32 v2, vcc, s2, v4
	v_addc_co_u32_e32 v3, vcc, 0, v1, vcc
	v_lshlrev_b64 v[2:3], 2, v[2:3]
	v_mov_b32_e32 v1, s7
	v_add_co_u32_e32 v2, vcc, s6, v2
	s_sub_i32 s0, s8, s2
	v_addc_co_u32_e32 v3, vcc, v1, v3, vcc
.LBB2_18:                               ; =>This Inner Loop Header: Depth=1
	global_load_dword v1, v[2:3], off
	s_add_i32 s0, s0, -1
	s_cmp_lg_u32 s0, 0
	s_waitcnt vmcnt(0)
	v_div_scale_f32 v4, s[2:3], v0, v0, v1
	v_rcp_f32_e32 v5, v4
	v_div_scale_f32 v6, vcc, v1, v0, v1
	v_fma_f32 v7, -v4, v5, 1.0
	v_fmac_f32_e32 v5, v7, v5
	v_mul_f32_e32 v7, v6, v5
	v_fma_f32 v8, -v4, v7, v6
	v_fmac_f32_e32 v7, v8, v5
	v_fma_f32 v4, -v4, v7, v6
	v_div_fmas_f32 v4, v4, v5, v7
	v_div_fixup_f32 v1, v4, v0, v1
	global_store_dword v[2:3], v1, off
	v_add_co_u32_e32 v2, vcc, 4, v2
	v_addc_co_u32_e32 v3, vcc, 0, v3, vcc
	s_cbranch_scc1 .LBB2_18
.LBB2_19:
	s_endpgm
	.section	.rodata,"a",@progbits
	.p2align	6, 0x0
	.amdhsa_kernel _ZN4vllm3moe10topkGatingILi2ELi2ELi4ELi8ELi64EifLNS0_11ScoringFuncE0EEEvPKT5_PKbPfiPT4_PiiiibPKf
		.amdhsa_group_segment_fixed_size 0
		.amdhsa_private_segment_fixed_size 0
		.amdhsa_kernarg_size 72
		.amdhsa_user_sgpr_count 6
		.amdhsa_user_sgpr_private_segment_buffer 1
		.amdhsa_user_sgpr_dispatch_ptr 0
		.amdhsa_user_sgpr_queue_ptr 0
		.amdhsa_user_sgpr_kernarg_segment_ptr 1
		.amdhsa_user_sgpr_dispatch_id 0
		.amdhsa_user_sgpr_flat_scratch_init 0
		.amdhsa_user_sgpr_kernarg_preload_length 0
		.amdhsa_user_sgpr_kernarg_preload_offset 0
		.amdhsa_user_sgpr_private_segment_size 0
		.amdhsa_uses_dynamic_stack 0
		.amdhsa_system_sgpr_private_segment_wavefront_offset 0
		.amdhsa_system_sgpr_workgroup_id_x 1
		.amdhsa_system_sgpr_workgroup_id_y 0
		.amdhsa_system_sgpr_workgroup_id_z 0
		.amdhsa_system_sgpr_workgroup_info 0
		.amdhsa_system_vgpr_workitem_id 1
		.amdhsa_next_free_vgpr 19
		.amdhsa_next_free_sgpr 24
		.amdhsa_accum_offset 20
		.amdhsa_reserve_vcc 1
		.amdhsa_reserve_flat_scratch 0
		.amdhsa_float_round_mode_32 0
		.amdhsa_float_round_mode_16_64 0
		.amdhsa_float_denorm_mode_32 3
		.amdhsa_float_denorm_mode_16_64 3
		.amdhsa_dx10_clamp 1
		.amdhsa_ieee_mode 1
		.amdhsa_fp16_overflow 0
		.amdhsa_tg_split 0
		.amdhsa_exception_fp_ieee_invalid_op 0
		.amdhsa_exception_fp_denorm_src 0
		.amdhsa_exception_fp_ieee_div_zero 0
		.amdhsa_exception_fp_ieee_overflow 0
		.amdhsa_exception_fp_ieee_underflow 0
		.amdhsa_exception_fp_ieee_inexact 0
		.amdhsa_exception_int_div_zero 0
	.end_amdhsa_kernel
	.section	.text._ZN4vllm3moe10topkGatingILi2ELi2ELi4ELi8ELi64EifLNS0_11ScoringFuncE0EEEvPKT5_PKbPfiPT4_PiiiibPKf,"axG",@progbits,_ZN4vllm3moe10topkGatingILi2ELi2ELi4ELi8ELi64EifLNS0_11ScoringFuncE0EEEvPKT5_PKbPfiPT4_PiiiibPKf,comdat
.Lfunc_end2:
	.size	_ZN4vllm3moe10topkGatingILi2ELi2ELi4ELi8ELi64EifLNS0_11ScoringFuncE0EEEvPKT5_PKbPfiPT4_PiiiibPKf, .Lfunc_end2-_ZN4vllm3moe10topkGatingILi2ELi2ELi4ELi8ELi64EifLNS0_11ScoringFuncE0EEEvPKT5_PKbPfiPT4_PiiiibPKf
                                        ; -- End function
	.section	.AMDGPU.csdata,"",@progbits
; Kernel info:
; codeLenInByte = 1344
; NumSgprs: 28
; NumVgprs: 19
; NumAgprs: 0
; TotalNumVgprs: 19
; ScratchSize: 0
; MemoryBound: 1
; FloatMode: 240
; IeeeMode: 1
; LDSByteSize: 0 bytes/workgroup (compile time only)
; SGPRBlocks: 3
; VGPRBlocks: 2
; NumSGPRsForWavesPerEU: 28
; NumVGPRsForWavesPerEU: 19
; AccumOffset: 20
; Occupancy: 8
; WaveLimiterHint : 0
; COMPUTE_PGM_RSRC2:SCRATCH_EN: 0
; COMPUTE_PGM_RSRC2:USER_SGPR: 6
; COMPUTE_PGM_RSRC2:TRAP_HANDLER: 0
; COMPUTE_PGM_RSRC2:TGID_X_EN: 1
; COMPUTE_PGM_RSRC2:TGID_Y_EN: 0
; COMPUTE_PGM_RSRC2:TGID_Z_EN: 0
; COMPUTE_PGM_RSRC2:TIDIG_COMP_CNT: 1
; COMPUTE_PGM_RSRC3_GFX90A:ACCUM_OFFSET: 4
; COMPUTE_PGM_RSRC3_GFX90A:TG_SPLIT: 0
	.section	.text._ZN4vllm3moe10topkGatingILi2ELi2ELi4ELi8ELi32EifLNS0_11ScoringFuncE0EEEvPKT5_PKbPfiPT4_PiiiibPKf,"axG",@progbits,_ZN4vllm3moe10topkGatingILi2ELi2ELi4ELi8ELi32EifLNS0_11ScoringFuncE0EEEvPKT5_PKbPfiPT4_PiiiibPKf,comdat
	.protected	_ZN4vllm3moe10topkGatingILi2ELi2ELi4ELi8ELi32EifLNS0_11ScoringFuncE0EEEvPKT5_PKbPfiPT4_PiiiibPKf ; -- Begin function _ZN4vllm3moe10topkGatingILi2ELi2ELi4ELi8ELi32EifLNS0_11ScoringFuncE0EEEvPKT5_PKbPfiPT4_PiiiibPKf
	.globl	_ZN4vllm3moe10topkGatingILi2ELi2ELi4ELi8ELi32EifLNS0_11ScoringFuncE0EEEvPKT5_PKbPfiPT4_PiiiibPKf
	.p2align	8
	.type	_ZN4vllm3moe10topkGatingILi2ELi2ELi4ELi8ELi32EifLNS0_11ScoringFuncE0EEEvPKT5_PKbPfiPT4_PiiiibPKf,@function
_ZN4vllm3moe10topkGatingILi2ELi2ELi4ELi8ELi32EifLNS0_11ScoringFuncE0EEEvPKT5_PKbPfiPT4_PiiiibPKf: ; @_ZN4vllm3moe10topkGatingILi2ELi2ELi4ELi8ELi32EifLNS0_11ScoringFuncE0EEEvPKT5_PKbPfiPT4_PiiiibPKf
; %bb.0:
	s_load_dword s16, s[4:5], 0x18
	v_bfe_u32 v1, v0, 10, 10
	s_lshl_b32 s0, s6, 7
	v_lshlrev_b32_e32 v1, 5, v1
	v_and_b32_e32 v0, 0x3ff, v0
	v_add3_u32 v10, v1, v0, s0
	s_waitcnt lgkmcnt(0)
	v_cmp_gt_i32_e32 vcc, s16, v10
	s_and_saveexec_b64 s[0:1], vcc
	s_cbranch_execz .LBB3_19
; %bb.1:
	s_load_dwordx4 s[0:3], s[4:5], 0x0
	s_load_dwordx2 s[6:7], s[4:5], 0x10
	s_waitcnt lgkmcnt(0)
	s_cmp_eq_u64 s[2:3], 0
	s_cbranch_scc1 .LBB3_3
; %bb.2:
	v_ashrrev_i32_e32 v1, 31, v10
	v_mov_b32_e32 v2, s3
	v_add_co_u32_e32 v0, vcc, s2, v10
	v_addc_co_u32_e32 v1, vcc, v2, v1, vcc
	global_load_ubyte v0, v[0:1], off
	s_waitcnt vmcnt(0)
	v_and_b32_e32 v0, 1, v0
	v_cmp_eq_u32_e32 vcc, 1, v0
	s_xor_b64 s[2:3], vcc, -1
	s_orn2_b64 s[12:13], s[2:3], exec
	s_branch .LBB3_4
.LBB3_3:
	s_mov_b64 s[12:13], -1
.LBB3_4:
	v_lshlrev_b32_e32 v0, 1, v10
	v_ashrrev_i32_e32 v1, 31, v0
	v_lshlrev_b64 v[0:1], 2, v[0:1]
	v_mov_b32_e32 v2, s1
	v_add_co_u32_e32 v0, vcc, s0, v0
	v_addc_co_u32_e32 v1, vcc, v2, v1, vcc
	global_load_dwordx2 v[0:1], v[0:1], off
	s_mov_b32 s2, 0x3fb8aa3b
	s_mov_b32 s3, 0xc2ce8ed0
	;; [unrolled: 1-line block ×3, first 2 shown]
	s_load_dwordx2 s[0:1], s[4:5], 0x40
	s_mov_b32 s9, 0x7f800000
	s_waitcnt lgkmcnt(0)
	s_cmp_eq_u64 s[0:1], 0
	s_waitcnt vmcnt(0)
	v_max_f32_e32 v2, v1, v1
	v_max_f32_e32 v3, v0, v0
	;; [unrolled: 1-line block ×3, first 2 shown]
	v_pk_add_f32 v[0:1], v[0:1], v[2:3] op_sel_hi:[1,0] neg_lo:[0,1] neg_hi:[0,1]
	v_mul_f32_e32 v2, 0x3fb8aa3b, v1
	v_mul_f32_e32 v3, 0x3fb8aa3b, v0
	v_fma_f32 v4, v1, s2, -v2
	v_rndne_f32_e32 v5, v2
	v_fma_f32 v6, v0, s2, -v3
	v_rndne_f32_e32 v7, v3
	v_fmac_f32_e32 v4, 0x32a5705f, v1
	v_sub_f32_e32 v2, v2, v5
	v_fmac_f32_e32 v6, 0x32a5705f, v0
	v_sub_f32_e32 v3, v3, v7
	v_add_f32_e32 v2, v2, v4
	v_cvt_i32_f32_e32 v5, v5
	v_add_f32_e32 v3, v3, v6
	v_exp_f32_e32 v2, v2
	v_cvt_i32_f32_e32 v7, v7
	v_exp_f32_e32 v3, v3
	v_cmp_ngt_f32_e32 vcc, s3, v1
	v_ldexp_f32 v2, v2, v5
	v_cndmask_b32_e32 v2, 0, v2, vcc
	v_ldexp_f32 v3, v3, v7
	v_cmp_ngt_f32_e32 vcc, s3, v0
	v_mov_b32_e32 v4, 0x7f800000
	v_cndmask_b32_e32 v3, 0, v3, vcc
	v_cmp_nlt_f32_e32 vcc, s8, v1
	v_cndmask_b32_e32 v1, v4, v2, vcc
	v_cmp_nlt_f32_e32 vcc, s8, v0
	v_cndmask_b32_e32 v0, v4, v3, vcc
	v_add_f32_e32 v2, v0, v1
	v_div_scale_f32 v3, s[2:3], v2, v2, 1.0
	v_rcp_f32_e32 v4, v3
	v_div_scale_f32 v5, vcc, 1.0, v2, 1.0
	s_movk_i32 s2, 0x1f8
	v_fma_f32 v6, -v3, v4, 1.0
	v_fmac_f32_e32 v4, v6, v4
	v_mul_f32_e32 v6, v5, v4
	v_fma_f32 v7, -v3, v6, v5
	v_fmac_f32_e32 v6, v7, v4
	v_fma_f32 v3, -v3, v6, v5
	v_div_fmas_f32 v3, v3, v4, v6
	v_div_fixup_f32 v2, v3, v2, 1.0
	v_pk_mul_f32 v[0:1], v[2:3], v[0:1] op_sel_hi:[0,1]
	v_cmp_nlg_f32_e64 vcc, |v0|, s9
	v_cndmask_b32_e32 v1, v1, v1, vcc
	v_cndmask_b32_e64 v0, v0, 0, vcc
	v_cmp_class_f32_e64 vcc, v1, s2
	v_cndmask_b32_e32 v1, 0, v1, vcc
	v_pk_mov_b32 v[2:3], v[0:1], v[0:1] op_sel:[0,1]
	s_cbranch_scc1 .LBB3_6
; %bb.5:
	s_load_dwordx2 s[0:1], s[0:1], 0x0
	s_waitcnt lgkmcnt(0)
	v_pk_add_f32 v[2:3], v[0:1], s[0:1]
.LBB3_6:
	s_load_dwordx4 s[8:11], s[4:5], 0x30
	s_waitcnt lgkmcnt(0)
	s_bitcmp1_b32 s11, 0
	s_cselect_b64 vcc, -1, 0
	s_cmp_gt_i32 s8, 0
	s_cselect_b64 s[14:15], -1, 0
	s_cmp_lt_i32 s8, 1
	s_cbranch_scc1 .LBB3_10
; %bb.7:
	s_load_dwordx4 s[20:23], s[4:5], 0x20
	v_mul_lo_u32 v4, v10, s8
	v_ashrrev_i32_e32 v5, 31, v4
	v_lshlrev_b64 v[8:9], 2, v[4:5]
	v_mov_b32_e32 v5, s7
	v_add_co_u32_e64 v4, s[0:1], s6, v8
	v_addc_co_u32_e64 v5, s[0:1], v5, v9, s[0:1]
	s_waitcnt lgkmcnt(0)
	v_mov_b32_e32 v7, s21
	v_add_co_u32_e64 v6, s[0:1], s20, v8
	v_addc_co_u32_e64 v7, s[0:1], v7, v9, s[0:1]
	v_mov_b32_e32 v11, s23
	v_add_co_u32_e64 v8, s[0:1], s22, v8
	v_addc_co_u32_e64 v9, s[0:1], v11, v9, s[0:1]
	s_mov_b32 s11, 0
	v_mov_b32_e32 v11, 0
	v_mov_b32_e32 v12, 0xc61c4000
	;; [unrolled: 1-line block ×3, first 2 shown]
.LBB3_8:                                ; =>This Inner Loop Header: Depth=1
	v_cmp_gt_f32_e64 s[0:1], v3, v2
	v_cndmask_b32_e64 v15, 0, 1, s[0:1]
	v_cmp_le_i32_e64 s[2:3], s9, v15
	v_cmp_gt_i32_e64 s[4:5], s10, v15
	s_and_b64 s[2:3], s[2:3], s[4:5]
	v_cndmask_b32_e64 v14, v0, v1, s[0:1]
	v_subrev_u32_e32 v15, s9, v15
	s_and_b64 s[2:3], s[12:13], s[2:3]
	s_add_i32 s11, s11, 1
	global_store_dword v[4:5], v14, off
	v_cndmask_b32_e64 v15, 2, v15, s[2:3]
	v_add_f32_e32 v14, v11, v14
	s_cmp_lt_i32 s11, s8
	global_store_dword v[6:7], v15, off
	global_store_dword v[8:9], v13, off
	v_cndmask_b32_e32 v11, v11, v14, vcc
	v_cndmask_b32_e64 v14, v12, v2, s[0:1]
	v_cndmask_b32_e64 v15, v3, v12, s[0:1]
	s_cselect_b64 s[0:1], -1, 0
	v_cndmask_b32_e64 v3, v3, v15, s[0:1]
	v_cndmask_b32_e64 v2, v2, v14, s[0:1]
	v_add_co_u32_e64 v4, s[0:1], 4, v4
	v_addc_co_u32_e64 v5, s[0:1], 0, v5, s[0:1]
	v_add_co_u32_e64 v6, s[0:1], 4, v6
	v_addc_co_u32_e64 v7, s[0:1], 0, v7, s[0:1]
	v_add_co_u32_e64 v8, s[0:1], 4, v8
	v_add_u32_e32 v13, s16, v13
	s_cmp_eq_u32 s8, s11
	v_addc_co_u32_e64 v9, s[0:1], 0, v9, s[0:1]
	s_cbranch_scc0 .LBB3_8
; %bb.9:
	s_and_b64 vcc, exec, vcc
	s_cbranch_vccnz .LBB3_11
	s_branch .LBB3_19
.LBB3_10:
	v_mov_b32_e32 v11, 0
	s_and_b64 vcc, exec, vcc
	s_cbranch_vccz .LBB3_19
.LBB3_11:
	s_andn2_b64 vcc, exec, s[14:15]
	s_cbranch_vccnz .LBB3_19
; %bb.12:
	v_cmp_lt_f32_e32 vcc, 0, v11
	s_mov_b32 s2, 0
	v_cndmask_b32_e32 v0, 1.0, v11, vcc
	v_mul_lo_u32 v4, v10, s8
	s_cmp_eq_u32 s8, 1
	s_mov_b64 s[0:1], -1
	s_cbranch_scc1 .LBB3_16
; %bb.13:
	s_and_b32 s2, s8, 0x7ffffffe
	v_mov_b32_e32 v1, v0
	v_mov_b32_e32 v5, s7
	s_mov_b32 s3, s2
	v_mov_b32_e32 v2, v4
.LBB3_14:                               ; =>This Inner Loop Header: Depth=1
	v_ashrrev_i32_e32 v3, 31, v2
	v_lshlrev_b64 v[6:7], 2, v[2:3]
	v_add_co_u32_e32 v6, vcc, s6, v6
	v_addc_co_u32_e32 v7, vcc, v5, v7, vcc
	global_load_dwordx2 v[8:9], v[6:7], off
	s_add_i32 s3, s3, -2
	s_cmp_lg_u32 s3, 0
	v_add_u32_e32 v2, 2, v2
	s_waitcnt vmcnt(0)
	v_div_scale_f32 v3, s[0:1], v1, v1, v9
	v_div_scale_f32 v11, s[0:1], v0, v0, v8
	v_rcp_f32_e32 v12, v3
	v_rcp_f32_e32 v13, v11
	v_div_scale_f32 v10, vcc, v9, v1, v9
	v_fma_f32 v15, -v3, v12, 1.0
	v_fma_f32 v16, -v11, v13, 1.0
	v_fmac_f32_e32 v12, v15, v12
	v_div_scale_f32 v14, s[0:1], v8, v0, v8
	v_fmac_f32_e32 v13, v16, v13
	v_mul_f32_e32 v15, v10, v12
	v_mul_f32_e32 v16, v14, v13
	v_fma_f32 v17, -v3, v15, v10
	v_fma_f32 v18, -v11, v16, v14
	v_fmac_f32_e32 v15, v17, v12
	v_fmac_f32_e32 v16, v18, v13
	v_fma_f32 v3, -v3, v15, v10
	v_fma_f32 v10, -v11, v16, v14
	v_div_fmas_f32 v3, v3, v12, v15
	s_mov_b64 vcc, s[0:1]
	v_div_fixup_f32 v9, v3, v1, v9
	v_div_fmas_f32 v3, v10, v13, v16
	v_div_fixup_f32 v8, v3, v0, v8
	global_store_dwordx2 v[6:7], v[8:9], off
	s_cbranch_scc1 .LBB3_14
; %bb.15:
	s_cmp_lg_u32 s2, s8
	s_cselect_b64 s[0:1], -1, 0
.LBB3_16:
	s_and_b64 vcc, exec, s[0:1]
	s_cbranch_vccz .LBB3_19
; %bb.17:
	v_ashrrev_i32_e32 v1, 31, v4
	v_add_co_u32_e32 v2, vcc, s2, v4
	v_addc_co_u32_e32 v3, vcc, 0, v1, vcc
	v_lshlrev_b64 v[2:3], 2, v[2:3]
	v_mov_b32_e32 v1, s7
	v_add_co_u32_e32 v2, vcc, s6, v2
	s_sub_i32 s0, s8, s2
	v_addc_co_u32_e32 v3, vcc, v1, v3, vcc
.LBB3_18:                               ; =>This Inner Loop Header: Depth=1
	global_load_dword v1, v[2:3], off
	s_add_i32 s0, s0, -1
	s_cmp_lg_u32 s0, 0
	s_waitcnt vmcnt(0)
	v_div_scale_f32 v4, s[2:3], v0, v0, v1
	v_rcp_f32_e32 v5, v4
	v_div_scale_f32 v6, vcc, v1, v0, v1
	v_fma_f32 v7, -v4, v5, 1.0
	v_fmac_f32_e32 v5, v7, v5
	v_mul_f32_e32 v7, v6, v5
	v_fma_f32 v8, -v4, v7, v6
	v_fmac_f32_e32 v7, v8, v5
	v_fma_f32 v4, -v4, v7, v6
	v_div_fmas_f32 v4, v4, v5, v7
	v_div_fixup_f32 v1, v4, v0, v1
	global_store_dword v[2:3], v1, off
	v_add_co_u32_e32 v2, vcc, 4, v2
	v_addc_co_u32_e32 v3, vcc, 0, v3, vcc
	s_cbranch_scc1 .LBB3_18
.LBB3_19:
	s_endpgm
	.section	.rodata,"a",@progbits
	.p2align	6, 0x0
	.amdhsa_kernel _ZN4vllm3moe10topkGatingILi2ELi2ELi4ELi8ELi32EifLNS0_11ScoringFuncE0EEEvPKT5_PKbPfiPT4_PiiiibPKf
		.amdhsa_group_segment_fixed_size 0
		.amdhsa_private_segment_fixed_size 0
		.amdhsa_kernarg_size 72
		.amdhsa_user_sgpr_count 6
		.amdhsa_user_sgpr_private_segment_buffer 1
		.amdhsa_user_sgpr_dispatch_ptr 0
		.amdhsa_user_sgpr_queue_ptr 0
		.amdhsa_user_sgpr_kernarg_segment_ptr 1
		.amdhsa_user_sgpr_dispatch_id 0
		.amdhsa_user_sgpr_flat_scratch_init 0
		.amdhsa_user_sgpr_kernarg_preload_length 0
		.amdhsa_user_sgpr_kernarg_preload_offset 0
		.amdhsa_user_sgpr_private_segment_size 0
		.amdhsa_uses_dynamic_stack 0
		.amdhsa_system_sgpr_private_segment_wavefront_offset 0
		.amdhsa_system_sgpr_workgroup_id_x 1
		.amdhsa_system_sgpr_workgroup_id_y 0
		.amdhsa_system_sgpr_workgroup_id_z 0
		.amdhsa_system_sgpr_workgroup_info 0
		.amdhsa_system_vgpr_workitem_id 1
		.amdhsa_next_free_vgpr 19
		.amdhsa_next_free_sgpr 24
		.amdhsa_accum_offset 20
		.amdhsa_reserve_vcc 1
		.amdhsa_reserve_flat_scratch 0
		.amdhsa_float_round_mode_32 0
		.amdhsa_float_round_mode_16_64 0
		.amdhsa_float_denorm_mode_32 3
		.amdhsa_float_denorm_mode_16_64 3
		.amdhsa_dx10_clamp 1
		.amdhsa_ieee_mode 1
		.amdhsa_fp16_overflow 0
		.amdhsa_tg_split 0
		.amdhsa_exception_fp_ieee_invalid_op 0
		.amdhsa_exception_fp_denorm_src 0
		.amdhsa_exception_fp_ieee_div_zero 0
		.amdhsa_exception_fp_ieee_overflow 0
		.amdhsa_exception_fp_ieee_underflow 0
		.amdhsa_exception_fp_ieee_inexact 0
		.amdhsa_exception_int_div_zero 0
	.end_amdhsa_kernel
	.section	.text._ZN4vllm3moe10topkGatingILi2ELi2ELi4ELi8ELi32EifLNS0_11ScoringFuncE0EEEvPKT5_PKbPfiPT4_PiiiibPKf,"axG",@progbits,_ZN4vllm3moe10topkGatingILi2ELi2ELi4ELi8ELi32EifLNS0_11ScoringFuncE0EEEvPKT5_PKbPfiPT4_PiiiibPKf,comdat
.Lfunc_end3:
	.size	_ZN4vllm3moe10topkGatingILi2ELi2ELi4ELi8ELi32EifLNS0_11ScoringFuncE0EEEvPKT5_PKbPfiPT4_PiiiibPKf, .Lfunc_end3-_ZN4vllm3moe10topkGatingILi2ELi2ELi4ELi8ELi32EifLNS0_11ScoringFuncE0EEEvPKT5_PKbPfiPT4_PiiiibPKf
                                        ; -- End function
	.section	.AMDGPU.csdata,"",@progbits
; Kernel info:
; codeLenInByte = 1344
; NumSgprs: 28
; NumVgprs: 19
; NumAgprs: 0
; TotalNumVgprs: 19
; ScratchSize: 0
; MemoryBound: 1
; FloatMode: 240
; IeeeMode: 1
; LDSByteSize: 0 bytes/workgroup (compile time only)
; SGPRBlocks: 3
; VGPRBlocks: 2
; NumSGPRsForWavesPerEU: 28
; NumVGPRsForWavesPerEU: 19
; AccumOffset: 20
; Occupancy: 8
; WaveLimiterHint : 0
; COMPUTE_PGM_RSRC2:SCRATCH_EN: 0
; COMPUTE_PGM_RSRC2:USER_SGPR: 6
; COMPUTE_PGM_RSRC2:TRAP_HANDLER: 0
; COMPUTE_PGM_RSRC2:TGID_X_EN: 1
; COMPUTE_PGM_RSRC2:TGID_Y_EN: 0
; COMPUTE_PGM_RSRC2:TGID_Z_EN: 0
; COMPUTE_PGM_RSRC2:TIDIG_COMP_CNT: 1
; COMPUTE_PGM_RSRC3_GFX90A:ACCUM_OFFSET: 4
; COMPUTE_PGM_RSRC3_GFX90A:TG_SPLIT: 0
	.section	.text._ZN4vllm3moe10topkGatingILi4ELi4ELi4ELi16ELi64EifLNS0_11ScoringFuncE0EEEvPKT5_PKbPfiPT4_PiiiibPKf,"axG",@progbits,_ZN4vllm3moe10topkGatingILi4ELi4ELi4ELi16ELi64EifLNS0_11ScoringFuncE0EEEvPKT5_PKbPfiPT4_PiiiibPKf,comdat
	.protected	_ZN4vllm3moe10topkGatingILi4ELi4ELi4ELi16ELi64EifLNS0_11ScoringFuncE0EEEvPKT5_PKbPfiPT4_PiiiibPKf ; -- Begin function _ZN4vllm3moe10topkGatingILi4ELi4ELi4ELi16ELi64EifLNS0_11ScoringFuncE0EEEvPKT5_PKbPfiPT4_PiiiibPKf
	.globl	_ZN4vllm3moe10topkGatingILi4ELi4ELi4ELi16ELi64EifLNS0_11ScoringFuncE0EEEvPKT5_PKbPfiPT4_PiiiibPKf
	.p2align	8
	.type	_ZN4vllm3moe10topkGatingILi4ELi4ELi4ELi16ELi64EifLNS0_11ScoringFuncE0EEEvPKT5_PKbPfiPT4_PiiiibPKf,@function
_ZN4vllm3moe10topkGatingILi4ELi4ELi4ELi16ELi64EifLNS0_11ScoringFuncE0EEEvPKT5_PKbPfiPT4_PiiiibPKf: ; @_ZN4vllm3moe10topkGatingILi4ELi4ELi4ELi16ELi64EifLNS0_11ScoringFuncE0EEEvPKT5_PKbPfiPT4_PiiiibPKf
; %bb.0:
	s_load_dword s16, s[4:5], 0x18
	v_bfe_u32 v1, v0, 10, 10
	s_lshl_b32 s0, s6, 8
	v_lshlrev_b32_e32 v1, 6, v1
	v_and_b32_e32 v0, 0x3ff, v0
	v_add3_u32 v14, v1, v0, s0
	s_waitcnt lgkmcnt(0)
	v_cmp_gt_i32_e32 vcc, s16, v14
	s_and_saveexec_b64 s[0:1], vcc
	s_cbranch_execz .LBB4_20
; %bb.1:
	s_load_dwordx4 s[0:3], s[4:5], 0x0
	s_load_dwordx2 s[6:7], s[4:5], 0x10
	s_mov_b64 s[8:9], -1
	s_mov_b64 s[12:13], -1
	s_waitcnt lgkmcnt(0)
	s_cmp_eq_u64 s[2:3], 0
	s_cbranch_scc1 .LBB4_3
; %bb.2:
	v_ashrrev_i32_e32 v1, 31, v14
	v_mov_b32_e32 v2, s3
	v_add_co_u32_e32 v0, vcc, s2, v14
	v_addc_co_u32_e32 v1, vcc, v2, v1, vcc
	global_load_ubyte v0, v[0:1], off
	s_waitcnt vmcnt(0)
	v_and_b32_e32 v0, 1, v0
	v_cmp_eq_u32_e32 vcc, 1, v0
	s_xor_b64 s[2:3], vcc, -1
	s_orn2_b64 s[12:13], s[2:3], exec
.LBB4_3:
	v_lshlrev_b32_e32 v0, 2, v14
	v_ashrrev_i32_e32 v1, 31, v0
	v_lshlrev_b64 v[0:1], 2, v[0:1]
	v_mov_b32_e32 v2, s1
	v_add_co_u32_e32 v0, vcc, s0, v0
	v_addc_co_u32_e32 v1, vcc, v2, v1, vcc
	global_load_dwordx4 v[0:3], v[0:1], off
	v_mov_b32_e32 v5, 0x7f800000
	s_mov_b32 s2, 0x3fb8aa3b
	s_mov_b32 s3, 0xc2ce8ed0
	;; [unrolled: 1-line block ×3, first 2 shown]
	s_load_dwordx2 s[0:1], s[4:5], 0x40
	v_mov_b32_e32 v6, 0x207
	s_waitcnt lgkmcnt(0)
	s_cmp_eq_u64 s[0:1], 0
	s_waitcnt vmcnt(0)
	v_max_f32_e32 v4, v1, v1
	v_max_f32_e32 v7, v0, v0
	;; [unrolled: 1-line block ×3, first 2 shown]
	v_max3_f32 v4, v4, v2, v3
	v_pk_add_f32 v[0:1], v[0:1], v[4:5] op_sel_hi:[1,0] neg_lo:[0,1] neg_hi:[0,1]
	v_pk_add_f32 v[2:3], v[2:3], v[4:5] op_sel_hi:[1,0] neg_lo:[0,1] neg_hi:[0,1]
	v_mul_f32_e32 v4, 0x3fb8aa3b, v1
	v_mul_f32_e32 v7, 0x3fb8aa3b, v0
	v_fma_f32 v10, v1, s2, -v4
	v_rndne_f32_e32 v11, v4
	v_mul_f32_e32 v8, 0x3fb8aa3b, v3
	v_fma_f32 v12, v0, s2, -v7
	v_rndne_f32_e32 v13, v7
	v_fmac_f32_e32 v10, 0x32a5705f, v1
	v_sub_f32_e32 v4, v4, v11
	v_mul_f32_e32 v9, 0x3fb8aa3b, v2
	v_fma_f32 v15, v3, s2, -v8
	v_rndne_f32_e32 v16, v8
	v_fmac_f32_e32 v12, 0x32a5705f, v0
	v_sub_f32_e32 v7, v7, v13
	v_add_f32_e32 v4, v4, v10
	v_fma_f32 v17, v2, s2, -v9
	v_rndne_f32_e32 v18, v9
	v_cvt_i32_f32_e32 v11, v11
	v_fmac_f32_e32 v15, 0x32a5705f, v3
	v_sub_f32_e32 v8, v8, v16
	v_add_f32_e32 v7, v7, v12
	v_exp_f32_e32 v4, v4
	v_cvt_i32_f32_e32 v13, v13
	v_fmac_f32_e32 v17, 0x32a5705f, v2
	v_sub_f32_e32 v9, v9, v18
	v_add_f32_e32 v8, v8, v15
	v_exp_f32_e32 v7, v7
	v_cvt_i32_f32_e32 v16, v16
	v_add_f32_e32 v9, v9, v17
	v_exp_f32_e32 v8, v8
	v_cvt_i32_f32_e32 v18, v18
	v_exp_f32_e32 v9, v9
	v_ldexp_f32 v4, v4, v11
	v_cmp_ngt_f32_e32 vcc, s3, v1
	v_ldexp_f32 v7, v7, v13
	v_cndmask_b32_e32 v4, 0, v4, vcc
	v_cmp_ngt_f32_e32 vcc, s3, v0
	v_ldexp_f32 v8, v8, v16
	v_cndmask_b32_e32 v7, 0, v7, vcc
	;; [unrolled: 3-line block ×3, first 2 shown]
	v_cmp_ngt_f32_e32 vcc, s3, v2
	v_cndmask_b32_e32 v9, 0, v9, vcc
	v_cmp_nlt_f32_e32 vcc, s10, v1
	v_cndmask_b32_e32 v1, v5, v4, vcc
	v_cmp_nlt_f32_e32 vcc, s10, v0
	;; [unrolled: 2-line block ×4, first 2 shown]
	v_cndmask_b32_e32 v2, v5, v9, vcc
	v_add_f32_e32 v4, v0, v1
	v_add_f32_e32 v4, v4, v2
	;; [unrolled: 1-line block ×3, first 2 shown]
	v_div_scale_f32 v5, s[2:3], v4, v4, 1.0
	v_rcp_f32_e32 v7, v5
	v_div_scale_f32 v8, vcc, 1.0, v4, 1.0
	v_fma_f32 v9, -v5, v7, 1.0
	v_fmac_f32_e32 v7, v9, v7
	v_mul_f32_e32 v9, v8, v7
	v_fma_f32 v10, -v5, v9, v8
	v_fmac_f32_e32 v9, v10, v7
	v_fma_f32 v5, -v5, v9, v8
	v_div_fmas_f32 v5, v5, v7, v9
	v_div_fixup_f32 v4, v5, v4, 1.0
	v_pk_mul_f32 v[0:1], v[4:5], v[0:1] op_sel_hi:[0,1]
	v_cmp_class_f32_e32 vcc, v1, v6
	v_pk_mul_f32 v[2:3], v[4:5], v[2:3] op_sel_hi:[0,1]
	v_cndmask_b32_e64 v1, v1, 0, vcc
	v_cmp_class_f32_e32 vcc, v0, v6
	v_cndmask_b32_e64 v0, v0, 0, vcc
	v_cmp_class_f32_e32 vcc, v3, v6
	;; [unrolled: 2-line block ×3, first 2 shown]
	v_cndmask_b32_e64 v2, v2, 0, vcc
	s_cbranch_scc1 .LBB4_10
; %bb.4:
	s_load_dwordx4 s[0:3], s[0:1], 0x0
	s_waitcnt lgkmcnt(0)
	v_pk_add_f32 v[4:5], s[0:1], v[0:1]
	v_pk_add_f32 v[6:7], s[2:3], v[2:3]
	s_cbranch_execnz .LBB4_6
.LBB4_5:
	v_pk_mov_b32 v[6:7], v[2:3], v[2:3] op_sel:[0,1]
	v_pk_mov_b32 v[4:5], v[0:1], v[0:1] op_sel:[0,1]
.LBB4_6:
	s_load_dwordx4 s[8:11], s[4:5], 0x30
	s_waitcnt lgkmcnt(0)
	s_bitcmp1_b32 s11, 0
	s_cselect_b64 vcc, -1, 0
	s_cmp_gt_i32 s8, 0
	s_cselect_b64 s[14:15], -1, 0
	s_cmp_lt_i32 s8, 1
	s_mov_b32 s11, 0
	s_cbranch_scc1 .LBB4_11
; %bb.7:
	s_load_dwordx4 s[20:23], s[4:5], 0x20
	v_mul_lo_u32 v8, v14, s8
	v_ashrrev_i32_e32 v9, 31, v8
	v_lshlrev_b64 v[12:13], 2, v[8:9]
	v_mov_b32_e32 v9, s7
	v_add_co_u32_e64 v8, s[0:1], s6, v12
	v_addc_co_u32_e64 v9, s[0:1], v9, v13, s[0:1]
	s_waitcnt lgkmcnt(0)
	v_mov_b32_e32 v11, s21
	v_add_co_u32_e64 v10, s[0:1], s20, v12
	v_addc_co_u32_e64 v11, s[0:1], v11, v13, s[0:1]
	v_mov_b32_e32 v15, s23
	v_add_co_u32_e64 v12, s[0:1], s22, v12
	v_addc_co_u32_e64 v13, s[0:1], v15, v13, s[0:1]
	v_mov_b32_e32 v15, 0
	v_mov_b32_e32 v16, 0xc61c4000
	;; [unrolled: 1-line block ×3, first 2 shown]
.LBB4_8:                                ; =>This Inner Loop Header: Depth=1
	v_cmp_gt_f32_e64 s[0:1], v5, v4
	v_cndmask_b32_e64 v18, v4, v5, s[0:1]
	v_cndmask_b32_e64 v19, v0, v1, s[0:1]
	;; [unrolled: 1-line block ×3, first 2 shown]
	v_cmp_gt_f32_e64 s[0:1], v6, v18
	v_cndmask_b32_e64 v18, v18, v6, s[0:1]
	v_cndmask_b32_e64 v19, v19, v2, s[0:1]
	;; [unrolled: 1-line block ×3, first 2 shown]
	v_cmp_gt_f32_e64 s[0:1], v7, v18
	v_cndmask_b32_e64 v18, v19, v3, s[0:1]
	v_cndmask_b32_e64 v19, v20, 3, s[0:1]
	v_cmp_le_i32_e64 s[0:1], s9, v19
	v_cmp_gt_i32_e64 s[2:3], s10, v19
	s_and_b64 s[0:1], s[0:1], s[2:3]
	v_subrev_u32_e32 v20, s9, v19
	s_and_b64 s[0:1], s[12:13], s[0:1]
	global_store_dword v[8:9], v18, off
	v_cndmask_b32_e64 v20, 4, v20, s[0:1]
	v_add_f32_e32 v18, v15, v18
	v_cmp_ne_u32_e64 s[0:1], 0, v19
	v_cndmask_b32_e32 v15, v15, v18, vcc
	v_cndmask_b32_e64 v18, v16, v4, s[0:1]
	v_cmp_ne_u32_e64 s[0:1], 1, v19
	global_store_dword v[10:11], v20, off
	global_store_dword v[12:13], v17, off
	s_add_i32 s11, s11, 1
	v_cndmask_b32_e64 v20, v16, v5, s[0:1]
	v_cmp_ne_u32_e64 s[0:1], 2, v19
	s_cmp_lt_i32 s11, s8
	v_cndmask_b32_e64 v21, v16, v6, s[0:1]
	v_cmp_ne_u32_e64 s[0:1], 3, v19
	v_cndmask_b32_e64 v19, v16, v7, s[0:1]
	s_cselect_b64 s[0:1], -1, 0
	v_cndmask_b32_e64 v7, v7, v19, s[0:1]
	v_cndmask_b32_e64 v6, v6, v21, s[0:1]
	;; [unrolled: 1-line block ×4, first 2 shown]
	v_add_co_u32_e64 v8, s[0:1], 4, v8
	v_addc_co_u32_e64 v9, s[0:1], 0, v9, s[0:1]
	v_add_co_u32_e64 v10, s[0:1], 4, v10
	v_addc_co_u32_e64 v11, s[0:1], 0, v11, s[0:1]
	v_add_co_u32_e64 v12, s[0:1], 4, v12
	v_add_u32_e32 v17, s16, v17
	s_cmp_eq_u32 s8, s11
	v_addc_co_u32_e64 v13, s[0:1], 0, v13, s[0:1]
	s_cbranch_scc0 .LBB4_8
; %bb.9:
	s_and_b64 vcc, exec, vcc
	s_cbranch_vccnz .LBB4_12
	s_branch .LBB4_20
.LBB4_10:
                                        ; implicit-def: $vgpr4_vgpr5_vgpr6_vgpr7
	s_andn2_b64 vcc, exec, s[8:9]
	s_cbranch_vccz .LBB4_5
	s_branch .LBB4_6
.LBB4_11:
	v_mov_b32_e32 v15, 0
	s_and_b64 vcc, exec, vcc
	s_cbranch_vccz .LBB4_20
.LBB4_12:
	s_andn2_b64 vcc, exec, s[14:15]
	s_cbranch_vccnz .LBB4_20
; %bb.13:
	v_cmp_lt_f32_e32 vcc, 0, v15
	s_mov_b32 s2, 0
	v_cndmask_b32_e32 v0, 1.0, v15, vcc
	v_mul_lo_u32 v4, v14, s8
	s_cmp_eq_u32 s8, 1
	s_mov_b64 s[0:1], -1
	s_cbranch_scc1 .LBB4_17
; %bb.14:
	s_and_b32 s2, s8, 0x7ffffffe
	v_mov_b32_e32 v1, v0
	v_mov_b32_e32 v5, s7
	s_mov_b32 s3, s2
	v_mov_b32_e32 v2, v4
.LBB4_15:                               ; =>This Inner Loop Header: Depth=1
	v_ashrrev_i32_e32 v3, 31, v2
	v_lshlrev_b64 v[6:7], 2, v[2:3]
	v_add_co_u32_e32 v6, vcc, s6, v6
	v_addc_co_u32_e32 v7, vcc, v5, v7, vcc
	global_load_dwordx2 v[8:9], v[6:7], off
	s_add_i32 s3, s3, -2
	s_cmp_lg_u32 s3, 0
	v_add_u32_e32 v2, 2, v2
	s_waitcnt vmcnt(0)
	v_div_scale_f32 v3, s[0:1], v1, v1, v9
	v_div_scale_f32 v11, s[0:1], v0, v0, v8
	v_rcp_f32_e32 v12, v3
	v_rcp_f32_e32 v13, v11
	v_div_scale_f32 v10, vcc, v9, v1, v9
	v_fma_f32 v15, -v3, v12, 1.0
	v_fma_f32 v16, -v11, v13, 1.0
	v_fmac_f32_e32 v12, v15, v12
	v_div_scale_f32 v14, s[0:1], v8, v0, v8
	v_fmac_f32_e32 v13, v16, v13
	v_mul_f32_e32 v15, v10, v12
	v_mul_f32_e32 v16, v14, v13
	v_fma_f32 v17, -v3, v15, v10
	v_fma_f32 v18, -v11, v16, v14
	v_fmac_f32_e32 v15, v17, v12
	v_fmac_f32_e32 v16, v18, v13
	v_fma_f32 v3, -v3, v15, v10
	v_fma_f32 v10, -v11, v16, v14
	v_div_fmas_f32 v3, v3, v12, v15
	s_mov_b64 vcc, s[0:1]
	v_div_fixup_f32 v9, v3, v1, v9
	v_div_fmas_f32 v3, v10, v13, v16
	v_div_fixup_f32 v8, v3, v0, v8
	global_store_dwordx2 v[6:7], v[8:9], off
	s_cbranch_scc1 .LBB4_15
; %bb.16:
	s_cmp_lg_u32 s2, s8
	s_cselect_b64 s[0:1], -1, 0
.LBB4_17:
	s_and_b64 vcc, exec, s[0:1]
	s_cbranch_vccz .LBB4_20
; %bb.18:
	v_ashrrev_i32_e32 v1, 31, v4
	v_add_co_u32_e32 v2, vcc, s2, v4
	v_addc_co_u32_e32 v3, vcc, 0, v1, vcc
	v_lshlrev_b64 v[2:3], 2, v[2:3]
	v_mov_b32_e32 v1, s7
	v_add_co_u32_e32 v2, vcc, s6, v2
	s_sub_i32 s0, s8, s2
	v_addc_co_u32_e32 v3, vcc, v1, v3, vcc
.LBB4_19:                               ; =>This Inner Loop Header: Depth=1
	global_load_dword v1, v[2:3], off
	s_add_i32 s0, s0, -1
	s_cmp_lg_u32 s0, 0
	s_waitcnt vmcnt(0)
	v_div_scale_f32 v4, s[2:3], v0, v0, v1
	v_rcp_f32_e32 v5, v4
	v_div_scale_f32 v6, vcc, v1, v0, v1
	v_fma_f32 v7, -v4, v5, 1.0
	v_fmac_f32_e32 v5, v7, v5
	v_mul_f32_e32 v7, v6, v5
	v_fma_f32 v8, -v4, v7, v6
	v_fmac_f32_e32 v7, v8, v5
	v_fma_f32 v4, -v4, v7, v6
	v_div_fmas_f32 v4, v4, v5, v7
	v_div_fixup_f32 v1, v4, v0, v1
	global_store_dword v[2:3], v1, off
	v_add_co_u32_e32 v2, vcc, 4, v2
	v_addc_co_u32_e32 v3, vcc, 0, v3, vcc
	s_cbranch_scc1 .LBB4_19
.LBB4_20:
	s_endpgm
	.section	.rodata,"a",@progbits
	.p2align	6, 0x0
	.amdhsa_kernel _ZN4vllm3moe10topkGatingILi4ELi4ELi4ELi16ELi64EifLNS0_11ScoringFuncE0EEEvPKT5_PKbPfiPT4_PiiiibPKf
		.amdhsa_group_segment_fixed_size 0
		.amdhsa_private_segment_fixed_size 0
		.amdhsa_kernarg_size 72
		.amdhsa_user_sgpr_count 6
		.amdhsa_user_sgpr_private_segment_buffer 1
		.amdhsa_user_sgpr_dispatch_ptr 0
		.amdhsa_user_sgpr_queue_ptr 0
		.amdhsa_user_sgpr_kernarg_segment_ptr 1
		.amdhsa_user_sgpr_dispatch_id 0
		.amdhsa_user_sgpr_flat_scratch_init 0
		.amdhsa_user_sgpr_kernarg_preload_length 0
		.amdhsa_user_sgpr_kernarg_preload_offset 0
		.amdhsa_user_sgpr_private_segment_size 0
		.amdhsa_uses_dynamic_stack 0
		.amdhsa_system_sgpr_private_segment_wavefront_offset 0
		.amdhsa_system_sgpr_workgroup_id_x 1
		.amdhsa_system_sgpr_workgroup_id_y 0
		.amdhsa_system_sgpr_workgroup_id_z 0
		.amdhsa_system_sgpr_workgroup_info 0
		.amdhsa_system_vgpr_workitem_id 1
		.amdhsa_next_free_vgpr 22
		.amdhsa_next_free_sgpr 24
		.amdhsa_accum_offset 24
		.amdhsa_reserve_vcc 1
		.amdhsa_reserve_flat_scratch 0
		.amdhsa_float_round_mode_32 0
		.amdhsa_float_round_mode_16_64 0
		.amdhsa_float_denorm_mode_32 3
		.amdhsa_float_denorm_mode_16_64 3
		.amdhsa_dx10_clamp 1
		.amdhsa_ieee_mode 1
		.amdhsa_fp16_overflow 0
		.amdhsa_tg_split 0
		.amdhsa_exception_fp_ieee_invalid_op 0
		.amdhsa_exception_fp_denorm_src 0
		.amdhsa_exception_fp_ieee_div_zero 0
		.amdhsa_exception_fp_ieee_overflow 0
		.amdhsa_exception_fp_ieee_underflow 0
		.amdhsa_exception_fp_ieee_inexact 0
		.amdhsa_exception_int_div_zero 0
	.end_amdhsa_kernel
	.section	.text._ZN4vllm3moe10topkGatingILi4ELi4ELi4ELi16ELi64EifLNS0_11ScoringFuncE0EEEvPKT5_PKbPfiPT4_PiiiibPKf,"axG",@progbits,_ZN4vllm3moe10topkGatingILi4ELi4ELi4ELi16ELi64EifLNS0_11ScoringFuncE0EEEvPKT5_PKbPfiPT4_PiiiibPKf,comdat
.Lfunc_end4:
	.size	_ZN4vllm3moe10topkGatingILi4ELi4ELi4ELi16ELi64EifLNS0_11ScoringFuncE0EEEvPKT5_PKbPfiPT4_PiiiibPKf, .Lfunc_end4-_ZN4vllm3moe10topkGatingILi4ELi4ELi4ELi16ELi64EifLNS0_11ScoringFuncE0EEEvPKT5_PKbPfiPT4_PiiiibPKf
                                        ; -- End function
	.section	.AMDGPU.csdata,"",@progbits
; Kernel info:
; codeLenInByte = 1684
; NumSgprs: 28
; NumVgprs: 22
; NumAgprs: 0
; TotalNumVgprs: 22
; ScratchSize: 0
; MemoryBound: 1
; FloatMode: 240
; IeeeMode: 1
; LDSByteSize: 0 bytes/workgroup (compile time only)
; SGPRBlocks: 3
; VGPRBlocks: 2
; NumSGPRsForWavesPerEU: 28
; NumVGPRsForWavesPerEU: 22
; AccumOffset: 24
; Occupancy: 8
; WaveLimiterHint : 0
; COMPUTE_PGM_RSRC2:SCRATCH_EN: 0
; COMPUTE_PGM_RSRC2:USER_SGPR: 6
; COMPUTE_PGM_RSRC2:TRAP_HANDLER: 0
; COMPUTE_PGM_RSRC2:TGID_X_EN: 1
; COMPUTE_PGM_RSRC2:TGID_Y_EN: 0
; COMPUTE_PGM_RSRC2:TGID_Z_EN: 0
; COMPUTE_PGM_RSRC2:TIDIG_COMP_CNT: 1
; COMPUTE_PGM_RSRC3_GFX90A:ACCUM_OFFSET: 5
; COMPUTE_PGM_RSRC3_GFX90A:TG_SPLIT: 0
	.section	.text._ZN4vllm3moe10topkGatingILi4ELi4ELi4ELi16ELi32EifLNS0_11ScoringFuncE0EEEvPKT5_PKbPfiPT4_PiiiibPKf,"axG",@progbits,_ZN4vllm3moe10topkGatingILi4ELi4ELi4ELi16ELi32EifLNS0_11ScoringFuncE0EEEvPKT5_PKbPfiPT4_PiiiibPKf,comdat
	.protected	_ZN4vllm3moe10topkGatingILi4ELi4ELi4ELi16ELi32EifLNS0_11ScoringFuncE0EEEvPKT5_PKbPfiPT4_PiiiibPKf ; -- Begin function _ZN4vllm3moe10topkGatingILi4ELi4ELi4ELi16ELi32EifLNS0_11ScoringFuncE0EEEvPKT5_PKbPfiPT4_PiiiibPKf
	.globl	_ZN4vllm3moe10topkGatingILi4ELi4ELi4ELi16ELi32EifLNS0_11ScoringFuncE0EEEvPKT5_PKbPfiPT4_PiiiibPKf
	.p2align	8
	.type	_ZN4vllm3moe10topkGatingILi4ELi4ELi4ELi16ELi32EifLNS0_11ScoringFuncE0EEEvPKT5_PKbPfiPT4_PiiiibPKf,@function
_ZN4vllm3moe10topkGatingILi4ELi4ELi4ELi16ELi32EifLNS0_11ScoringFuncE0EEEvPKT5_PKbPfiPT4_PiiiibPKf: ; @_ZN4vllm3moe10topkGatingILi4ELi4ELi4ELi16ELi32EifLNS0_11ScoringFuncE0EEEvPKT5_PKbPfiPT4_PiiiibPKf
; %bb.0:
	s_load_dword s16, s[4:5], 0x18
	v_bfe_u32 v1, v0, 10, 10
	s_lshl_b32 s0, s6, 7
	v_lshlrev_b32_e32 v1, 5, v1
	v_and_b32_e32 v0, 0x3ff, v0
	v_add3_u32 v14, v1, v0, s0
	s_waitcnt lgkmcnt(0)
	v_cmp_gt_i32_e32 vcc, s16, v14
	s_and_saveexec_b64 s[0:1], vcc
	s_cbranch_execz .LBB5_20
; %bb.1:
	s_load_dwordx4 s[0:3], s[4:5], 0x0
	s_load_dwordx2 s[6:7], s[4:5], 0x10
	s_mov_b64 s[8:9], -1
	s_mov_b64 s[12:13], -1
	s_waitcnt lgkmcnt(0)
	s_cmp_eq_u64 s[2:3], 0
	s_cbranch_scc1 .LBB5_3
; %bb.2:
	v_ashrrev_i32_e32 v1, 31, v14
	v_mov_b32_e32 v2, s3
	v_add_co_u32_e32 v0, vcc, s2, v14
	v_addc_co_u32_e32 v1, vcc, v2, v1, vcc
	global_load_ubyte v0, v[0:1], off
	s_waitcnt vmcnt(0)
	v_and_b32_e32 v0, 1, v0
	v_cmp_eq_u32_e32 vcc, 1, v0
	s_xor_b64 s[2:3], vcc, -1
	s_orn2_b64 s[12:13], s[2:3], exec
.LBB5_3:
	v_lshlrev_b32_e32 v0, 2, v14
	v_ashrrev_i32_e32 v1, 31, v0
	v_lshlrev_b64 v[0:1], 2, v[0:1]
	v_mov_b32_e32 v2, s1
	v_add_co_u32_e32 v0, vcc, s0, v0
	v_addc_co_u32_e32 v1, vcc, v2, v1, vcc
	global_load_dwordx4 v[0:3], v[0:1], off
	v_mov_b32_e32 v5, 0x7f800000
	s_mov_b32 s2, 0x3fb8aa3b
	s_mov_b32 s3, 0xc2ce8ed0
	s_mov_b32 s10, 0x42b17218
	s_load_dwordx2 s[0:1], s[4:5], 0x40
	v_mov_b32_e32 v6, 0x207
	s_waitcnt lgkmcnt(0)
	s_cmp_eq_u64 s[0:1], 0
	s_waitcnt vmcnt(0)
	v_max_f32_e32 v4, v1, v1
	v_max_f32_e32 v7, v0, v0
	;; [unrolled: 1-line block ×3, first 2 shown]
	v_max3_f32 v4, v4, v2, v3
	v_pk_add_f32 v[0:1], v[0:1], v[4:5] op_sel_hi:[1,0] neg_lo:[0,1] neg_hi:[0,1]
	v_pk_add_f32 v[2:3], v[2:3], v[4:5] op_sel_hi:[1,0] neg_lo:[0,1] neg_hi:[0,1]
	v_mul_f32_e32 v4, 0x3fb8aa3b, v1
	v_mul_f32_e32 v7, 0x3fb8aa3b, v0
	v_fma_f32 v10, v1, s2, -v4
	v_rndne_f32_e32 v11, v4
	v_mul_f32_e32 v8, 0x3fb8aa3b, v3
	v_fma_f32 v12, v0, s2, -v7
	v_rndne_f32_e32 v13, v7
	v_fmac_f32_e32 v10, 0x32a5705f, v1
	v_sub_f32_e32 v4, v4, v11
	v_mul_f32_e32 v9, 0x3fb8aa3b, v2
	v_fma_f32 v15, v3, s2, -v8
	v_rndne_f32_e32 v16, v8
	v_fmac_f32_e32 v12, 0x32a5705f, v0
	v_sub_f32_e32 v7, v7, v13
	v_add_f32_e32 v4, v4, v10
	v_fma_f32 v17, v2, s2, -v9
	v_rndne_f32_e32 v18, v9
	v_cvt_i32_f32_e32 v11, v11
	v_fmac_f32_e32 v15, 0x32a5705f, v3
	v_sub_f32_e32 v8, v8, v16
	v_add_f32_e32 v7, v7, v12
	v_exp_f32_e32 v4, v4
	v_cvt_i32_f32_e32 v13, v13
	v_fmac_f32_e32 v17, 0x32a5705f, v2
	v_sub_f32_e32 v9, v9, v18
	v_add_f32_e32 v8, v8, v15
	v_exp_f32_e32 v7, v7
	v_cvt_i32_f32_e32 v16, v16
	v_add_f32_e32 v9, v9, v17
	v_exp_f32_e32 v8, v8
	v_cvt_i32_f32_e32 v18, v18
	v_exp_f32_e32 v9, v9
	v_ldexp_f32 v4, v4, v11
	v_cmp_ngt_f32_e32 vcc, s3, v1
	v_ldexp_f32 v7, v7, v13
	v_cndmask_b32_e32 v4, 0, v4, vcc
	v_cmp_ngt_f32_e32 vcc, s3, v0
	v_ldexp_f32 v8, v8, v16
	v_cndmask_b32_e32 v7, 0, v7, vcc
	;; [unrolled: 3-line block ×3, first 2 shown]
	v_cmp_ngt_f32_e32 vcc, s3, v2
	v_cndmask_b32_e32 v9, 0, v9, vcc
	v_cmp_nlt_f32_e32 vcc, s10, v1
	v_cndmask_b32_e32 v1, v5, v4, vcc
	v_cmp_nlt_f32_e32 vcc, s10, v0
	;; [unrolled: 2-line block ×4, first 2 shown]
	v_cndmask_b32_e32 v2, v5, v9, vcc
	v_add_f32_e32 v4, v0, v1
	v_add_f32_e32 v4, v4, v2
	;; [unrolled: 1-line block ×3, first 2 shown]
	v_div_scale_f32 v5, s[2:3], v4, v4, 1.0
	v_rcp_f32_e32 v7, v5
	v_div_scale_f32 v8, vcc, 1.0, v4, 1.0
	v_fma_f32 v9, -v5, v7, 1.0
	v_fmac_f32_e32 v7, v9, v7
	v_mul_f32_e32 v9, v8, v7
	v_fma_f32 v10, -v5, v9, v8
	v_fmac_f32_e32 v9, v10, v7
	v_fma_f32 v5, -v5, v9, v8
	v_div_fmas_f32 v5, v5, v7, v9
	v_div_fixup_f32 v4, v5, v4, 1.0
	v_pk_mul_f32 v[0:1], v[4:5], v[0:1] op_sel_hi:[0,1]
	v_cmp_class_f32_e32 vcc, v1, v6
	v_pk_mul_f32 v[2:3], v[4:5], v[2:3] op_sel_hi:[0,1]
	v_cndmask_b32_e64 v1, v1, 0, vcc
	v_cmp_class_f32_e32 vcc, v0, v6
	v_cndmask_b32_e64 v0, v0, 0, vcc
	v_cmp_class_f32_e32 vcc, v3, v6
	;; [unrolled: 2-line block ×3, first 2 shown]
	v_cndmask_b32_e64 v2, v2, 0, vcc
	s_cbranch_scc1 .LBB5_10
; %bb.4:
	s_load_dwordx4 s[0:3], s[0:1], 0x0
	s_waitcnt lgkmcnt(0)
	v_pk_add_f32 v[4:5], s[0:1], v[0:1]
	v_pk_add_f32 v[6:7], s[2:3], v[2:3]
	s_cbranch_execnz .LBB5_6
.LBB5_5:
	v_pk_mov_b32 v[6:7], v[2:3], v[2:3] op_sel:[0,1]
	v_pk_mov_b32 v[4:5], v[0:1], v[0:1] op_sel:[0,1]
.LBB5_6:
	s_load_dwordx4 s[8:11], s[4:5], 0x30
	s_waitcnt lgkmcnt(0)
	s_bitcmp1_b32 s11, 0
	s_cselect_b64 vcc, -1, 0
	s_cmp_gt_i32 s8, 0
	s_cselect_b64 s[14:15], -1, 0
	s_cmp_lt_i32 s8, 1
	s_mov_b32 s11, 0
	s_cbranch_scc1 .LBB5_11
; %bb.7:
	s_load_dwordx4 s[20:23], s[4:5], 0x20
	v_mul_lo_u32 v8, v14, s8
	v_ashrrev_i32_e32 v9, 31, v8
	v_lshlrev_b64 v[12:13], 2, v[8:9]
	v_mov_b32_e32 v9, s7
	v_add_co_u32_e64 v8, s[0:1], s6, v12
	v_addc_co_u32_e64 v9, s[0:1], v9, v13, s[0:1]
	s_waitcnt lgkmcnt(0)
	v_mov_b32_e32 v11, s21
	v_add_co_u32_e64 v10, s[0:1], s20, v12
	v_addc_co_u32_e64 v11, s[0:1], v11, v13, s[0:1]
	v_mov_b32_e32 v15, s23
	v_add_co_u32_e64 v12, s[0:1], s22, v12
	v_addc_co_u32_e64 v13, s[0:1], v15, v13, s[0:1]
	v_mov_b32_e32 v15, 0
	v_mov_b32_e32 v16, 0xc61c4000
	;; [unrolled: 1-line block ×3, first 2 shown]
.LBB5_8:                                ; =>This Inner Loop Header: Depth=1
	v_cmp_gt_f32_e64 s[0:1], v5, v4
	v_cndmask_b32_e64 v18, v4, v5, s[0:1]
	v_cndmask_b32_e64 v19, v0, v1, s[0:1]
	;; [unrolled: 1-line block ×3, first 2 shown]
	v_cmp_gt_f32_e64 s[0:1], v6, v18
	v_cndmask_b32_e64 v18, v18, v6, s[0:1]
	v_cndmask_b32_e64 v19, v19, v2, s[0:1]
	;; [unrolled: 1-line block ×3, first 2 shown]
	v_cmp_gt_f32_e64 s[0:1], v7, v18
	v_cndmask_b32_e64 v18, v19, v3, s[0:1]
	v_cndmask_b32_e64 v19, v20, 3, s[0:1]
	v_cmp_le_i32_e64 s[0:1], s9, v19
	v_cmp_gt_i32_e64 s[2:3], s10, v19
	s_and_b64 s[0:1], s[0:1], s[2:3]
	v_subrev_u32_e32 v20, s9, v19
	s_and_b64 s[0:1], s[12:13], s[0:1]
	global_store_dword v[8:9], v18, off
	v_cndmask_b32_e64 v20, 4, v20, s[0:1]
	v_add_f32_e32 v18, v15, v18
	v_cmp_ne_u32_e64 s[0:1], 0, v19
	v_cndmask_b32_e32 v15, v15, v18, vcc
	v_cndmask_b32_e64 v18, v16, v4, s[0:1]
	v_cmp_ne_u32_e64 s[0:1], 1, v19
	global_store_dword v[10:11], v20, off
	global_store_dword v[12:13], v17, off
	s_add_i32 s11, s11, 1
	v_cndmask_b32_e64 v20, v16, v5, s[0:1]
	v_cmp_ne_u32_e64 s[0:1], 2, v19
	s_cmp_lt_i32 s11, s8
	v_cndmask_b32_e64 v21, v16, v6, s[0:1]
	v_cmp_ne_u32_e64 s[0:1], 3, v19
	v_cndmask_b32_e64 v19, v16, v7, s[0:1]
	s_cselect_b64 s[0:1], -1, 0
	v_cndmask_b32_e64 v7, v7, v19, s[0:1]
	v_cndmask_b32_e64 v6, v6, v21, s[0:1]
	;; [unrolled: 1-line block ×4, first 2 shown]
	v_add_co_u32_e64 v8, s[0:1], 4, v8
	v_addc_co_u32_e64 v9, s[0:1], 0, v9, s[0:1]
	v_add_co_u32_e64 v10, s[0:1], 4, v10
	v_addc_co_u32_e64 v11, s[0:1], 0, v11, s[0:1]
	v_add_co_u32_e64 v12, s[0:1], 4, v12
	v_add_u32_e32 v17, s16, v17
	s_cmp_eq_u32 s8, s11
	v_addc_co_u32_e64 v13, s[0:1], 0, v13, s[0:1]
	s_cbranch_scc0 .LBB5_8
; %bb.9:
	s_and_b64 vcc, exec, vcc
	s_cbranch_vccnz .LBB5_12
	s_branch .LBB5_20
.LBB5_10:
                                        ; implicit-def: $vgpr4_vgpr5_vgpr6_vgpr7
	s_andn2_b64 vcc, exec, s[8:9]
	s_cbranch_vccz .LBB5_5
	s_branch .LBB5_6
.LBB5_11:
	v_mov_b32_e32 v15, 0
	s_and_b64 vcc, exec, vcc
	s_cbranch_vccz .LBB5_20
.LBB5_12:
	s_andn2_b64 vcc, exec, s[14:15]
	s_cbranch_vccnz .LBB5_20
; %bb.13:
	v_cmp_lt_f32_e32 vcc, 0, v15
	s_mov_b32 s2, 0
	v_cndmask_b32_e32 v0, 1.0, v15, vcc
	v_mul_lo_u32 v4, v14, s8
	s_cmp_eq_u32 s8, 1
	s_mov_b64 s[0:1], -1
	s_cbranch_scc1 .LBB5_17
; %bb.14:
	s_and_b32 s2, s8, 0x7ffffffe
	v_mov_b32_e32 v1, v0
	v_mov_b32_e32 v5, s7
	s_mov_b32 s3, s2
	v_mov_b32_e32 v2, v4
.LBB5_15:                               ; =>This Inner Loop Header: Depth=1
	v_ashrrev_i32_e32 v3, 31, v2
	v_lshlrev_b64 v[6:7], 2, v[2:3]
	v_add_co_u32_e32 v6, vcc, s6, v6
	v_addc_co_u32_e32 v7, vcc, v5, v7, vcc
	global_load_dwordx2 v[8:9], v[6:7], off
	s_add_i32 s3, s3, -2
	s_cmp_lg_u32 s3, 0
	v_add_u32_e32 v2, 2, v2
	s_waitcnt vmcnt(0)
	v_div_scale_f32 v3, s[0:1], v1, v1, v9
	v_div_scale_f32 v11, s[0:1], v0, v0, v8
	v_rcp_f32_e32 v12, v3
	v_rcp_f32_e32 v13, v11
	v_div_scale_f32 v10, vcc, v9, v1, v9
	v_fma_f32 v15, -v3, v12, 1.0
	v_fma_f32 v16, -v11, v13, 1.0
	v_fmac_f32_e32 v12, v15, v12
	v_div_scale_f32 v14, s[0:1], v8, v0, v8
	v_fmac_f32_e32 v13, v16, v13
	v_mul_f32_e32 v15, v10, v12
	v_mul_f32_e32 v16, v14, v13
	v_fma_f32 v17, -v3, v15, v10
	v_fma_f32 v18, -v11, v16, v14
	v_fmac_f32_e32 v15, v17, v12
	v_fmac_f32_e32 v16, v18, v13
	v_fma_f32 v3, -v3, v15, v10
	v_fma_f32 v10, -v11, v16, v14
	v_div_fmas_f32 v3, v3, v12, v15
	s_mov_b64 vcc, s[0:1]
	v_div_fixup_f32 v9, v3, v1, v9
	v_div_fmas_f32 v3, v10, v13, v16
	v_div_fixup_f32 v8, v3, v0, v8
	global_store_dwordx2 v[6:7], v[8:9], off
	s_cbranch_scc1 .LBB5_15
; %bb.16:
	s_cmp_lg_u32 s2, s8
	s_cselect_b64 s[0:1], -1, 0
.LBB5_17:
	s_and_b64 vcc, exec, s[0:1]
	s_cbranch_vccz .LBB5_20
; %bb.18:
	v_ashrrev_i32_e32 v1, 31, v4
	v_add_co_u32_e32 v2, vcc, s2, v4
	v_addc_co_u32_e32 v3, vcc, 0, v1, vcc
	v_lshlrev_b64 v[2:3], 2, v[2:3]
	v_mov_b32_e32 v1, s7
	v_add_co_u32_e32 v2, vcc, s6, v2
	s_sub_i32 s0, s8, s2
	v_addc_co_u32_e32 v3, vcc, v1, v3, vcc
.LBB5_19:                               ; =>This Inner Loop Header: Depth=1
	global_load_dword v1, v[2:3], off
	s_add_i32 s0, s0, -1
	s_cmp_lg_u32 s0, 0
	s_waitcnt vmcnt(0)
	v_div_scale_f32 v4, s[2:3], v0, v0, v1
	v_rcp_f32_e32 v5, v4
	v_div_scale_f32 v6, vcc, v1, v0, v1
	v_fma_f32 v7, -v4, v5, 1.0
	v_fmac_f32_e32 v5, v7, v5
	v_mul_f32_e32 v7, v6, v5
	v_fma_f32 v8, -v4, v7, v6
	v_fmac_f32_e32 v7, v8, v5
	v_fma_f32 v4, -v4, v7, v6
	v_div_fmas_f32 v4, v4, v5, v7
	v_div_fixup_f32 v1, v4, v0, v1
	global_store_dword v[2:3], v1, off
	v_add_co_u32_e32 v2, vcc, 4, v2
	v_addc_co_u32_e32 v3, vcc, 0, v3, vcc
	s_cbranch_scc1 .LBB5_19
.LBB5_20:
	s_endpgm
	.section	.rodata,"a",@progbits
	.p2align	6, 0x0
	.amdhsa_kernel _ZN4vllm3moe10topkGatingILi4ELi4ELi4ELi16ELi32EifLNS0_11ScoringFuncE0EEEvPKT5_PKbPfiPT4_PiiiibPKf
		.amdhsa_group_segment_fixed_size 0
		.amdhsa_private_segment_fixed_size 0
		.amdhsa_kernarg_size 72
		.amdhsa_user_sgpr_count 6
		.amdhsa_user_sgpr_private_segment_buffer 1
		.amdhsa_user_sgpr_dispatch_ptr 0
		.amdhsa_user_sgpr_queue_ptr 0
		.amdhsa_user_sgpr_kernarg_segment_ptr 1
		.amdhsa_user_sgpr_dispatch_id 0
		.amdhsa_user_sgpr_flat_scratch_init 0
		.amdhsa_user_sgpr_kernarg_preload_length 0
		.amdhsa_user_sgpr_kernarg_preload_offset 0
		.amdhsa_user_sgpr_private_segment_size 0
		.amdhsa_uses_dynamic_stack 0
		.amdhsa_system_sgpr_private_segment_wavefront_offset 0
		.amdhsa_system_sgpr_workgroup_id_x 1
		.amdhsa_system_sgpr_workgroup_id_y 0
		.amdhsa_system_sgpr_workgroup_id_z 0
		.amdhsa_system_sgpr_workgroup_info 0
		.amdhsa_system_vgpr_workitem_id 1
		.amdhsa_next_free_vgpr 22
		.amdhsa_next_free_sgpr 24
		.amdhsa_accum_offset 24
		.amdhsa_reserve_vcc 1
		.amdhsa_reserve_flat_scratch 0
		.amdhsa_float_round_mode_32 0
		.amdhsa_float_round_mode_16_64 0
		.amdhsa_float_denorm_mode_32 3
		.amdhsa_float_denorm_mode_16_64 3
		.amdhsa_dx10_clamp 1
		.amdhsa_ieee_mode 1
		.amdhsa_fp16_overflow 0
		.amdhsa_tg_split 0
		.amdhsa_exception_fp_ieee_invalid_op 0
		.amdhsa_exception_fp_denorm_src 0
		.amdhsa_exception_fp_ieee_div_zero 0
		.amdhsa_exception_fp_ieee_overflow 0
		.amdhsa_exception_fp_ieee_underflow 0
		.amdhsa_exception_fp_ieee_inexact 0
		.amdhsa_exception_int_div_zero 0
	.end_amdhsa_kernel
	.section	.text._ZN4vllm3moe10topkGatingILi4ELi4ELi4ELi16ELi32EifLNS0_11ScoringFuncE0EEEvPKT5_PKbPfiPT4_PiiiibPKf,"axG",@progbits,_ZN4vllm3moe10topkGatingILi4ELi4ELi4ELi16ELi32EifLNS0_11ScoringFuncE0EEEvPKT5_PKbPfiPT4_PiiiibPKf,comdat
.Lfunc_end5:
	.size	_ZN4vllm3moe10topkGatingILi4ELi4ELi4ELi16ELi32EifLNS0_11ScoringFuncE0EEEvPKT5_PKbPfiPT4_PiiiibPKf, .Lfunc_end5-_ZN4vllm3moe10topkGatingILi4ELi4ELi4ELi16ELi32EifLNS0_11ScoringFuncE0EEEvPKT5_PKbPfiPT4_PiiiibPKf
                                        ; -- End function
	.section	.AMDGPU.csdata,"",@progbits
; Kernel info:
; codeLenInByte = 1684
; NumSgprs: 28
; NumVgprs: 22
; NumAgprs: 0
; TotalNumVgprs: 22
; ScratchSize: 0
; MemoryBound: 1
; FloatMode: 240
; IeeeMode: 1
; LDSByteSize: 0 bytes/workgroup (compile time only)
; SGPRBlocks: 3
; VGPRBlocks: 2
; NumSGPRsForWavesPerEU: 28
; NumVGPRsForWavesPerEU: 22
; AccumOffset: 24
; Occupancy: 8
; WaveLimiterHint : 0
; COMPUTE_PGM_RSRC2:SCRATCH_EN: 0
; COMPUTE_PGM_RSRC2:USER_SGPR: 6
; COMPUTE_PGM_RSRC2:TRAP_HANDLER: 0
; COMPUTE_PGM_RSRC2:TGID_X_EN: 1
; COMPUTE_PGM_RSRC2:TGID_Y_EN: 0
; COMPUTE_PGM_RSRC2:TGID_Z_EN: 0
; COMPUTE_PGM_RSRC2:TIDIG_COMP_CNT: 1
; COMPUTE_PGM_RSRC3_GFX90A:ACCUM_OFFSET: 5
; COMPUTE_PGM_RSRC3_GFX90A:TG_SPLIT: 0
	.section	.text._ZN4vllm3moe10topkGatingILi4ELi8ELi4ELi16ELi64EifLNS0_11ScoringFuncE0EEEvPKT5_PKbPfiPT4_PiiiibPKf,"axG",@progbits,_ZN4vllm3moe10topkGatingILi4ELi8ELi4ELi16ELi64EifLNS0_11ScoringFuncE0EEEvPKT5_PKbPfiPT4_PiiiibPKf,comdat
	.protected	_ZN4vllm3moe10topkGatingILi4ELi8ELi4ELi16ELi64EifLNS0_11ScoringFuncE0EEEvPKT5_PKbPfiPT4_PiiiibPKf ; -- Begin function _ZN4vllm3moe10topkGatingILi4ELi8ELi4ELi16ELi64EifLNS0_11ScoringFuncE0EEEvPKT5_PKbPfiPT4_PiiiibPKf
	.globl	_ZN4vllm3moe10topkGatingILi4ELi8ELi4ELi16ELi64EifLNS0_11ScoringFuncE0EEEvPKT5_PKbPfiPT4_PiiiibPKf
	.p2align	8
	.type	_ZN4vllm3moe10topkGatingILi4ELi8ELi4ELi16ELi64EifLNS0_11ScoringFuncE0EEEvPKT5_PKbPfiPT4_PiiiibPKf,@function
_ZN4vllm3moe10topkGatingILi4ELi8ELi4ELi16ELi64EifLNS0_11ScoringFuncE0EEEvPKT5_PKbPfiPT4_PiiiibPKf: ; @_ZN4vllm3moe10topkGatingILi4ELi8ELi4ELi16ELi64EifLNS0_11ScoringFuncE0EEEvPKT5_PKbPfiPT4_PiiiibPKf
; %bb.0:
	s_load_dword s24, s[4:5], 0x18
	v_bfe_u32 v1, v0, 10, 10
	v_and_b32_e32 v0, 0x3ff, v0
	s_lshl_b32 s0, s6, 7
	v_lshlrev_b32_e32 v1, 5, v1
	v_lshrrev_b32_e32 v2, 1, v0
	v_add3_u32 v8, s0, v1, v2
	s_waitcnt lgkmcnt(0)
	v_cmp_gt_i32_e32 vcc, s24, v8
	s_and_saveexec_b64 s[0:1], vcc
	s_cbranch_execz .LBB6_30
; %bb.1:
	s_load_dwordx4 s[0:3], s[4:5], 0x0
	s_load_dwordx2 s[6:7], s[4:5], 0x10
	s_mov_b64 s[8:9], -1
	s_mov_b64 s[16:17], -1
	s_waitcnt lgkmcnt(0)
	s_cmp_eq_u64 s[2:3], 0
	s_cbranch_scc1 .LBB6_3
; %bb.2:
	v_ashrrev_i32_e32 v1, 31, v8
	v_mov_b32_e32 v3, s3
	v_add_co_u32_e32 v2, vcc, s2, v8
	v_addc_co_u32_e32 v3, vcc, v3, v1, vcc
	global_load_ubyte v1, v[2:3], off
	s_waitcnt vmcnt(0)
	v_and_b32_e32 v1, 1, v1
	v_cmp_eq_u32_e32 vcc, 1, v1
	s_xor_b64 s[2:3], vcc, -1
	s_orn2_b64 s[16:17], s[2:3], exec
.LBB6_3:
	v_lshlrev_b32_e32 v2, 3, v8
	v_ashrrev_i32_e32 v3, 31, v2
	v_lshlrev_b64 v[2:3], 2, v[2:3]
	v_mov_b32_e32 v1, s1
	v_add_co_u32_e32 v2, vcc, s0, v2
	v_and_b32_e32 v9, 1, v0
	v_addc_co_u32_e32 v1, vcc, v1, v3, vcc
	v_lshlrev_b32_e32 v0, 4, v9
	v_add_co_u32_e32 v0, vcc, v2, v0
	v_addc_co_u32_e32 v1, vcc, 0, v1, vcc
	global_load_dwordx4 v[0:3], v[0:1], off
	v_mbcnt_lo_u32_b32 v4, -1, 0
	v_mbcnt_hi_u32_b32 v4, -1, v4
	v_and_b32_e32 v6, 0x7e, v4
	v_xor_b32_e32 v5, 1, v4
	v_add_u32_e32 v6, 2, v6
	v_cmp_lt_i32_e32 vcc, v5, v6
	v_cndmask_b32_e32 v4, v4, v5, vcc
	v_lshlrev_b32_e32 v10, 2, v4
	s_mov_b32 s0, 0x3fb8aa3b
	s_mov_b32 s1, 0xc2ce8ed0
	;; [unrolled: 1-line block ×3, first 2 shown]
	v_mov_b32_e32 v6, 0x7f800000
	s_movk_i32 s10, 0x1f8
	s_waitcnt vmcnt(0)
	v_max_f32_e32 v4, v1, v1
	v_max_f32_e32 v5, v0, v0
	;; [unrolled: 1-line block ×3, first 2 shown]
	v_max3_f32 v4, v4, v2, v3
	ds_bpermute_b32 v5, v10, v4
	s_waitcnt lgkmcnt(0)
	v_max_f32_e32 v5, v5, v5
	v_max_f32_e32 v4, v4, v5
	v_pk_add_f32 v[0:1], v[0:1], v[4:5] op_sel_hi:[1,0] neg_lo:[0,1] neg_hi:[0,1]
	v_sub_f32_e32 v2, v2, v4
	v_sub_f32_e32 v3, v3, v4
	v_mul_f32_e32 v4, 0x3fb8aa3b, v1
	v_mul_f32_e32 v5, 0x3fb8aa3b, v0
	v_fma_f32 v12, v1, s0, -v4
	v_rndne_f32_e32 v13, v4
	v_mul_f32_e32 v7, 0x3fb8aa3b, v2
	v_fma_f32 v14, v0, s0, -v5
	v_rndne_f32_e32 v15, v5
	v_fmac_f32_e32 v12, 0x32a5705f, v1
	v_sub_f32_e32 v4, v4, v13
	v_mul_f32_e32 v11, 0x3fb8aa3b, v3
	v_fma_f32 v16, v2, s0, -v7
	v_rndne_f32_e32 v17, v7
	v_fmac_f32_e32 v14, 0x32a5705f, v0
	v_sub_f32_e32 v5, v5, v15
	v_add_f32_e32 v4, v4, v12
	v_fma_f32 v18, v3, s0, -v11
	v_rndne_f32_e32 v19, v11
	v_cvt_i32_f32_e32 v13, v13
	v_fmac_f32_e32 v16, 0x32a5705f, v2
	v_sub_f32_e32 v7, v7, v17
	v_add_f32_e32 v5, v5, v14
	v_exp_f32_e32 v4, v4
	v_cvt_i32_f32_e32 v15, v15
	v_fmac_f32_e32 v18, 0x32a5705f, v3
	v_sub_f32_e32 v11, v11, v19
	v_add_f32_e32 v7, v7, v16
	v_exp_f32_e32 v5, v5
	v_cvt_i32_f32_e32 v17, v17
	v_add_f32_e32 v11, v11, v18
	v_exp_f32_e32 v7, v7
	v_cvt_i32_f32_e32 v19, v19
	v_exp_f32_e32 v11, v11
	v_ldexp_f32 v4, v4, v13
	v_cmp_ngt_f32_e32 vcc, s1, v1
	v_ldexp_f32 v5, v5, v15
	v_cndmask_b32_e32 v4, 0, v4, vcc
	v_cmp_ngt_f32_e32 vcc, s1, v0
	v_ldexp_f32 v7, v7, v17
	v_cndmask_b32_e32 v5, 0, v5, vcc
	;; [unrolled: 3-line block ×3, first 2 shown]
	v_cmp_ngt_f32_e32 vcc, s1, v3
	v_cndmask_b32_e32 v11, 0, v11, vcc
	v_cmp_nlt_f32_e32 vcc, s2, v1
	v_cndmask_b32_e32 v1, v6, v4, vcc
	v_cmp_nlt_f32_e32 vcc, s2, v0
	;; [unrolled: 2-line block ×4, first 2 shown]
	v_add_f32_e32 v4, v0, v1
	v_cndmask_b32_e32 v3, v6, v11, vcc
	v_add_f32_e32 v4, v4, v2
	v_add_f32_e32 v4, v4, v3
	ds_bpermute_b32 v5, v10, v4
	s_load_dwordx2 s[0:1], s[4:5], 0x40
	v_lshlrev_b32_e32 v11, 2, v9
	s_waitcnt lgkmcnt(0)
	v_add_f32_e32 v4, v4, v5
	v_div_scale_f32 v5, s[2:3], v4, v4, 1.0
	v_rcp_f32_e32 v6, v5
	v_div_scale_f32 v7, vcc, 1.0, v4, 1.0
	s_cmp_eq_u64 s[0:1], 0
	v_fma_f32 v12, -v5, v6, 1.0
	v_fmac_f32_e32 v6, v12, v6
	v_mul_f32_e32 v12, v7, v6
	v_fma_f32 v13, -v5, v12, v7
	v_fmac_f32_e32 v12, v13, v6
	v_fma_f32 v5, -v5, v12, v7
	v_div_fmas_f32 v5, v5, v6, v12
	v_div_fixup_f32 v4, v5, v4, 1.0
	v_mul_f32_e32 v0, v4, v0
	v_mul_f32_e32 v1, v4, v1
	v_cmp_class_f32_e64 vcc, v0, s10
	v_mul_f32_e32 v2, v4, v2
	v_cndmask_b32_e32 v0, 0, v0, vcc
	v_cmp_class_f32_e64 vcc, v1, s10
	v_mul_f32_e32 v3, v4, v3
	v_cndmask_b32_e32 v1, 0, v1, vcc
	v_cmp_class_f32_e64 vcc, v2, s10
	v_cndmask_b32_e32 v2, 0, v2, vcc
	v_cmp_class_f32_e64 vcc, v3, s10
	v_cndmask_b32_e32 v3, 0, v3, vcc
	s_cbranch_scc1 .LBB6_19
; %bb.4:
	v_lshlrev_b32_e32 v4, 2, v11
	global_load_dwordx4 v[4:7], v4, s[0:1]
	s_waitcnt vmcnt(0)
	v_pk_add_f32 v[4:5], v[4:5], v[0:1]
	v_pk_add_f32 v[6:7], v[6:7], v[2:3]
	s_cbranch_execnz .LBB6_6
.LBB6_5:
	v_pk_mov_b32 v[6:7], v[2:3], v[2:3] op_sel:[0,1]
	v_pk_mov_b32 v[4:5], v[0:1], v[0:1] op_sel:[0,1]
.LBB6_6:
	s_load_dwordx4 s[8:11], s[4:5], 0x30
	s_mov_b32 s25, 0
	v_cmp_eq_u32_e64 s[0:1], 0, v9
	s_waitcnt lgkmcnt(0)
	s_bitcmp1_b32 s11, 0
	s_cselect_b64 vcc, -1, 0
	s_cmp_gt_i32 s8, 0
	s_cselect_b64 s[18:19], -1, 0
	s_cmp_lt_i32 s8, 1
	s_cbranch_scc1 .LBB6_20
; %bb.7:
	s_load_dwordx4 s[12:15], s[4:5], 0x20
	v_mul_lo_u32 v13, v8, s8
	v_mov_b32_e32 v12, 0
	v_mov_b32_e32 v14, 0xc61c4000
	;; [unrolled: 1-line block ×3, first 2 shown]
	s_branch .LBB6_10
.LBB6_8:                                ;   in Loop: Header=BB6_10 Depth=1
	s_or_b64 exec, exec, s[4:5]
.LBB6_9:                                ;   in Loop: Header=BB6_10 Depth=1
	s_cmp_eq_u32 s8, s25
	v_add_u32_e32 v15, s24, v15
	s_cbranch_scc1 .LBB6_21
.LBB6_10:                               ; =>This Inner Loop Header: Depth=1
	v_cmp_gt_f32_e64 s[2:3], v5, v4
	v_cndmask_b32_e64 v16, v4, v5, s[2:3]
	v_cndmask_b32_e64 v17, v0, v1, s[2:3]
	v_cndmask_b32_e64 v18, 0, 1, s[2:3]
	v_cmp_gt_f32_e64 s[2:3], v6, v16
	v_cndmask_b32_e64 v16, v16, v6, s[2:3]
	v_cndmask_b32_e64 v17, v17, v2, s[2:3]
	v_cndmask_b32_e64 v18, v18, 2, s[2:3]
	v_cmp_gt_f32_e64 s[2:3], v7, v16
	v_cndmask_b32_e64 v20, v16, v7, s[2:3]
	v_cndmask_b32_e64 v16, v18, 3, s[2:3]
	v_cndmask_b32_e64 v17, v17, v3, s[2:3]
	v_or_b32_e32 v16, v11, v16
	ds_bpermute_b32 v21, v10, v20
	ds_bpermute_b32 v19, v10, v17
	;; [unrolled: 1-line block ×3, first 2 shown]
	s_waitcnt lgkmcnt(0)
	v_cmp_lt_f32_e64 s[20:21], v20, v21
	v_cmp_nlt_f32_e64 s[2:3], v20, v21
	s_and_saveexec_b64 s[22:23], s[2:3]
	s_cbranch_execnz .LBB6_14
; %bb.11:                               ;   in Loop: Header=BB6_10 Depth=1
	s_or_b64 exec, exec, s[22:23]
	s_and_saveexec_b64 s[2:3], s[20:21]
	s_cbranch_execnz .LBB6_15
.LBB6_12:                               ;   in Loop: Header=BB6_10 Depth=1
	s_or_b64 exec, exec, s[2:3]
	s_and_saveexec_b64 s[20:21], s[0:1]
	s_cbranch_execnz .LBB6_16
.LBB6_13:                               ;   in Loop: Header=BB6_10 Depth=1
	s_or_b64 exec, exec, s[20:21]
	s_add_i32 s25, s25, 1
	s_cmp_ge_i32 s25, s8
	s_cbranch_scc1 .LBB6_9
	s_branch .LBB6_17
.LBB6_14:                               ;   in Loop: Header=BB6_10 Depth=1
	v_cmp_eq_f32_e64 s[2:3], v20, v21
	v_cmp_lt_i32_e64 s[4:5], v18, v16
	s_and_b64 s[2:3], s[2:3], s[4:5]
	s_andn2_b64 s[4:5], s[20:21], exec
	s_and_b64 s[2:3], s[2:3], exec
	s_or_b64 s[20:21], s[4:5], s[2:3]
	s_or_b64 exec, exec, s[22:23]
	s_and_saveexec_b64 s[2:3], s[20:21]
	s_cbranch_execz .LBB6_12
.LBB6_15:                               ;   in Loop: Header=BB6_10 Depth=1
	v_mov_b32_e32 v17, v19
	v_mov_b32_e32 v16, v18
	s_or_b64 exec, exec, s[2:3]
	s_and_saveexec_b64 s[20:21], s[0:1]
	s_cbranch_execz .LBB6_13
.LBB6_16:                               ;   in Loop: Header=BB6_10 Depth=1
	v_add_u32_e32 v18, s25, v13
	v_ashrrev_i32_e32 v19, 31, v18
	v_cmp_le_i32_e64 s[2:3], s9, v16
	v_cmp_gt_i32_e64 s[4:5], s10, v16
	v_lshlrev_b64 v[18:19], 2, v[18:19]
	s_and_b64 s[4:5], s[2:3], s[4:5]
	v_mov_b32_e32 v21, s7
	v_add_co_u32_e64 v20, s[2:3], s6, v18
	v_addc_co_u32_e64 v21, s[2:3], v21, v19, s[2:3]
	global_store_dword v[20:21], v17, off
	v_subrev_u32_e32 v20, s9, v16
	s_and_b64 s[2:3], s[16:17], s[4:5]
	v_cndmask_b32_e64 v22, 8, v20, s[2:3]
	v_mov_b32_e32 v21, s13
	v_add_co_u32_e64 v20, s[2:3], s12, v18
	v_addc_co_u32_e64 v21, s[2:3], v21, v19, s[2:3]
	global_store_dword v[20:21], v22, off
	v_mov_b32_e32 v20, s15
	v_add_co_u32_e64 v18, s[2:3], s14, v18
	v_add_f32_e32 v17, v12, v17
	v_addc_co_u32_e64 v19, s[2:3], v20, v19, s[2:3]
	v_cndmask_b32_e32 v12, v12, v17, vcc
	global_store_dword v[18:19], v15, off
	s_or_b64 exec, exec, s[20:21]
	s_add_i32 s25, s25, 1
	s_cmp_ge_i32 s25, s8
	s_cbranch_scc1 .LBB6_9
.LBB6_17:                               ;   in Loop: Header=BB6_10 Depth=1
	v_ashrrev_i32_e32 v18, 31, v16
	v_lshrrev_b32_e32 v17, 30, v18
	v_add_u32_e32 v19, v16, v17
	v_ashrrev_i32_e32 v17, 2, v19
	v_lshrrev_b32_e32 v19, 31, v19
	v_add_u32_e32 v19, v17, v19
	v_and_b32_e32 v19, -2, v19
	v_sub_u32_e32 v19, v17, v19
	v_cmp_eq_u32_e64 s[2:3], v9, v19
	s_and_saveexec_b64 s[4:5], s[2:3]
	s_cbranch_execz .LBB6_8
; %bb.18:                               ;   in Loop: Header=BB6_10 Depth=1
	v_lshrrev_b32_e32 v18, 29, v18
	v_add_u32_e32 v18, v16, v18
	v_lshlrev_b32_e32 v17, 2, v17
	v_ashrrev_i32_e32 v18, 3, v18
	v_sub_u32_e32 v16, v16, v17
	v_lshl_add_u32 v16, v18, 2, v16
	v_cmp_ne_u32_e64 s[2:3], 3, v16
	v_cndmask_b32_e64 v7, v14, v7, s[2:3]
	v_cmp_ne_u32_e64 s[2:3], 2, v16
	v_cndmask_b32_e64 v6, v14, v6, s[2:3]
	;; [unrolled: 2-line block ×4, first 2 shown]
	s_branch .LBB6_8
.LBB6_19:
                                        ; implicit-def: $vgpr4_vgpr5_vgpr6_vgpr7
	s_andn2_b64 vcc, exec, s[8:9]
	s_cbranch_vccz .LBB6_5
	s_branch .LBB6_6
.LBB6_20:
	v_mov_b32_e32 v12, 0
.LBB6_21:
	v_cmp_eq_u32_e64 s[0:1], 0, v9
	s_and_b64 s[0:1], s[0:1], vcc
	s_and_b64 exec, exec, s[0:1]
	s_cbranch_execz .LBB6_30
; %bb.22:
	s_andn2_b64 vcc, exec, s[18:19]
	s_cbranch_vccnz .LBB6_30
; %bb.23:
	v_cmp_lt_f32_e32 vcc, 0, v12
	s_mov_b32 s2, 0
	v_cndmask_b32_e32 v0, 1.0, v12, vcc
	v_mul_lo_u32 v4, v8, s8
	s_cmp_eq_u32 s8, 1
	s_mov_b64 s[0:1], -1
	s_cbranch_scc1 .LBB6_27
; %bb.24:
	s_and_b32 s2, s8, 0x7ffffffe
	v_mov_b32_e32 v1, v0
	v_mov_b32_e32 v5, s7
	s_mov_b32 s3, s2
	v_mov_b32_e32 v2, v4
.LBB6_25:                               ; =>This Inner Loop Header: Depth=1
	v_ashrrev_i32_e32 v3, 31, v2
	v_lshlrev_b64 v[6:7], 2, v[2:3]
	v_add_co_u32_e32 v6, vcc, s6, v6
	v_addc_co_u32_e32 v7, vcc, v5, v7, vcc
	global_load_dwordx2 v[8:9], v[6:7], off
	s_add_i32 s3, s3, -2
	s_cmp_lg_u32 s3, 0
	v_add_u32_e32 v2, 2, v2
	s_waitcnt vmcnt(0)
	v_div_scale_f32 v3, s[0:1], v1, v1, v9
	v_div_scale_f32 v11, s[0:1], v0, v0, v8
	v_rcp_f32_e32 v12, v3
	v_rcp_f32_e32 v13, v11
	v_div_scale_f32 v10, vcc, v9, v1, v9
	v_fma_f32 v15, -v3, v12, 1.0
	v_fma_f32 v16, -v11, v13, 1.0
	v_fmac_f32_e32 v12, v15, v12
	v_div_scale_f32 v14, s[0:1], v8, v0, v8
	v_fmac_f32_e32 v13, v16, v13
	v_mul_f32_e32 v15, v10, v12
	v_mul_f32_e32 v16, v14, v13
	v_fma_f32 v17, -v3, v15, v10
	v_fma_f32 v18, -v11, v16, v14
	v_fmac_f32_e32 v15, v17, v12
	v_fmac_f32_e32 v16, v18, v13
	v_fma_f32 v3, -v3, v15, v10
	v_fma_f32 v10, -v11, v16, v14
	v_div_fmas_f32 v3, v3, v12, v15
	s_mov_b64 vcc, s[0:1]
	v_div_fixup_f32 v9, v3, v1, v9
	v_div_fmas_f32 v3, v10, v13, v16
	v_div_fixup_f32 v8, v3, v0, v8
	global_store_dwordx2 v[6:7], v[8:9], off
	s_cbranch_scc1 .LBB6_25
; %bb.26:
	s_cmp_lg_u32 s2, s8
	s_cselect_b64 s[0:1], -1, 0
.LBB6_27:
	s_and_b64 vcc, exec, s[0:1]
	s_cbranch_vccz .LBB6_30
; %bb.28:
	v_ashrrev_i32_e32 v1, 31, v4
	v_add_co_u32_e32 v2, vcc, s2, v4
	v_addc_co_u32_e32 v3, vcc, 0, v1, vcc
	v_lshlrev_b64 v[2:3], 2, v[2:3]
	v_mov_b32_e32 v1, s7
	v_add_co_u32_e32 v2, vcc, s6, v2
	s_sub_i32 s0, s8, s2
	v_addc_co_u32_e32 v3, vcc, v1, v3, vcc
.LBB6_29:                               ; =>This Inner Loop Header: Depth=1
	global_load_dword v1, v[2:3], off
	s_add_i32 s0, s0, -1
	s_cmp_lg_u32 s0, 0
	s_waitcnt vmcnt(0)
	v_div_scale_f32 v4, s[2:3], v0, v0, v1
	v_rcp_f32_e32 v5, v4
	v_div_scale_f32 v6, vcc, v1, v0, v1
	v_fma_f32 v7, -v4, v5, 1.0
	v_fmac_f32_e32 v5, v7, v5
	v_mul_f32_e32 v7, v6, v5
	v_fma_f32 v8, -v4, v7, v6
	v_fmac_f32_e32 v7, v8, v5
	v_fma_f32 v4, -v4, v7, v6
	v_div_fmas_f32 v4, v4, v5, v7
	v_div_fixup_f32 v1, v4, v0, v1
	global_store_dword v[2:3], v1, off
	v_add_co_u32_e32 v2, vcc, 4, v2
	v_addc_co_u32_e32 v3, vcc, 0, v3, vcc
	s_cbranch_scc1 .LBB6_29
.LBB6_30:
	s_endpgm
	.section	.rodata,"a",@progbits
	.p2align	6, 0x0
	.amdhsa_kernel _ZN4vllm3moe10topkGatingILi4ELi8ELi4ELi16ELi64EifLNS0_11ScoringFuncE0EEEvPKT5_PKbPfiPT4_PiiiibPKf
		.amdhsa_group_segment_fixed_size 0
		.amdhsa_private_segment_fixed_size 0
		.amdhsa_kernarg_size 72
		.amdhsa_user_sgpr_count 6
		.amdhsa_user_sgpr_private_segment_buffer 1
		.amdhsa_user_sgpr_dispatch_ptr 0
		.amdhsa_user_sgpr_queue_ptr 0
		.amdhsa_user_sgpr_kernarg_segment_ptr 1
		.amdhsa_user_sgpr_dispatch_id 0
		.amdhsa_user_sgpr_flat_scratch_init 0
		.amdhsa_user_sgpr_kernarg_preload_length 0
		.amdhsa_user_sgpr_kernarg_preload_offset 0
		.amdhsa_user_sgpr_private_segment_size 0
		.amdhsa_uses_dynamic_stack 0
		.amdhsa_system_sgpr_private_segment_wavefront_offset 0
		.amdhsa_system_sgpr_workgroup_id_x 1
		.amdhsa_system_sgpr_workgroup_id_y 0
		.amdhsa_system_sgpr_workgroup_id_z 0
		.amdhsa_system_sgpr_workgroup_info 0
		.amdhsa_system_vgpr_workitem_id 1
		.amdhsa_next_free_vgpr 23
		.amdhsa_next_free_sgpr 26
		.amdhsa_accum_offset 24
		.amdhsa_reserve_vcc 1
		.amdhsa_reserve_flat_scratch 0
		.amdhsa_float_round_mode_32 0
		.amdhsa_float_round_mode_16_64 0
		.amdhsa_float_denorm_mode_32 3
		.amdhsa_float_denorm_mode_16_64 3
		.amdhsa_dx10_clamp 1
		.amdhsa_ieee_mode 1
		.amdhsa_fp16_overflow 0
		.amdhsa_tg_split 0
		.amdhsa_exception_fp_ieee_invalid_op 0
		.amdhsa_exception_fp_denorm_src 0
		.amdhsa_exception_fp_ieee_div_zero 0
		.amdhsa_exception_fp_ieee_overflow 0
		.amdhsa_exception_fp_ieee_underflow 0
		.amdhsa_exception_fp_ieee_inexact 0
		.amdhsa_exception_int_div_zero 0
	.end_amdhsa_kernel
	.section	.text._ZN4vllm3moe10topkGatingILi4ELi8ELi4ELi16ELi64EifLNS0_11ScoringFuncE0EEEvPKT5_PKbPfiPT4_PiiiibPKf,"axG",@progbits,_ZN4vllm3moe10topkGatingILi4ELi8ELi4ELi16ELi64EifLNS0_11ScoringFuncE0EEEvPKT5_PKbPfiPT4_PiiiibPKf,comdat
.Lfunc_end6:
	.size	_ZN4vllm3moe10topkGatingILi4ELi8ELi4ELi16ELi64EifLNS0_11ScoringFuncE0EEEvPKT5_PKbPfiPT4_PiiiibPKf, .Lfunc_end6-_ZN4vllm3moe10topkGatingILi4ELi8ELi4ELi16ELi64EifLNS0_11ScoringFuncE0EEEvPKT5_PKbPfiPT4_PiiiibPKf
                                        ; -- End function
	.section	.AMDGPU.csdata,"",@progbits
; Kernel info:
; codeLenInByte = 1976
; NumSgprs: 30
; NumVgprs: 23
; NumAgprs: 0
; TotalNumVgprs: 23
; ScratchSize: 0
; MemoryBound: 0
; FloatMode: 240
; IeeeMode: 1
; LDSByteSize: 0 bytes/workgroup (compile time only)
; SGPRBlocks: 3
; VGPRBlocks: 2
; NumSGPRsForWavesPerEU: 30
; NumVGPRsForWavesPerEU: 23
; AccumOffset: 24
; Occupancy: 8
; WaveLimiterHint : 0
; COMPUTE_PGM_RSRC2:SCRATCH_EN: 0
; COMPUTE_PGM_RSRC2:USER_SGPR: 6
; COMPUTE_PGM_RSRC2:TRAP_HANDLER: 0
; COMPUTE_PGM_RSRC2:TGID_X_EN: 1
; COMPUTE_PGM_RSRC2:TGID_Y_EN: 0
; COMPUTE_PGM_RSRC2:TGID_Z_EN: 0
; COMPUTE_PGM_RSRC2:TIDIG_COMP_CNT: 1
; COMPUTE_PGM_RSRC3_GFX90A:ACCUM_OFFSET: 5
; COMPUTE_PGM_RSRC3_GFX90A:TG_SPLIT: 0
	.section	.text._ZN4vllm3moe10topkGatingILi4ELi8ELi4ELi16ELi32EifLNS0_11ScoringFuncE0EEEvPKT5_PKbPfiPT4_PiiiibPKf,"axG",@progbits,_ZN4vllm3moe10topkGatingILi4ELi8ELi4ELi16ELi32EifLNS0_11ScoringFuncE0EEEvPKT5_PKbPfiPT4_PiiiibPKf,comdat
	.protected	_ZN4vllm3moe10topkGatingILi4ELi8ELi4ELi16ELi32EifLNS0_11ScoringFuncE0EEEvPKT5_PKbPfiPT4_PiiiibPKf ; -- Begin function _ZN4vllm3moe10topkGatingILi4ELi8ELi4ELi16ELi32EifLNS0_11ScoringFuncE0EEEvPKT5_PKbPfiPT4_PiiiibPKf
	.globl	_ZN4vllm3moe10topkGatingILi4ELi8ELi4ELi16ELi32EifLNS0_11ScoringFuncE0EEEvPKT5_PKbPfiPT4_PiiiibPKf
	.p2align	8
	.type	_ZN4vllm3moe10topkGatingILi4ELi8ELi4ELi16ELi32EifLNS0_11ScoringFuncE0EEEvPKT5_PKbPfiPT4_PiiiibPKf,@function
_ZN4vllm3moe10topkGatingILi4ELi8ELi4ELi16ELi32EifLNS0_11ScoringFuncE0EEEvPKT5_PKbPfiPT4_PiiiibPKf: ; @_ZN4vllm3moe10topkGatingILi4ELi8ELi4ELi16ELi32EifLNS0_11ScoringFuncE0EEEvPKT5_PKbPfiPT4_PiiiibPKf
; %bb.0:
	s_load_dword s24, s[4:5], 0x18
	v_bfe_u32 v1, v0, 10, 10
	v_and_b32_e32 v0, 0x3ff, v0
	s_lshl_b32 s0, s6, 6
	v_lshlrev_b32_e32 v1, 4, v1
	v_lshrrev_b32_e32 v2, 1, v0
	v_add3_u32 v8, s0, v1, v2
	s_waitcnt lgkmcnt(0)
	v_cmp_gt_i32_e32 vcc, s24, v8
	s_and_saveexec_b64 s[0:1], vcc
	s_cbranch_execz .LBB7_30
; %bb.1:
	s_load_dwordx4 s[0:3], s[4:5], 0x0
	s_load_dwordx2 s[6:7], s[4:5], 0x10
	s_mov_b64 s[8:9], -1
	s_mov_b64 s[16:17], -1
	s_waitcnt lgkmcnt(0)
	s_cmp_eq_u64 s[2:3], 0
	s_cbranch_scc1 .LBB7_3
; %bb.2:
	v_ashrrev_i32_e32 v1, 31, v8
	v_mov_b32_e32 v3, s3
	v_add_co_u32_e32 v2, vcc, s2, v8
	v_addc_co_u32_e32 v3, vcc, v3, v1, vcc
	global_load_ubyte v1, v[2:3], off
	s_waitcnt vmcnt(0)
	v_and_b32_e32 v1, 1, v1
	v_cmp_eq_u32_e32 vcc, 1, v1
	s_xor_b64 s[2:3], vcc, -1
	s_orn2_b64 s[16:17], s[2:3], exec
.LBB7_3:
	v_lshlrev_b32_e32 v2, 3, v8
	v_ashrrev_i32_e32 v3, 31, v2
	v_lshlrev_b64 v[2:3], 2, v[2:3]
	v_mov_b32_e32 v1, s1
	v_add_co_u32_e32 v2, vcc, s0, v2
	v_and_b32_e32 v9, 1, v0
	v_addc_co_u32_e32 v1, vcc, v1, v3, vcc
	v_lshlrev_b32_e32 v0, 4, v9
	v_add_co_u32_e32 v0, vcc, v2, v0
	v_addc_co_u32_e32 v1, vcc, 0, v1, vcc
	global_load_dwordx4 v[0:3], v[0:1], off
	v_mbcnt_lo_u32_b32 v4, -1, 0
	v_mbcnt_hi_u32_b32 v4, -1, v4
	v_and_b32_e32 v6, 0x7e, v4
	v_xor_b32_e32 v5, 1, v4
	v_add_u32_e32 v6, 2, v6
	v_cmp_lt_i32_e32 vcc, v5, v6
	v_cndmask_b32_e32 v4, v4, v5, vcc
	v_lshlrev_b32_e32 v10, 2, v4
	s_mov_b32 s0, 0x3fb8aa3b
	s_mov_b32 s1, 0xc2ce8ed0
	;; [unrolled: 1-line block ×3, first 2 shown]
	v_mov_b32_e32 v6, 0x7f800000
	s_movk_i32 s10, 0x1f8
	s_waitcnt vmcnt(0)
	v_max_f32_e32 v4, v1, v1
	v_max_f32_e32 v5, v0, v0
	;; [unrolled: 1-line block ×3, first 2 shown]
	v_max3_f32 v4, v4, v2, v3
	ds_bpermute_b32 v5, v10, v4
	s_waitcnt lgkmcnt(0)
	v_max_f32_e32 v5, v5, v5
	v_max_f32_e32 v4, v4, v5
	v_pk_add_f32 v[0:1], v[0:1], v[4:5] op_sel_hi:[1,0] neg_lo:[0,1] neg_hi:[0,1]
	v_sub_f32_e32 v2, v2, v4
	v_sub_f32_e32 v3, v3, v4
	v_mul_f32_e32 v4, 0x3fb8aa3b, v1
	v_mul_f32_e32 v5, 0x3fb8aa3b, v0
	v_fma_f32 v12, v1, s0, -v4
	v_rndne_f32_e32 v13, v4
	v_mul_f32_e32 v7, 0x3fb8aa3b, v2
	v_fma_f32 v14, v0, s0, -v5
	v_rndne_f32_e32 v15, v5
	v_fmac_f32_e32 v12, 0x32a5705f, v1
	v_sub_f32_e32 v4, v4, v13
	v_mul_f32_e32 v11, 0x3fb8aa3b, v3
	v_fma_f32 v16, v2, s0, -v7
	v_rndne_f32_e32 v17, v7
	v_fmac_f32_e32 v14, 0x32a5705f, v0
	v_sub_f32_e32 v5, v5, v15
	v_add_f32_e32 v4, v4, v12
	v_fma_f32 v18, v3, s0, -v11
	v_rndne_f32_e32 v19, v11
	v_cvt_i32_f32_e32 v13, v13
	v_fmac_f32_e32 v16, 0x32a5705f, v2
	v_sub_f32_e32 v7, v7, v17
	v_add_f32_e32 v5, v5, v14
	v_exp_f32_e32 v4, v4
	v_cvt_i32_f32_e32 v15, v15
	v_fmac_f32_e32 v18, 0x32a5705f, v3
	v_sub_f32_e32 v11, v11, v19
	v_add_f32_e32 v7, v7, v16
	v_exp_f32_e32 v5, v5
	v_cvt_i32_f32_e32 v17, v17
	v_add_f32_e32 v11, v11, v18
	v_exp_f32_e32 v7, v7
	v_cvt_i32_f32_e32 v19, v19
	v_exp_f32_e32 v11, v11
	v_ldexp_f32 v4, v4, v13
	v_cmp_ngt_f32_e32 vcc, s1, v1
	v_ldexp_f32 v5, v5, v15
	v_cndmask_b32_e32 v4, 0, v4, vcc
	v_cmp_ngt_f32_e32 vcc, s1, v0
	v_ldexp_f32 v7, v7, v17
	v_cndmask_b32_e32 v5, 0, v5, vcc
	;; [unrolled: 3-line block ×3, first 2 shown]
	v_cmp_ngt_f32_e32 vcc, s1, v3
	v_cndmask_b32_e32 v11, 0, v11, vcc
	v_cmp_nlt_f32_e32 vcc, s2, v1
	v_cndmask_b32_e32 v1, v6, v4, vcc
	v_cmp_nlt_f32_e32 vcc, s2, v0
	;; [unrolled: 2-line block ×4, first 2 shown]
	v_add_f32_e32 v4, v0, v1
	v_cndmask_b32_e32 v3, v6, v11, vcc
	v_add_f32_e32 v4, v4, v2
	v_add_f32_e32 v4, v4, v3
	ds_bpermute_b32 v5, v10, v4
	s_load_dwordx2 s[0:1], s[4:5], 0x40
	v_lshlrev_b32_e32 v11, 2, v9
	s_waitcnt lgkmcnt(0)
	v_add_f32_e32 v4, v4, v5
	v_div_scale_f32 v5, s[2:3], v4, v4, 1.0
	v_rcp_f32_e32 v6, v5
	v_div_scale_f32 v7, vcc, 1.0, v4, 1.0
	s_cmp_eq_u64 s[0:1], 0
	v_fma_f32 v12, -v5, v6, 1.0
	v_fmac_f32_e32 v6, v12, v6
	v_mul_f32_e32 v12, v7, v6
	v_fma_f32 v13, -v5, v12, v7
	v_fmac_f32_e32 v12, v13, v6
	v_fma_f32 v5, -v5, v12, v7
	v_div_fmas_f32 v5, v5, v6, v12
	v_div_fixup_f32 v4, v5, v4, 1.0
	v_mul_f32_e32 v0, v4, v0
	v_mul_f32_e32 v1, v4, v1
	v_cmp_class_f32_e64 vcc, v0, s10
	v_mul_f32_e32 v2, v4, v2
	v_cndmask_b32_e32 v0, 0, v0, vcc
	v_cmp_class_f32_e64 vcc, v1, s10
	v_mul_f32_e32 v3, v4, v3
	v_cndmask_b32_e32 v1, 0, v1, vcc
	v_cmp_class_f32_e64 vcc, v2, s10
	v_cndmask_b32_e32 v2, 0, v2, vcc
	v_cmp_class_f32_e64 vcc, v3, s10
	v_cndmask_b32_e32 v3, 0, v3, vcc
	s_cbranch_scc1 .LBB7_19
; %bb.4:
	v_lshlrev_b32_e32 v4, 2, v11
	global_load_dwordx4 v[4:7], v4, s[0:1]
	s_waitcnt vmcnt(0)
	v_pk_add_f32 v[4:5], v[4:5], v[0:1]
	v_pk_add_f32 v[6:7], v[6:7], v[2:3]
	s_cbranch_execnz .LBB7_6
.LBB7_5:
	v_pk_mov_b32 v[6:7], v[2:3], v[2:3] op_sel:[0,1]
	v_pk_mov_b32 v[4:5], v[0:1], v[0:1] op_sel:[0,1]
.LBB7_6:
	s_load_dwordx4 s[8:11], s[4:5], 0x30
	s_mov_b32 s25, 0
	v_cmp_eq_u32_e64 s[0:1], 0, v9
	s_waitcnt lgkmcnt(0)
	s_bitcmp1_b32 s11, 0
	s_cselect_b64 vcc, -1, 0
	s_cmp_gt_i32 s8, 0
	s_cselect_b64 s[18:19], -1, 0
	s_cmp_lt_i32 s8, 1
	s_cbranch_scc1 .LBB7_20
; %bb.7:
	s_load_dwordx4 s[12:15], s[4:5], 0x20
	v_mul_lo_u32 v13, v8, s8
	v_mov_b32_e32 v12, 0
	v_mov_b32_e32 v14, 0xc61c4000
	;; [unrolled: 1-line block ×3, first 2 shown]
	s_branch .LBB7_10
.LBB7_8:                                ;   in Loop: Header=BB7_10 Depth=1
	s_or_b64 exec, exec, s[4:5]
.LBB7_9:                                ;   in Loop: Header=BB7_10 Depth=1
	s_cmp_eq_u32 s8, s25
	v_add_u32_e32 v15, s24, v15
	s_cbranch_scc1 .LBB7_21
.LBB7_10:                               ; =>This Inner Loop Header: Depth=1
	v_cmp_gt_f32_e64 s[2:3], v5, v4
	v_cndmask_b32_e64 v16, v4, v5, s[2:3]
	v_cndmask_b32_e64 v17, v0, v1, s[2:3]
	v_cndmask_b32_e64 v18, 0, 1, s[2:3]
	v_cmp_gt_f32_e64 s[2:3], v6, v16
	v_cndmask_b32_e64 v16, v16, v6, s[2:3]
	v_cndmask_b32_e64 v17, v17, v2, s[2:3]
	v_cndmask_b32_e64 v18, v18, 2, s[2:3]
	;; [unrolled: 4-line block ×3, first 2 shown]
	v_or_b32_e32 v16, v11, v16
	ds_bpermute_b32 v21, v10, v20
	ds_bpermute_b32 v19, v10, v17
	;; [unrolled: 1-line block ×3, first 2 shown]
	s_waitcnt lgkmcnt(0)
	v_cmp_lt_f32_e64 s[20:21], v20, v21
	v_cmp_nlt_f32_e64 s[2:3], v20, v21
	s_and_saveexec_b64 s[22:23], s[2:3]
	s_cbranch_execnz .LBB7_14
; %bb.11:                               ;   in Loop: Header=BB7_10 Depth=1
	s_or_b64 exec, exec, s[22:23]
	s_and_saveexec_b64 s[2:3], s[20:21]
	s_cbranch_execnz .LBB7_15
.LBB7_12:                               ;   in Loop: Header=BB7_10 Depth=1
	s_or_b64 exec, exec, s[2:3]
	s_and_saveexec_b64 s[20:21], s[0:1]
	s_cbranch_execnz .LBB7_16
.LBB7_13:                               ;   in Loop: Header=BB7_10 Depth=1
	s_or_b64 exec, exec, s[20:21]
	s_add_i32 s25, s25, 1
	s_cmp_ge_i32 s25, s8
	s_cbranch_scc1 .LBB7_9
	s_branch .LBB7_17
.LBB7_14:                               ;   in Loop: Header=BB7_10 Depth=1
	v_cmp_eq_f32_e64 s[2:3], v20, v21
	v_cmp_lt_i32_e64 s[4:5], v18, v16
	s_and_b64 s[2:3], s[2:3], s[4:5]
	s_andn2_b64 s[4:5], s[20:21], exec
	s_and_b64 s[2:3], s[2:3], exec
	s_or_b64 s[20:21], s[4:5], s[2:3]
	s_or_b64 exec, exec, s[22:23]
	s_and_saveexec_b64 s[2:3], s[20:21]
	s_cbranch_execz .LBB7_12
.LBB7_15:                               ;   in Loop: Header=BB7_10 Depth=1
	v_mov_b32_e32 v17, v19
	v_mov_b32_e32 v16, v18
	s_or_b64 exec, exec, s[2:3]
	s_and_saveexec_b64 s[20:21], s[0:1]
	s_cbranch_execz .LBB7_13
.LBB7_16:                               ;   in Loop: Header=BB7_10 Depth=1
	v_add_u32_e32 v18, s25, v13
	v_ashrrev_i32_e32 v19, 31, v18
	v_cmp_le_i32_e64 s[2:3], s9, v16
	v_cmp_gt_i32_e64 s[4:5], s10, v16
	v_lshlrev_b64 v[18:19], 2, v[18:19]
	s_and_b64 s[4:5], s[2:3], s[4:5]
	v_mov_b32_e32 v21, s7
	v_add_co_u32_e64 v20, s[2:3], s6, v18
	v_addc_co_u32_e64 v21, s[2:3], v21, v19, s[2:3]
	global_store_dword v[20:21], v17, off
	v_subrev_u32_e32 v20, s9, v16
	s_and_b64 s[2:3], s[16:17], s[4:5]
	v_cndmask_b32_e64 v22, 8, v20, s[2:3]
	v_mov_b32_e32 v21, s13
	v_add_co_u32_e64 v20, s[2:3], s12, v18
	v_addc_co_u32_e64 v21, s[2:3], v21, v19, s[2:3]
	global_store_dword v[20:21], v22, off
	v_mov_b32_e32 v20, s15
	v_add_co_u32_e64 v18, s[2:3], s14, v18
	v_add_f32_e32 v17, v12, v17
	v_addc_co_u32_e64 v19, s[2:3], v20, v19, s[2:3]
	v_cndmask_b32_e32 v12, v12, v17, vcc
	global_store_dword v[18:19], v15, off
	s_or_b64 exec, exec, s[20:21]
	s_add_i32 s25, s25, 1
	s_cmp_ge_i32 s25, s8
	s_cbranch_scc1 .LBB7_9
.LBB7_17:                               ;   in Loop: Header=BB7_10 Depth=1
	v_ashrrev_i32_e32 v18, 31, v16
	v_lshrrev_b32_e32 v17, 30, v18
	v_add_u32_e32 v19, v16, v17
	v_ashrrev_i32_e32 v17, 2, v19
	v_lshrrev_b32_e32 v19, 31, v19
	v_add_u32_e32 v19, v17, v19
	v_and_b32_e32 v19, -2, v19
	v_sub_u32_e32 v19, v17, v19
	v_cmp_eq_u32_e64 s[2:3], v9, v19
	s_and_saveexec_b64 s[4:5], s[2:3]
	s_cbranch_execz .LBB7_8
; %bb.18:                               ;   in Loop: Header=BB7_10 Depth=1
	v_lshrrev_b32_e32 v18, 29, v18
	v_add_u32_e32 v18, v16, v18
	v_lshlrev_b32_e32 v17, 2, v17
	v_ashrrev_i32_e32 v18, 3, v18
	v_sub_u32_e32 v16, v16, v17
	v_lshl_add_u32 v16, v18, 2, v16
	v_cmp_ne_u32_e64 s[2:3], 3, v16
	v_cndmask_b32_e64 v7, v14, v7, s[2:3]
	v_cmp_ne_u32_e64 s[2:3], 2, v16
	v_cndmask_b32_e64 v6, v14, v6, s[2:3]
	;; [unrolled: 2-line block ×4, first 2 shown]
	s_branch .LBB7_8
.LBB7_19:
                                        ; implicit-def: $vgpr4_vgpr5_vgpr6_vgpr7
	s_andn2_b64 vcc, exec, s[8:9]
	s_cbranch_vccz .LBB7_5
	s_branch .LBB7_6
.LBB7_20:
	v_mov_b32_e32 v12, 0
.LBB7_21:
	v_cmp_eq_u32_e64 s[0:1], 0, v9
	s_and_b64 s[0:1], s[0:1], vcc
	s_and_b64 exec, exec, s[0:1]
	s_cbranch_execz .LBB7_30
; %bb.22:
	s_andn2_b64 vcc, exec, s[18:19]
	s_cbranch_vccnz .LBB7_30
; %bb.23:
	v_cmp_lt_f32_e32 vcc, 0, v12
	s_mov_b32 s2, 0
	v_cndmask_b32_e32 v0, 1.0, v12, vcc
	v_mul_lo_u32 v4, v8, s8
	s_cmp_eq_u32 s8, 1
	s_mov_b64 s[0:1], -1
	s_cbranch_scc1 .LBB7_27
; %bb.24:
	s_and_b32 s2, s8, 0x7ffffffe
	v_mov_b32_e32 v1, v0
	v_mov_b32_e32 v5, s7
	s_mov_b32 s3, s2
	v_mov_b32_e32 v2, v4
.LBB7_25:                               ; =>This Inner Loop Header: Depth=1
	v_ashrrev_i32_e32 v3, 31, v2
	v_lshlrev_b64 v[6:7], 2, v[2:3]
	v_add_co_u32_e32 v6, vcc, s6, v6
	v_addc_co_u32_e32 v7, vcc, v5, v7, vcc
	global_load_dwordx2 v[8:9], v[6:7], off
	s_add_i32 s3, s3, -2
	s_cmp_lg_u32 s3, 0
	v_add_u32_e32 v2, 2, v2
	s_waitcnt vmcnt(0)
	v_div_scale_f32 v3, s[0:1], v1, v1, v9
	v_div_scale_f32 v11, s[0:1], v0, v0, v8
	v_rcp_f32_e32 v12, v3
	v_rcp_f32_e32 v13, v11
	v_div_scale_f32 v10, vcc, v9, v1, v9
	v_fma_f32 v15, -v3, v12, 1.0
	v_fma_f32 v16, -v11, v13, 1.0
	v_fmac_f32_e32 v12, v15, v12
	v_div_scale_f32 v14, s[0:1], v8, v0, v8
	v_fmac_f32_e32 v13, v16, v13
	v_mul_f32_e32 v15, v10, v12
	v_mul_f32_e32 v16, v14, v13
	v_fma_f32 v17, -v3, v15, v10
	v_fma_f32 v18, -v11, v16, v14
	v_fmac_f32_e32 v15, v17, v12
	v_fmac_f32_e32 v16, v18, v13
	v_fma_f32 v3, -v3, v15, v10
	v_fma_f32 v10, -v11, v16, v14
	v_div_fmas_f32 v3, v3, v12, v15
	s_mov_b64 vcc, s[0:1]
	v_div_fixup_f32 v9, v3, v1, v9
	v_div_fmas_f32 v3, v10, v13, v16
	v_div_fixup_f32 v8, v3, v0, v8
	global_store_dwordx2 v[6:7], v[8:9], off
	s_cbranch_scc1 .LBB7_25
; %bb.26:
	s_cmp_lg_u32 s2, s8
	s_cselect_b64 s[0:1], -1, 0
.LBB7_27:
	s_and_b64 vcc, exec, s[0:1]
	s_cbranch_vccz .LBB7_30
; %bb.28:
	v_ashrrev_i32_e32 v1, 31, v4
	v_add_co_u32_e32 v2, vcc, s2, v4
	v_addc_co_u32_e32 v3, vcc, 0, v1, vcc
	v_lshlrev_b64 v[2:3], 2, v[2:3]
	v_mov_b32_e32 v1, s7
	v_add_co_u32_e32 v2, vcc, s6, v2
	s_sub_i32 s0, s8, s2
	v_addc_co_u32_e32 v3, vcc, v1, v3, vcc
.LBB7_29:                               ; =>This Inner Loop Header: Depth=1
	global_load_dword v1, v[2:3], off
	s_add_i32 s0, s0, -1
	s_cmp_lg_u32 s0, 0
	s_waitcnt vmcnt(0)
	v_div_scale_f32 v4, s[2:3], v0, v0, v1
	v_rcp_f32_e32 v5, v4
	v_div_scale_f32 v6, vcc, v1, v0, v1
	v_fma_f32 v7, -v4, v5, 1.0
	v_fmac_f32_e32 v5, v7, v5
	v_mul_f32_e32 v7, v6, v5
	v_fma_f32 v8, -v4, v7, v6
	v_fmac_f32_e32 v7, v8, v5
	v_fma_f32 v4, -v4, v7, v6
	v_div_fmas_f32 v4, v4, v5, v7
	v_div_fixup_f32 v1, v4, v0, v1
	global_store_dword v[2:3], v1, off
	v_add_co_u32_e32 v2, vcc, 4, v2
	v_addc_co_u32_e32 v3, vcc, 0, v3, vcc
	s_cbranch_scc1 .LBB7_29
.LBB7_30:
	s_endpgm
	.section	.rodata,"a",@progbits
	.p2align	6, 0x0
	.amdhsa_kernel _ZN4vllm3moe10topkGatingILi4ELi8ELi4ELi16ELi32EifLNS0_11ScoringFuncE0EEEvPKT5_PKbPfiPT4_PiiiibPKf
		.amdhsa_group_segment_fixed_size 0
		.amdhsa_private_segment_fixed_size 0
		.amdhsa_kernarg_size 72
		.amdhsa_user_sgpr_count 6
		.amdhsa_user_sgpr_private_segment_buffer 1
		.amdhsa_user_sgpr_dispatch_ptr 0
		.amdhsa_user_sgpr_queue_ptr 0
		.amdhsa_user_sgpr_kernarg_segment_ptr 1
		.amdhsa_user_sgpr_dispatch_id 0
		.amdhsa_user_sgpr_flat_scratch_init 0
		.amdhsa_user_sgpr_kernarg_preload_length 0
		.amdhsa_user_sgpr_kernarg_preload_offset 0
		.amdhsa_user_sgpr_private_segment_size 0
		.amdhsa_uses_dynamic_stack 0
		.amdhsa_system_sgpr_private_segment_wavefront_offset 0
		.amdhsa_system_sgpr_workgroup_id_x 1
		.amdhsa_system_sgpr_workgroup_id_y 0
		.amdhsa_system_sgpr_workgroup_id_z 0
		.amdhsa_system_sgpr_workgroup_info 0
		.amdhsa_system_vgpr_workitem_id 1
		.amdhsa_next_free_vgpr 23
		.amdhsa_next_free_sgpr 26
		.amdhsa_accum_offset 24
		.amdhsa_reserve_vcc 1
		.amdhsa_reserve_flat_scratch 0
		.amdhsa_float_round_mode_32 0
		.amdhsa_float_round_mode_16_64 0
		.amdhsa_float_denorm_mode_32 3
		.amdhsa_float_denorm_mode_16_64 3
		.amdhsa_dx10_clamp 1
		.amdhsa_ieee_mode 1
		.amdhsa_fp16_overflow 0
		.amdhsa_tg_split 0
		.amdhsa_exception_fp_ieee_invalid_op 0
		.amdhsa_exception_fp_denorm_src 0
		.amdhsa_exception_fp_ieee_div_zero 0
		.amdhsa_exception_fp_ieee_overflow 0
		.amdhsa_exception_fp_ieee_underflow 0
		.amdhsa_exception_fp_ieee_inexact 0
		.amdhsa_exception_int_div_zero 0
	.end_amdhsa_kernel
	.section	.text._ZN4vllm3moe10topkGatingILi4ELi8ELi4ELi16ELi32EifLNS0_11ScoringFuncE0EEEvPKT5_PKbPfiPT4_PiiiibPKf,"axG",@progbits,_ZN4vllm3moe10topkGatingILi4ELi8ELi4ELi16ELi32EifLNS0_11ScoringFuncE0EEEvPKT5_PKbPfiPT4_PiiiibPKf,comdat
.Lfunc_end7:
	.size	_ZN4vllm3moe10topkGatingILi4ELi8ELi4ELi16ELi32EifLNS0_11ScoringFuncE0EEEvPKT5_PKbPfiPT4_PiiiibPKf, .Lfunc_end7-_ZN4vllm3moe10topkGatingILi4ELi8ELi4ELi16ELi32EifLNS0_11ScoringFuncE0EEEvPKT5_PKbPfiPT4_PiiiibPKf
                                        ; -- End function
	.section	.AMDGPU.csdata,"",@progbits
; Kernel info:
; codeLenInByte = 1976
; NumSgprs: 30
; NumVgprs: 23
; NumAgprs: 0
; TotalNumVgprs: 23
; ScratchSize: 0
; MemoryBound: 0
; FloatMode: 240
; IeeeMode: 1
; LDSByteSize: 0 bytes/workgroup (compile time only)
; SGPRBlocks: 3
; VGPRBlocks: 2
; NumSGPRsForWavesPerEU: 30
; NumVGPRsForWavesPerEU: 23
; AccumOffset: 24
; Occupancy: 8
; WaveLimiterHint : 0
; COMPUTE_PGM_RSRC2:SCRATCH_EN: 0
; COMPUTE_PGM_RSRC2:USER_SGPR: 6
; COMPUTE_PGM_RSRC2:TRAP_HANDLER: 0
; COMPUTE_PGM_RSRC2:TGID_X_EN: 1
; COMPUTE_PGM_RSRC2:TGID_Y_EN: 0
; COMPUTE_PGM_RSRC2:TGID_Z_EN: 0
; COMPUTE_PGM_RSRC2:TIDIG_COMP_CNT: 1
; COMPUTE_PGM_RSRC3_GFX90A:ACCUM_OFFSET: 5
; COMPUTE_PGM_RSRC3_GFX90A:TG_SPLIT: 0
	.section	.text._ZN4vllm3moe10topkGatingILi4ELi16ELi4ELi16ELi64EifLNS0_11ScoringFuncE0EEEvPKT5_PKbPfiPT4_PiiiibPKf,"axG",@progbits,_ZN4vllm3moe10topkGatingILi4ELi16ELi4ELi16ELi64EifLNS0_11ScoringFuncE0EEEvPKT5_PKbPfiPT4_PiiiibPKf,comdat
	.protected	_ZN4vllm3moe10topkGatingILi4ELi16ELi4ELi16ELi64EifLNS0_11ScoringFuncE0EEEvPKT5_PKbPfiPT4_PiiiibPKf ; -- Begin function _ZN4vllm3moe10topkGatingILi4ELi16ELi4ELi16ELi64EifLNS0_11ScoringFuncE0EEEvPKT5_PKbPfiPT4_PiiiibPKf
	.globl	_ZN4vllm3moe10topkGatingILi4ELi16ELi4ELi16ELi64EifLNS0_11ScoringFuncE0EEEvPKT5_PKbPfiPT4_PiiiibPKf
	.p2align	8
	.type	_ZN4vllm3moe10topkGatingILi4ELi16ELi4ELi16ELi64EifLNS0_11ScoringFuncE0EEEvPKT5_PKbPfiPT4_PiiiibPKf,@function
_ZN4vllm3moe10topkGatingILi4ELi16ELi4ELi16ELi64EifLNS0_11ScoringFuncE0EEEvPKT5_PKbPfiPT4_PiiiibPKf: ; @_ZN4vllm3moe10topkGatingILi4ELi16ELi4ELi16ELi64EifLNS0_11ScoringFuncE0EEEvPKT5_PKbPfiPT4_PiiiibPKf
; %bb.0:
	s_load_dword s22, s[4:5], 0x18
	v_bfe_u32 v1, v0, 10, 10
	v_and_b32_e32 v0, 0x3ff, v0
	s_lshl_b32 s0, s6, 6
	v_lshlrev_b32_e32 v1, 4, v1
	v_lshrrev_b32_e32 v2, 2, v0
	v_add3_u32 v8, s0, v1, v2
	s_waitcnt lgkmcnt(0)
	v_cmp_gt_i32_e32 vcc, s22, v8
	s_and_saveexec_b64 s[0:1], vcc
	s_cbranch_execz .LBB8_26
; %bb.1:
	s_load_dwordx4 s[0:3], s[4:5], 0x0
	s_load_dwordx2 s[16:17], s[4:5], 0x10
	s_mov_b64 s[6:7], -1
	s_mov_b64 s[18:19], -1
	s_waitcnt lgkmcnt(0)
	s_cmp_eq_u64 s[2:3], 0
	s_cbranch_scc1 .LBB8_3
; %bb.2:
	v_ashrrev_i32_e32 v1, 31, v8
	v_mov_b32_e32 v3, s3
	v_add_co_u32_e32 v2, vcc, s2, v8
	v_addc_co_u32_e32 v3, vcc, v3, v1, vcc
	global_load_ubyte v1, v[2:3], off
	s_waitcnt vmcnt(0)
	v_and_b32_e32 v1, 1, v1
	v_cmp_eq_u32_e32 vcc, 1, v1
	s_xor_b64 s[2:3], vcc, -1
	s_orn2_b64 s[18:19], s[2:3], exec
.LBB8_3:
	v_lshlrev_b32_e32 v2, 4, v8
	v_ashrrev_i32_e32 v3, 31, v2
	v_lshlrev_b64 v[2:3], 2, v[2:3]
	v_mov_b32_e32 v1, s1
	v_add_co_u32_e32 v2, vcc, s0, v2
	v_and_b32_e32 v9, 3, v0
	v_addc_co_u32_e32 v1, vcc, v1, v3, vcc
	v_lshlrev_b32_e32 v0, 4, v9
	v_add_co_u32_e32 v0, vcc, v2, v0
	v_addc_co_u32_e32 v1, vcc, 0, v1, vcc
	global_load_dwordx4 v[0:3], v[0:1], off
	v_mbcnt_lo_u32_b32 v4, -1, 0
	v_mbcnt_hi_u32_b32 v4, -1, v4
	v_and_b32_e32 v5, 0x7c, v4
	v_xor_b32_e32 v6, 2, v4
	v_add_u32_e32 v5, 4, v5
	v_cmp_lt_i32_e32 vcc, v6, v5
	v_cndmask_b32_e32 v6, v4, v6, vcc
	v_lshlrev_b32_e32 v10, 2, v6
	v_xor_b32_e32 v11, 1, v4
	v_cmp_lt_i32_e32 vcc, v11, v5
	v_cndmask_b32_e32 v4, v4, v11, vcc
	v_lshlrev_b32_e32 v11, 2, v4
	s_mov_b32 s0, 0x3fb8aa3b
	s_mov_b32 s1, 0xc2ce8ed0
	;; [unrolled: 1-line block ×3, first 2 shown]
	s_movk_i32 s8, 0x1f8
	s_waitcnt vmcnt(0)
	v_max_f32_e32 v6, v1, v1
	v_max_f32_e32 v7, v0, v0
	;; [unrolled: 1-line block ×3, first 2 shown]
	v_max3_f32 v6, v6, v2, v3
	ds_bpermute_b32 v7, v10, v6
	s_waitcnt lgkmcnt(0)
	v_max_f32_e32 v4, v7, v7
	v_max_f32_e32 v4, v6, v4
	ds_bpermute_b32 v5, v11, v4
	v_mov_b32_e32 v6, 0x7f800000
	s_waitcnt lgkmcnt(0)
	v_max_f32_e32 v5, v5, v5
	v_max_f32_e32 v4, v4, v5
	v_pk_add_f32 v[0:1], v[0:1], v[4:5] op_sel_hi:[1,0] neg_lo:[0,1] neg_hi:[0,1]
	v_sub_f32_e32 v2, v2, v4
	v_sub_f32_e32 v3, v3, v4
	v_mul_f32_e32 v4, 0x3fb8aa3b, v1
	v_mul_f32_e32 v5, 0x3fb8aa3b, v0
	v_fma_f32 v13, v1, s0, -v4
	v_rndne_f32_e32 v14, v4
	v_mul_f32_e32 v7, 0x3fb8aa3b, v2
	v_fma_f32 v15, v0, s0, -v5
	v_rndne_f32_e32 v16, v5
	v_fmac_f32_e32 v13, 0x32a5705f, v1
	v_sub_f32_e32 v4, v4, v14
	v_mul_f32_e32 v12, 0x3fb8aa3b, v3
	v_fma_f32 v17, v2, s0, -v7
	v_rndne_f32_e32 v18, v7
	v_fmac_f32_e32 v15, 0x32a5705f, v0
	v_sub_f32_e32 v5, v5, v16
	v_add_f32_e32 v4, v4, v13
	v_fma_f32 v19, v3, s0, -v12
	v_rndne_f32_e32 v20, v12
	v_cvt_i32_f32_e32 v14, v14
	v_fmac_f32_e32 v17, 0x32a5705f, v2
	v_sub_f32_e32 v7, v7, v18
	v_add_f32_e32 v5, v5, v15
	v_exp_f32_e32 v4, v4
	v_cvt_i32_f32_e32 v16, v16
	v_fmac_f32_e32 v19, 0x32a5705f, v3
	v_sub_f32_e32 v12, v12, v20
	v_add_f32_e32 v7, v7, v17
	v_exp_f32_e32 v5, v5
	v_cvt_i32_f32_e32 v18, v18
	v_add_f32_e32 v12, v12, v19
	v_exp_f32_e32 v7, v7
	v_cvt_i32_f32_e32 v20, v20
	v_exp_f32_e32 v12, v12
	v_ldexp_f32 v4, v4, v14
	v_cmp_ngt_f32_e32 vcc, s1, v1
	v_ldexp_f32 v5, v5, v16
	v_cndmask_b32_e32 v4, 0, v4, vcc
	v_cmp_ngt_f32_e32 vcc, s1, v0
	v_ldexp_f32 v7, v7, v18
	v_cndmask_b32_e32 v5, 0, v5, vcc
	;; [unrolled: 3-line block ×3, first 2 shown]
	v_cmp_ngt_f32_e32 vcc, s1, v3
	v_cndmask_b32_e32 v12, 0, v12, vcc
	v_cmp_nlt_f32_e32 vcc, s2, v1
	v_cndmask_b32_e32 v1, v6, v4, vcc
	v_cmp_nlt_f32_e32 vcc, s2, v0
	;; [unrolled: 2-line block ×4, first 2 shown]
	v_add_f32_e32 v4, v0, v1
	v_cndmask_b32_e32 v3, v6, v12, vcc
	v_add_f32_e32 v4, v4, v2
	v_add_f32_e32 v4, v4, v3
	ds_bpermute_b32 v5, v10, v4
	s_load_dwordx2 s[0:1], s[4:5], 0x40
	v_lshlrev_b32_e32 v12, 2, v9
	s_waitcnt lgkmcnt(0)
	v_add_f32_e32 v4, v4, v5
	ds_bpermute_b32 v5, v11, v4
	s_cmp_eq_u64 s[0:1], 0
	s_waitcnt lgkmcnt(0)
	v_add_f32_e32 v4, v4, v5
	v_div_scale_f32 v5, s[2:3], v4, v4, 1.0
	v_rcp_f32_e32 v6, v5
	v_div_scale_f32 v7, vcc, 1.0, v4, 1.0
	v_fma_f32 v13, -v5, v6, 1.0
	v_fmac_f32_e32 v6, v13, v6
	v_mul_f32_e32 v13, v7, v6
	v_fma_f32 v14, -v5, v13, v7
	v_fmac_f32_e32 v13, v14, v6
	v_fma_f32 v5, -v5, v13, v7
	v_div_fmas_f32 v5, v5, v6, v13
	v_div_fixup_f32 v4, v5, v4, 1.0
	v_mul_f32_e32 v0, v4, v0
	v_mul_f32_e32 v1, v4, v1
	v_cmp_class_f32_e64 vcc, v0, s8
	v_mul_f32_e32 v2, v4, v2
	v_cndmask_b32_e32 v0, 0, v0, vcc
	v_cmp_class_f32_e64 vcc, v1, s8
	v_mul_f32_e32 v3, v4, v3
	v_cndmask_b32_e32 v1, 0, v1, vcc
	v_cmp_class_f32_e64 vcc, v2, s8
	v_cndmask_b32_e32 v2, 0, v2, vcc
	v_cmp_class_f32_e64 vcc, v3, s8
	v_cndmask_b32_e32 v3, 0, v3, vcc
	s_cbranch_scc1 .LBB8_15
; %bb.4:
	v_lshlrev_b32_e32 v4, 2, v12
	global_load_dwordx4 v[4:7], v4, s[0:1]
	s_waitcnt vmcnt(0)
	v_pk_add_f32 v[4:5], v[4:5], v[0:1]
	v_pk_add_f32 v[6:7], v[6:7], v[2:3]
	s_cbranch_execnz .LBB8_6
.LBB8_5:
	v_pk_mov_b32 v[6:7], v[2:3], v[2:3] op_sel:[0,1]
	v_pk_mov_b32 v[4:5], v[0:1], v[0:1] op_sel:[0,1]
.LBB8_6:
	s_load_dwordx4 s[8:11], s[4:5], 0x30
	s_mov_b32 s23, 0
	v_cmp_eq_u32_e64 s[0:1], 0, v9
	s_waitcnt lgkmcnt(0)
	s_bitcmp1_b32 s11, 0
	s_cselect_b64 vcc, -1, 0
	s_cmp_gt_i32 s8, 0
	s_cselect_b64 s[20:21], -1, 0
	s_cmp_lt_i32 s8, 1
	s_cbranch_scc1 .LBB8_16
; %bb.7:
	s_load_dwordx4 s[12:15], s[4:5], 0x20
	v_mul_lo_u32 v14, v8, s8
	v_mov_b32_e32 v13, 0
	v_mov_b32_e32 v15, 0xc61c4000
	;; [unrolled: 1-line block ×3, first 2 shown]
	s_branch .LBB8_10
.LBB8_8:                                ;   in Loop: Header=BB8_10 Depth=1
	s_or_b64 exec, exec, s[4:5]
.LBB8_9:                                ;   in Loop: Header=BB8_10 Depth=1
	s_cmp_eq_u32 s8, s23
	v_add_u32_e32 v16, s22, v16
	s_cbranch_scc1 .LBB8_17
.LBB8_10:                               ; =>This Inner Loop Header: Depth=1
	v_cmp_gt_f32_e64 s[2:3], v5, v4
	v_cndmask_b32_e64 v17, v4, v5, s[2:3]
	v_cndmask_b32_e64 v18, v0, v1, s[2:3]
	s_waitcnt lgkmcnt(0)
	v_cndmask_b32_e64 v19, 0, 1, s[2:3]
	v_cmp_gt_f32_e64 s[2:3], v6, v17
	v_cndmask_b32_e64 v17, v17, v6, s[2:3]
	v_cndmask_b32_e64 v18, v18, v2, s[2:3]
	v_cndmask_b32_e64 v19, v19, 2, s[2:3]
	v_cmp_gt_f32_e64 s[2:3], v7, v17
	v_cndmask_b32_e64 v19, v19, 3, s[2:3]
	v_cndmask_b32_e64 v17, v17, v7, s[2:3]
	v_or_b32_e32 v19, v12, v19
	ds_bpermute_b32 v20, v10, v17
	ds_bpermute_b32 v21, v10, v19
	v_cndmask_b32_e64 v18, v18, v3, s[2:3]
	ds_bpermute_b32 v22, v10, v18
	s_waitcnt lgkmcnt(0)
	v_cmp_eq_f32_e64 s[4:5], v17, v20
	v_cmp_lt_i32_e64 s[6:7], v21, v19
	v_cmp_lt_f32_e64 s[2:3], v17, v20
	s_and_b64 s[4:5], s[4:5], s[6:7]
	s_or_b64 s[2:3], s[2:3], s[4:5]
	v_cndmask_b32_e64 v21, v19, v21, s[2:3]
	v_cndmask_b32_e64 v17, v17, v20, s[2:3]
	ds_bpermute_b32 v20, v11, v17
	ds_bpermute_b32 v23, v11, v21
	v_cndmask_b32_e64 v18, v18, v22, s[2:3]
	ds_bpermute_b32 v19, v11, v18
	s_waitcnt lgkmcnt(2)
	v_cmp_eq_f32_e64 s[4:5], v17, v20
	s_waitcnt lgkmcnt(1)
	v_cmp_lt_i32_e64 s[6:7], v23, v21
	v_cmp_lt_f32_e64 s[2:3], v17, v20
	s_and_b64 s[4:5], s[4:5], s[6:7]
	s_or_b64 s[2:3], s[2:3], s[4:5]
	v_cndmask_b32_e64 v17, v21, v23, s[2:3]
	s_and_saveexec_b64 s[6:7], s[0:1]
	s_cbranch_execnz .LBB8_12
; %bb.11:                               ;   in Loop: Header=BB8_10 Depth=1
	s_or_b64 exec, exec, s[6:7]
	s_add_i32 s23, s23, 1
	s_cmp_ge_i32 s23, s8
	s_cbranch_scc1 .LBB8_9
	s_branch .LBB8_13
.LBB8_12:                               ;   in Loop: Header=BB8_10 Depth=1
	s_waitcnt lgkmcnt(0)
	v_cndmask_b32_e64 v22, v18, v19, s[2:3]
	v_add_u32_e32 v18, s23, v14
	v_ashrrev_i32_e32 v19, 31, v18
	v_cmp_le_i32_e64 s[2:3], s9, v17
	v_cmp_gt_i32_e64 s[4:5], s10, v17
	v_lshlrev_b64 v[18:19], 2, v[18:19]
	s_and_b64 s[4:5], s[2:3], s[4:5]
	v_mov_b32_e32 v21, s17
	v_add_co_u32_e64 v20, s[2:3], s16, v18
	v_addc_co_u32_e64 v21, s[2:3], v21, v19, s[2:3]
	global_store_dword v[20:21], v22, off
	v_subrev_u32_e32 v20, s9, v17
	s_and_b64 s[2:3], s[18:19], s[4:5]
	v_cndmask_b32_e64 v23, 16, v20, s[2:3]
	v_mov_b32_e32 v21, s13
	v_add_co_u32_e64 v20, s[2:3], s12, v18
	v_addc_co_u32_e64 v21, s[2:3], v21, v19, s[2:3]
	global_store_dword v[20:21], v23, off
	v_mov_b32_e32 v20, s15
	v_add_co_u32_e64 v18, s[2:3], s14, v18
	v_addc_co_u32_e64 v19, s[2:3], v20, v19, s[2:3]
	global_store_dword v[18:19], v16, off
	v_add_f32_e32 v18, v13, v22
	v_cndmask_b32_e32 v13, v13, v18, vcc
	s_or_b64 exec, exec, s[6:7]
	s_add_i32 s23, s23, 1
	s_cmp_ge_i32 s23, s8
	s_cbranch_scc1 .LBB8_9
.LBB8_13:                               ;   in Loop: Header=BB8_10 Depth=1
	s_waitcnt lgkmcnt(0)
	v_ashrrev_i32_e32 v19, 31, v17
	v_lshrrev_b32_e32 v18, 30, v19
	v_add_u32_e32 v18, v17, v18
	v_ashrrev_i32_e32 v18, 2, v18
	v_lshrrev_b32_e32 v20, 30, v18
	v_add_u32_e32 v20, v18, v20
	v_and_b32_e32 v20, -4, v20
	v_sub_u32_e32 v20, v18, v20
	v_cmp_eq_u32_e64 s[2:3], v9, v20
	s_and_saveexec_b64 s[4:5], s[2:3]
	s_cbranch_execz .LBB8_8
; %bb.14:                               ;   in Loop: Header=BB8_10 Depth=1
	v_lshrrev_b32_e32 v19, 28, v19
	v_add_u32_e32 v19, v17, v19
	v_lshlrev_b32_e32 v18, 2, v18
	v_ashrrev_i32_e32 v19, 4, v19
	v_sub_u32_e32 v17, v17, v18
	v_lshl_add_u32 v17, v19, 2, v17
	v_cmp_ne_u32_e64 s[2:3], 3, v17
	v_cndmask_b32_e64 v7, v15, v7, s[2:3]
	v_cmp_ne_u32_e64 s[2:3], 2, v17
	v_cndmask_b32_e64 v6, v15, v6, s[2:3]
	;; [unrolled: 2-line block ×4, first 2 shown]
	s_branch .LBB8_8
.LBB8_15:
                                        ; implicit-def: $vgpr4_vgpr5_vgpr6_vgpr7
	s_andn2_b64 vcc, exec, s[6:7]
	s_cbranch_vccz .LBB8_5
	s_branch .LBB8_6
.LBB8_16:
	v_mov_b32_e32 v13, 0
.LBB8_17:
	v_cmp_eq_u32_e64 s[0:1], 0, v9
	s_and_b64 s[0:1], s[0:1], vcc
	s_and_b64 exec, exec, s[0:1]
	s_cbranch_execz .LBB8_26
; %bb.18:
	s_andn2_b64 vcc, exec, s[20:21]
	s_cbranch_vccnz .LBB8_26
; %bb.19:
	v_cmp_lt_f32_e32 vcc, 0, v13
	s_mov_b32 s2, 0
	v_cndmask_b32_e32 v0, 1.0, v13, vcc
	v_mul_lo_u32 v4, v8, s8
	s_cmp_eq_u32 s8, 1
	s_mov_b64 s[0:1], -1
	s_cbranch_scc1 .LBB8_23
; %bb.20:
	s_and_b32 s2, s8, 0x7ffffffe
	v_mov_b32_e32 v1, v0
	v_mov_b32_e32 v5, s17
	s_mov_b32 s3, s2
	v_mov_b32_e32 v2, v4
.LBB8_21:                               ; =>This Inner Loop Header: Depth=1
	v_ashrrev_i32_e32 v3, 31, v2
	v_lshlrev_b64 v[6:7], 2, v[2:3]
	v_add_co_u32_e32 v6, vcc, s16, v6
	v_addc_co_u32_e32 v7, vcc, v5, v7, vcc
	global_load_dwordx2 v[8:9], v[6:7], off
	s_add_i32 s3, s3, -2
	s_cmp_lg_u32 s3, 0
	v_add_u32_e32 v2, 2, v2
	s_waitcnt vmcnt(0)
	v_div_scale_f32 v3, s[0:1], v1, v1, v9
	v_div_scale_f32 v11, s[0:1], v0, v0, v8
	v_rcp_f32_e32 v12, v3
	v_rcp_f32_e32 v13, v11
	v_div_scale_f32 v10, vcc, v9, v1, v9
	v_fma_f32 v15, -v3, v12, 1.0
	v_fma_f32 v16, -v11, v13, 1.0
	v_fmac_f32_e32 v12, v15, v12
	v_div_scale_f32 v14, s[0:1], v8, v0, v8
	v_fmac_f32_e32 v13, v16, v13
	v_mul_f32_e32 v15, v10, v12
	v_mul_f32_e32 v16, v14, v13
	v_fma_f32 v17, -v3, v15, v10
	v_fma_f32 v18, -v11, v16, v14
	v_fmac_f32_e32 v15, v17, v12
	v_fmac_f32_e32 v16, v18, v13
	v_fma_f32 v3, -v3, v15, v10
	v_fma_f32 v10, -v11, v16, v14
	v_div_fmas_f32 v3, v3, v12, v15
	s_mov_b64 vcc, s[0:1]
	v_div_fixup_f32 v9, v3, v1, v9
	v_div_fmas_f32 v3, v10, v13, v16
	v_div_fixup_f32 v8, v3, v0, v8
	global_store_dwordx2 v[6:7], v[8:9], off
	s_cbranch_scc1 .LBB8_21
; %bb.22:
	s_cmp_lg_u32 s2, s8
	s_cselect_b64 s[0:1], -1, 0
.LBB8_23:
	s_and_b64 vcc, exec, s[0:1]
	s_cbranch_vccz .LBB8_26
; %bb.24:
	v_ashrrev_i32_e32 v1, 31, v4
	v_add_co_u32_e32 v2, vcc, s2, v4
	v_addc_co_u32_e32 v3, vcc, 0, v1, vcc
	v_lshlrev_b64 v[2:3], 2, v[2:3]
	v_mov_b32_e32 v1, s17
	v_add_co_u32_e32 v2, vcc, s16, v2
	s_sub_i32 s0, s8, s2
	v_addc_co_u32_e32 v3, vcc, v1, v3, vcc
.LBB8_25:                               ; =>This Inner Loop Header: Depth=1
	global_load_dword v1, v[2:3], off
	s_add_i32 s0, s0, -1
	s_cmp_lg_u32 s0, 0
	s_waitcnt vmcnt(0)
	v_div_scale_f32 v4, s[2:3], v0, v0, v1
	v_rcp_f32_e32 v5, v4
	v_div_scale_f32 v6, vcc, v1, v0, v1
	v_fma_f32 v7, -v4, v5, 1.0
	v_fmac_f32_e32 v5, v7, v5
	v_mul_f32_e32 v7, v6, v5
	v_fma_f32 v8, -v4, v7, v6
	v_fmac_f32_e32 v7, v8, v5
	v_fma_f32 v4, -v4, v7, v6
	v_div_fmas_f32 v4, v4, v5, v7
	v_div_fixup_f32 v1, v4, v0, v1
	global_store_dword v[2:3], v1, off
	v_add_co_u32_e32 v2, vcc, 4, v2
	v_addc_co_u32_e32 v3, vcc, 0, v3, vcc
	s_cbranch_scc1 .LBB8_25
.LBB8_26:
	s_endpgm
	.section	.rodata,"a",@progbits
	.p2align	6, 0x0
	.amdhsa_kernel _ZN4vllm3moe10topkGatingILi4ELi16ELi4ELi16ELi64EifLNS0_11ScoringFuncE0EEEvPKT5_PKbPfiPT4_PiiiibPKf
		.amdhsa_group_segment_fixed_size 0
		.amdhsa_private_segment_fixed_size 0
		.amdhsa_kernarg_size 72
		.amdhsa_user_sgpr_count 6
		.amdhsa_user_sgpr_private_segment_buffer 1
		.amdhsa_user_sgpr_dispatch_ptr 0
		.amdhsa_user_sgpr_queue_ptr 0
		.amdhsa_user_sgpr_kernarg_segment_ptr 1
		.amdhsa_user_sgpr_dispatch_id 0
		.amdhsa_user_sgpr_flat_scratch_init 0
		.amdhsa_user_sgpr_kernarg_preload_length 0
		.amdhsa_user_sgpr_kernarg_preload_offset 0
		.amdhsa_user_sgpr_private_segment_size 0
		.amdhsa_uses_dynamic_stack 0
		.amdhsa_system_sgpr_private_segment_wavefront_offset 0
		.amdhsa_system_sgpr_workgroup_id_x 1
		.amdhsa_system_sgpr_workgroup_id_y 0
		.amdhsa_system_sgpr_workgroup_id_z 0
		.amdhsa_system_sgpr_workgroup_info 0
		.amdhsa_system_vgpr_workitem_id 1
		.amdhsa_next_free_vgpr 24
		.amdhsa_next_free_sgpr 24
		.amdhsa_accum_offset 24
		.amdhsa_reserve_vcc 1
		.amdhsa_reserve_flat_scratch 0
		.amdhsa_float_round_mode_32 0
		.amdhsa_float_round_mode_16_64 0
		.amdhsa_float_denorm_mode_32 3
		.amdhsa_float_denorm_mode_16_64 3
		.amdhsa_dx10_clamp 1
		.amdhsa_ieee_mode 1
		.amdhsa_fp16_overflow 0
		.amdhsa_tg_split 0
		.amdhsa_exception_fp_ieee_invalid_op 0
		.amdhsa_exception_fp_denorm_src 0
		.amdhsa_exception_fp_ieee_div_zero 0
		.amdhsa_exception_fp_ieee_overflow 0
		.amdhsa_exception_fp_ieee_underflow 0
		.amdhsa_exception_fp_ieee_inexact 0
		.amdhsa_exception_int_div_zero 0
	.end_amdhsa_kernel
	.section	.text._ZN4vllm3moe10topkGatingILi4ELi16ELi4ELi16ELi64EifLNS0_11ScoringFuncE0EEEvPKT5_PKbPfiPT4_PiiiibPKf,"axG",@progbits,_ZN4vllm3moe10topkGatingILi4ELi16ELi4ELi16ELi64EifLNS0_11ScoringFuncE0EEEvPKT5_PKbPfiPT4_PiiiibPKf,comdat
.Lfunc_end8:
	.size	_ZN4vllm3moe10topkGatingILi4ELi16ELi4ELi16ELi64EifLNS0_11ScoringFuncE0EEEvPKT5_PKbPfiPT4_PiiiibPKf, .Lfunc_end8-_ZN4vllm3moe10topkGatingILi4ELi16ELi4ELi16ELi64EifLNS0_11ScoringFuncE0EEEvPKT5_PKbPfiPT4_PiiiibPKf
                                        ; -- End function
	.section	.AMDGPU.csdata,"",@progbits
; Kernel info:
; codeLenInByte = 2072
; NumSgprs: 28
; NumVgprs: 24
; NumAgprs: 0
; TotalNumVgprs: 24
; ScratchSize: 0
; MemoryBound: 0
; FloatMode: 240
; IeeeMode: 1
; LDSByteSize: 0 bytes/workgroup (compile time only)
; SGPRBlocks: 3
; VGPRBlocks: 2
; NumSGPRsForWavesPerEU: 28
; NumVGPRsForWavesPerEU: 24
; AccumOffset: 24
; Occupancy: 8
; WaveLimiterHint : 0
; COMPUTE_PGM_RSRC2:SCRATCH_EN: 0
; COMPUTE_PGM_RSRC2:USER_SGPR: 6
; COMPUTE_PGM_RSRC2:TRAP_HANDLER: 0
; COMPUTE_PGM_RSRC2:TGID_X_EN: 1
; COMPUTE_PGM_RSRC2:TGID_Y_EN: 0
; COMPUTE_PGM_RSRC2:TGID_Z_EN: 0
; COMPUTE_PGM_RSRC2:TIDIG_COMP_CNT: 1
; COMPUTE_PGM_RSRC3_GFX90A:ACCUM_OFFSET: 5
; COMPUTE_PGM_RSRC3_GFX90A:TG_SPLIT: 0
	.section	.text._ZN4vllm3moe10topkGatingILi4ELi16ELi4ELi16ELi32EifLNS0_11ScoringFuncE0EEEvPKT5_PKbPfiPT4_PiiiibPKf,"axG",@progbits,_ZN4vllm3moe10topkGatingILi4ELi16ELi4ELi16ELi32EifLNS0_11ScoringFuncE0EEEvPKT5_PKbPfiPT4_PiiiibPKf,comdat
	.protected	_ZN4vllm3moe10topkGatingILi4ELi16ELi4ELi16ELi32EifLNS0_11ScoringFuncE0EEEvPKT5_PKbPfiPT4_PiiiibPKf ; -- Begin function _ZN4vllm3moe10topkGatingILi4ELi16ELi4ELi16ELi32EifLNS0_11ScoringFuncE0EEEvPKT5_PKbPfiPT4_PiiiibPKf
	.globl	_ZN4vllm3moe10topkGatingILi4ELi16ELi4ELi16ELi32EifLNS0_11ScoringFuncE0EEEvPKT5_PKbPfiPT4_PiiiibPKf
	.p2align	8
	.type	_ZN4vllm3moe10topkGatingILi4ELi16ELi4ELi16ELi32EifLNS0_11ScoringFuncE0EEEvPKT5_PKbPfiPT4_PiiiibPKf,@function
_ZN4vllm3moe10topkGatingILi4ELi16ELi4ELi16ELi32EifLNS0_11ScoringFuncE0EEEvPKT5_PKbPfiPT4_PiiiibPKf: ; @_ZN4vllm3moe10topkGatingILi4ELi16ELi4ELi16ELi32EifLNS0_11ScoringFuncE0EEEvPKT5_PKbPfiPT4_PiiiibPKf
; %bb.0:
	s_load_dword s22, s[4:5], 0x18
	v_bfe_u32 v1, v0, 10, 10
	v_and_b32_e32 v0, 0x3ff, v0
	s_lshl_b32 s0, s6, 5
	v_lshlrev_b32_e32 v1, 3, v1
	v_lshrrev_b32_e32 v2, 2, v0
	v_add3_u32 v8, s0, v1, v2
	s_waitcnt lgkmcnt(0)
	v_cmp_gt_i32_e32 vcc, s22, v8
	s_and_saveexec_b64 s[0:1], vcc
	s_cbranch_execz .LBB9_26
; %bb.1:
	s_load_dwordx4 s[0:3], s[4:5], 0x0
	s_load_dwordx2 s[16:17], s[4:5], 0x10
	s_mov_b64 s[6:7], -1
	s_mov_b64 s[18:19], -1
	s_waitcnt lgkmcnt(0)
	s_cmp_eq_u64 s[2:3], 0
	s_cbranch_scc1 .LBB9_3
; %bb.2:
	v_ashrrev_i32_e32 v1, 31, v8
	v_mov_b32_e32 v3, s3
	v_add_co_u32_e32 v2, vcc, s2, v8
	v_addc_co_u32_e32 v3, vcc, v3, v1, vcc
	global_load_ubyte v1, v[2:3], off
	s_waitcnt vmcnt(0)
	v_and_b32_e32 v1, 1, v1
	v_cmp_eq_u32_e32 vcc, 1, v1
	s_xor_b64 s[2:3], vcc, -1
	s_orn2_b64 s[18:19], s[2:3], exec
.LBB9_3:
	v_lshlrev_b32_e32 v2, 4, v8
	v_ashrrev_i32_e32 v3, 31, v2
	v_lshlrev_b64 v[2:3], 2, v[2:3]
	v_mov_b32_e32 v1, s1
	v_add_co_u32_e32 v2, vcc, s0, v2
	v_and_b32_e32 v9, 3, v0
	v_addc_co_u32_e32 v1, vcc, v1, v3, vcc
	v_lshlrev_b32_e32 v0, 4, v9
	v_add_co_u32_e32 v0, vcc, v2, v0
	v_addc_co_u32_e32 v1, vcc, 0, v1, vcc
	global_load_dwordx4 v[0:3], v[0:1], off
	v_mbcnt_lo_u32_b32 v4, -1, 0
	v_mbcnt_hi_u32_b32 v4, -1, v4
	v_and_b32_e32 v5, 0x7c, v4
	v_xor_b32_e32 v6, 2, v4
	v_add_u32_e32 v5, 4, v5
	v_cmp_lt_i32_e32 vcc, v6, v5
	v_cndmask_b32_e32 v6, v4, v6, vcc
	v_lshlrev_b32_e32 v10, 2, v6
	v_xor_b32_e32 v11, 1, v4
	v_cmp_lt_i32_e32 vcc, v11, v5
	v_cndmask_b32_e32 v4, v4, v11, vcc
	v_lshlrev_b32_e32 v11, 2, v4
	s_mov_b32 s0, 0x3fb8aa3b
	s_mov_b32 s1, 0xc2ce8ed0
	;; [unrolled: 1-line block ×3, first 2 shown]
	s_movk_i32 s8, 0x1f8
	s_waitcnt vmcnt(0)
	v_max_f32_e32 v6, v1, v1
	v_max_f32_e32 v7, v0, v0
	;; [unrolled: 1-line block ×3, first 2 shown]
	v_max3_f32 v6, v6, v2, v3
	ds_bpermute_b32 v7, v10, v6
	s_waitcnt lgkmcnt(0)
	v_max_f32_e32 v4, v7, v7
	v_max_f32_e32 v4, v6, v4
	ds_bpermute_b32 v5, v11, v4
	v_mov_b32_e32 v6, 0x7f800000
	s_waitcnt lgkmcnt(0)
	v_max_f32_e32 v5, v5, v5
	v_max_f32_e32 v4, v4, v5
	v_pk_add_f32 v[0:1], v[0:1], v[4:5] op_sel_hi:[1,0] neg_lo:[0,1] neg_hi:[0,1]
	v_sub_f32_e32 v2, v2, v4
	v_sub_f32_e32 v3, v3, v4
	v_mul_f32_e32 v4, 0x3fb8aa3b, v1
	v_mul_f32_e32 v5, 0x3fb8aa3b, v0
	v_fma_f32 v13, v1, s0, -v4
	v_rndne_f32_e32 v14, v4
	v_mul_f32_e32 v7, 0x3fb8aa3b, v2
	v_fma_f32 v15, v0, s0, -v5
	v_rndne_f32_e32 v16, v5
	v_fmac_f32_e32 v13, 0x32a5705f, v1
	v_sub_f32_e32 v4, v4, v14
	v_mul_f32_e32 v12, 0x3fb8aa3b, v3
	v_fma_f32 v17, v2, s0, -v7
	v_rndne_f32_e32 v18, v7
	v_fmac_f32_e32 v15, 0x32a5705f, v0
	v_sub_f32_e32 v5, v5, v16
	v_add_f32_e32 v4, v4, v13
	v_fma_f32 v19, v3, s0, -v12
	v_rndne_f32_e32 v20, v12
	v_cvt_i32_f32_e32 v14, v14
	v_fmac_f32_e32 v17, 0x32a5705f, v2
	v_sub_f32_e32 v7, v7, v18
	v_add_f32_e32 v5, v5, v15
	v_exp_f32_e32 v4, v4
	v_cvt_i32_f32_e32 v16, v16
	v_fmac_f32_e32 v19, 0x32a5705f, v3
	v_sub_f32_e32 v12, v12, v20
	v_add_f32_e32 v7, v7, v17
	v_exp_f32_e32 v5, v5
	v_cvt_i32_f32_e32 v18, v18
	v_add_f32_e32 v12, v12, v19
	v_exp_f32_e32 v7, v7
	v_cvt_i32_f32_e32 v20, v20
	v_exp_f32_e32 v12, v12
	v_ldexp_f32 v4, v4, v14
	v_cmp_ngt_f32_e32 vcc, s1, v1
	v_ldexp_f32 v5, v5, v16
	v_cndmask_b32_e32 v4, 0, v4, vcc
	v_cmp_ngt_f32_e32 vcc, s1, v0
	v_ldexp_f32 v7, v7, v18
	v_cndmask_b32_e32 v5, 0, v5, vcc
	;; [unrolled: 3-line block ×3, first 2 shown]
	v_cmp_ngt_f32_e32 vcc, s1, v3
	v_cndmask_b32_e32 v12, 0, v12, vcc
	v_cmp_nlt_f32_e32 vcc, s2, v1
	v_cndmask_b32_e32 v1, v6, v4, vcc
	v_cmp_nlt_f32_e32 vcc, s2, v0
	v_cndmask_b32_e32 v0, v6, v5, vcc
	v_cmp_nlt_f32_e32 vcc, s2, v2
	v_cndmask_b32_e32 v2, v6, v7, vcc
	v_cmp_nlt_f32_e32 vcc, s2, v3
	v_add_f32_e32 v4, v0, v1
	v_cndmask_b32_e32 v3, v6, v12, vcc
	v_add_f32_e32 v4, v4, v2
	v_add_f32_e32 v4, v4, v3
	ds_bpermute_b32 v5, v10, v4
	s_load_dwordx2 s[0:1], s[4:5], 0x40
	v_lshlrev_b32_e32 v12, 2, v9
	s_waitcnt lgkmcnt(0)
	v_add_f32_e32 v4, v4, v5
	ds_bpermute_b32 v5, v11, v4
	s_cmp_eq_u64 s[0:1], 0
	s_waitcnt lgkmcnt(0)
	v_add_f32_e32 v4, v4, v5
	v_div_scale_f32 v5, s[2:3], v4, v4, 1.0
	v_rcp_f32_e32 v6, v5
	v_div_scale_f32 v7, vcc, 1.0, v4, 1.0
	v_fma_f32 v13, -v5, v6, 1.0
	v_fmac_f32_e32 v6, v13, v6
	v_mul_f32_e32 v13, v7, v6
	v_fma_f32 v14, -v5, v13, v7
	v_fmac_f32_e32 v13, v14, v6
	v_fma_f32 v5, -v5, v13, v7
	v_div_fmas_f32 v5, v5, v6, v13
	v_div_fixup_f32 v4, v5, v4, 1.0
	v_mul_f32_e32 v0, v4, v0
	v_mul_f32_e32 v1, v4, v1
	v_cmp_class_f32_e64 vcc, v0, s8
	v_mul_f32_e32 v2, v4, v2
	v_cndmask_b32_e32 v0, 0, v0, vcc
	v_cmp_class_f32_e64 vcc, v1, s8
	v_mul_f32_e32 v3, v4, v3
	v_cndmask_b32_e32 v1, 0, v1, vcc
	v_cmp_class_f32_e64 vcc, v2, s8
	v_cndmask_b32_e32 v2, 0, v2, vcc
	v_cmp_class_f32_e64 vcc, v3, s8
	v_cndmask_b32_e32 v3, 0, v3, vcc
	s_cbranch_scc1 .LBB9_15
; %bb.4:
	v_lshlrev_b32_e32 v4, 2, v12
	global_load_dwordx4 v[4:7], v4, s[0:1]
	s_waitcnt vmcnt(0)
	v_pk_add_f32 v[4:5], v[4:5], v[0:1]
	v_pk_add_f32 v[6:7], v[6:7], v[2:3]
	s_cbranch_execnz .LBB9_6
.LBB9_5:
	v_pk_mov_b32 v[6:7], v[2:3], v[2:3] op_sel:[0,1]
	v_pk_mov_b32 v[4:5], v[0:1], v[0:1] op_sel:[0,1]
.LBB9_6:
	s_load_dwordx4 s[8:11], s[4:5], 0x30
	s_mov_b32 s23, 0
	v_cmp_eq_u32_e64 s[0:1], 0, v9
	s_waitcnt lgkmcnt(0)
	s_bitcmp1_b32 s11, 0
	s_cselect_b64 vcc, -1, 0
	s_cmp_gt_i32 s8, 0
	s_cselect_b64 s[20:21], -1, 0
	s_cmp_lt_i32 s8, 1
	s_cbranch_scc1 .LBB9_16
; %bb.7:
	s_load_dwordx4 s[12:15], s[4:5], 0x20
	v_mul_lo_u32 v14, v8, s8
	v_mov_b32_e32 v13, 0
	v_mov_b32_e32 v15, 0xc61c4000
	;; [unrolled: 1-line block ×3, first 2 shown]
	s_branch .LBB9_10
.LBB9_8:                                ;   in Loop: Header=BB9_10 Depth=1
	s_or_b64 exec, exec, s[4:5]
.LBB9_9:                                ;   in Loop: Header=BB9_10 Depth=1
	s_cmp_eq_u32 s8, s23
	v_add_u32_e32 v16, s22, v16
	s_cbranch_scc1 .LBB9_17
.LBB9_10:                               ; =>This Inner Loop Header: Depth=1
	v_cmp_gt_f32_e64 s[2:3], v5, v4
	v_cndmask_b32_e64 v17, v4, v5, s[2:3]
	v_cndmask_b32_e64 v18, v0, v1, s[2:3]
	s_waitcnt lgkmcnt(0)
	v_cndmask_b32_e64 v19, 0, 1, s[2:3]
	v_cmp_gt_f32_e64 s[2:3], v6, v17
	v_cndmask_b32_e64 v17, v17, v6, s[2:3]
	v_cndmask_b32_e64 v18, v18, v2, s[2:3]
	;; [unrolled: 1-line block ×3, first 2 shown]
	v_cmp_gt_f32_e64 s[2:3], v7, v17
	v_cndmask_b32_e64 v19, v19, 3, s[2:3]
	v_cndmask_b32_e64 v17, v17, v7, s[2:3]
	v_or_b32_e32 v19, v12, v19
	ds_bpermute_b32 v20, v10, v17
	ds_bpermute_b32 v21, v10, v19
	v_cndmask_b32_e64 v18, v18, v3, s[2:3]
	ds_bpermute_b32 v22, v10, v18
	s_waitcnt lgkmcnt(0)
	v_cmp_eq_f32_e64 s[4:5], v17, v20
	v_cmp_lt_i32_e64 s[6:7], v21, v19
	v_cmp_lt_f32_e64 s[2:3], v17, v20
	s_and_b64 s[4:5], s[4:5], s[6:7]
	s_or_b64 s[2:3], s[2:3], s[4:5]
	v_cndmask_b32_e64 v21, v19, v21, s[2:3]
	v_cndmask_b32_e64 v17, v17, v20, s[2:3]
	ds_bpermute_b32 v20, v11, v17
	ds_bpermute_b32 v23, v11, v21
	v_cndmask_b32_e64 v18, v18, v22, s[2:3]
	ds_bpermute_b32 v19, v11, v18
	s_waitcnt lgkmcnt(2)
	v_cmp_eq_f32_e64 s[4:5], v17, v20
	s_waitcnt lgkmcnt(1)
	v_cmp_lt_i32_e64 s[6:7], v23, v21
	v_cmp_lt_f32_e64 s[2:3], v17, v20
	s_and_b64 s[4:5], s[4:5], s[6:7]
	s_or_b64 s[2:3], s[2:3], s[4:5]
	v_cndmask_b32_e64 v17, v21, v23, s[2:3]
	s_and_saveexec_b64 s[6:7], s[0:1]
	s_cbranch_execnz .LBB9_12
; %bb.11:                               ;   in Loop: Header=BB9_10 Depth=1
	s_or_b64 exec, exec, s[6:7]
	s_add_i32 s23, s23, 1
	s_cmp_ge_i32 s23, s8
	s_cbranch_scc1 .LBB9_9
	s_branch .LBB9_13
.LBB9_12:                               ;   in Loop: Header=BB9_10 Depth=1
	s_waitcnt lgkmcnt(0)
	v_cndmask_b32_e64 v22, v18, v19, s[2:3]
	v_add_u32_e32 v18, s23, v14
	v_ashrrev_i32_e32 v19, 31, v18
	v_cmp_le_i32_e64 s[2:3], s9, v17
	v_cmp_gt_i32_e64 s[4:5], s10, v17
	v_lshlrev_b64 v[18:19], 2, v[18:19]
	s_and_b64 s[4:5], s[2:3], s[4:5]
	v_mov_b32_e32 v21, s17
	v_add_co_u32_e64 v20, s[2:3], s16, v18
	v_addc_co_u32_e64 v21, s[2:3], v21, v19, s[2:3]
	global_store_dword v[20:21], v22, off
	v_subrev_u32_e32 v20, s9, v17
	s_and_b64 s[2:3], s[18:19], s[4:5]
	v_cndmask_b32_e64 v23, 16, v20, s[2:3]
	v_mov_b32_e32 v21, s13
	v_add_co_u32_e64 v20, s[2:3], s12, v18
	v_addc_co_u32_e64 v21, s[2:3], v21, v19, s[2:3]
	global_store_dword v[20:21], v23, off
	v_mov_b32_e32 v20, s15
	v_add_co_u32_e64 v18, s[2:3], s14, v18
	v_addc_co_u32_e64 v19, s[2:3], v20, v19, s[2:3]
	global_store_dword v[18:19], v16, off
	v_add_f32_e32 v18, v13, v22
	v_cndmask_b32_e32 v13, v13, v18, vcc
	s_or_b64 exec, exec, s[6:7]
	s_add_i32 s23, s23, 1
	s_cmp_ge_i32 s23, s8
	s_cbranch_scc1 .LBB9_9
.LBB9_13:                               ;   in Loop: Header=BB9_10 Depth=1
	s_waitcnt lgkmcnt(0)
	v_ashrrev_i32_e32 v19, 31, v17
	v_lshrrev_b32_e32 v18, 30, v19
	v_add_u32_e32 v18, v17, v18
	v_ashrrev_i32_e32 v18, 2, v18
	v_lshrrev_b32_e32 v20, 30, v18
	v_add_u32_e32 v20, v18, v20
	v_and_b32_e32 v20, -4, v20
	v_sub_u32_e32 v20, v18, v20
	v_cmp_eq_u32_e64 s[2:3], v9, v20
	s_and_saveexec_b64 s[4:5], s[2:3]
	s_cbranch_execz .LBB9_8
; %bb.14:                               ;   in Loop: Header=BB9_10 Depth=1
	v_lshrrev_b32_e32 v19, 28, v19
	v_add_u32_e32 v19, v17, v19
	v_lshlrev_b32_e32 v18, 2, v18
	v_ashrrev_i32_e32 v19, 4, v19
	v_sub_u32_e32 v17, v17, v18
	v_lshl_add_u32 v17, v19, 2, v17
	v_cmp_ne_u32_e64 s[2:3], 3, v17
	v_cndmask_b32_e64 v7, v15, v7, s[2:3]
	v_cmp_ne_u32_e64 s[2:3], 2, v17
	v_cndmask_b32_e64 v6, v15, v6, s[2:3]
	v_cmp_ne_u32_e64 s[2:3], 1, v17
	v_cndmask_b32_e64 v5, v15, v5, s[2:3]
	v_cmp_ne_u32_e64 s[2:3], 0, v17
	v_cndmask_b32_e64 v4, v15, v4, s[2:3]
	s_branch .LBB9_8
.LBB9_15:
                                        ; implicit-def: $vgpr4_vgpr5_vgpr6_vgpr7
	s_andn2_b64 vcc, exec, s[6:7]
	s_cbranch_vccz .LBB9_5
	s_branch .LBB9_6
.LBB9_16:
	v_mov_b32_e32 v13, 0
.LBB9_17:
	v_cmp_eq_u32_e64 s[0:1], 0, v9
	s_and_b64 s[0:1], s[0:1], vcc
	s_and_b64 exec, exec, s[0:1]
	s_cbranch_execz .LBB9_26
; %bb.18:
	s_andn2_b64 vcc, exec, s[20:21]
	s_cbranch_vccnz .LBB9_26
; %bb.19:
	v_cmp_lt_f32_e32 vcc, 0, v13
	s_mov_b32 s2, 0
	v_cndmask_b32_e32 v0, 1.0, v13, vcc
	v_mul_lo_u32 v4, v8, s8
	s_cmp_eq_u32 s8, 1
	s_mov_b64 s[0:1], -1
	s_cbranch_scc1 .LBB9_23
; %bb.20:
	s_and_b32 s2, s8, 0x7ffffffe
	v_mov_b32_e32 v1, v0
	v_mov_b32_e32 v5, s17
	s_mov_b32 s3, s2
	v_mov_b32_e32 v2, v4
.LBB9_21:                               ; =>This Inner Loop Header: Depth=1
	v_ashrrev_i32_e32 v3, 31, v2
	v_lshlrev_b64 v[6:7], 2, v[2:3]
	v_add_co_u32_e32 v6, vcc, s16, v6
	v_addc_co_u32_e32 v7, vcc, v5, v7, vcc
	global_load_dwordx2 v[8:9], v[6:7], off
	s_add_i32 s3, s3, -2
	s_cmp_lg_u32 s3, 0
	v_add_u32_e32 v2, 2, v2
	s_waitcnt vmcnt(0)
	v_div_scale_f32 v3, s[0:1], v1, v1, v9
	v_div_scale_f32 v11, s[0:1], v0, v0, v8
	v_rcp_f32_e32 v12, v3
	v_rcp_f32_e32 v13, v11
	v_div_scale_f32 v10, vcc, v9, v1, v9
	v_fma_f32 v15, -v3, v12, 1.0
	v_fma_f32 v16, -v11, v13, 1.0
	v_fmac_f32_e32 v12, v15, v12
	v_div_scale_f32 v14, s[0:1], v8, v0, v8
	v_fmac_f32_e32 v13, v16, v13
	v_mul_f32_e32 v15, v10, v12
	v_mul_f32_e32 v16, v14, v13
	v_fma_f32 v17, -v3, v15, v10
	v_fma_f32 v18, -v11, v16, v14
	v_fmac_f32_e32 v15, v17, v12
	v_fmac_f32_e32 v16, v18, v13
	v_fma_f32 v3, -v3, v15, v10
	v_fma_f32 v10, -v11, v16, v14
	v_div_fmas_f32 v3, v3, v12, v15
	s_mov_b64 vcc, s[0:1]
	v_div_fixup_f32 v9, v3, v1, v9
	v_div_fmas_f32 v3, v10, v13, v16
	v_div_fixup_f32 v8, v3, v0, v8
	global_store_dwordx2 v[6:7], v[8:9], off
	s_cbranch_scc1 .LBB9_21
; %bb.22:
	s_cmp_lg_u32 s2, s8
	s_cselect_b64 s[0:1], -1, 0
.LBB9_23:
	s_and_b64 vcc, exec, s[0:1]
	s_cbranch_vccz .LBB9_26
; %bb.24:
	v_ashrrev_i32_e32 v1, 31, v4
	v_add_co_u32_e32 v2, vcc, s2, v4
	v_addc_co_u32_e32 v3, vcc, 0, v1, vcc
	v_lshlrev_b64 v[2:3], 2, v[2:3]
	v_mov_b32_e32 v1, s17
	v_add_co_u32_e32 v2, vcc, s16, v2
	s_sub_i32 s0, s8, s2
	v_addc_co_u32_e32 v3, vcc, v1, v3, vcc
.LBB9_25:                               ; =>This Inner Loop Header: Depth=1
	global_load_dword v1, v[2:3], off
	s_add_i32 s0, s0, -1
	s_cmp_lg_u32 s0, 0
	s_waitcnt vmcnt(0)
	v_div_scale_f32 v4, s[2:3], v0, v0, v1
	v_rcp_f32_e32 v5, v4
	v_div_scale_f32 v6, vcc, v1, v0, v1
	v_fma_f32 v7, -v4, v5, 1.0
	v_fmac_f32_e32 v5, v7, v5
	v_mul_f32_e32 v7, v6, v5
	v_fma_f32 v8, -v4, v7, v6
	v_fmac_f32_e32 v7, v8, v5
	v_fma_f32 v4, -v4, v7, v6
	v_div_fmas_f32 v4, v4, v5, v7
	v_div_fixup_f32 v1, v4, v0, v1
	global_store_dword v[2:3], v1, off
	v_add_co_u32_e32 v2, vcc, 4, v2
	v_addc_co_u32_e32 v3, vcc, 0, v3, vcc
	s_cbranch_scc1 .LBB9_25
.LBB9_26:
	s_endpgm
	.section	.rodata,"a",@progbits
	.p2align	6, 0x0
	.amdhsa_kernel _ZN4vllm3moe10topkGatingILi4ELi16ELi4ELi16ELi32EifLNS0_11ScoringFuncE0EEEvPKT5_PKbPfiPT4_PiiiibPKf
		.amdhsa_group_segment_fixed_size 0
		.amdhsa_private_segment_fixed_size 0
		.amdhsa_kernarg_size 72
		.amdhsa_user_sgpr_count 6
		.amdhsa_user_sgpr_private_segment_buffer 1
		.amdhsa_user_sgpr_dispatch_ptr 0
		.amdhsa_user_sgpr_queue_ptr 0
		.amdhsa_user_sgpr_kernarg_segment_ptr 1
		.amdhsa_user_sgpr_dispatch_id 0
		.amdhsa_user_sgpr_flat_scratch_init 0
		.amdhsa_user_sgpr_kernarg_preload_length 0
		.amdhsa_user_sgpr_kernarg_preload_offset 0
		.amdhsa_user_sgpr_private_segment_size 0
		.amdhsa_uses_dynamic_stack 0
		.amdhsa_system_sgpr_private_segment_wavefront_offset 0
		.amdhsa_system_sgpr_workgroup_id_x 1
		.amdhsa_system_sgpr_workgroup_id_y 0
		.amdhsa_system_sgpr_workgroup_id_z 0
		.amdhsa_system_sgpr_workgroup_info 0
		.amdhsa_system_vgpr_workitem_id 1
		.amdhsa_next_free_vgpr 24
		.amdhsa_next_free_sgpr 24
		.amdhsa_accum_offset 24
		.amdhsa_reserve_vcc 1
		.amdhsa_reserve_flat_scratch 0
		.amdhsa_float_round_mode_32 0
		.amdhsa_float_round_mode_16_64 0
		.amdhsa_float_denorm_mode_32 3
		.amdhsa_float_denorm_mode_16_64 3
		.amdhsa_dx10_clamp 1
		.amdhsa_ieee_mode 1
		.amdhsa_fp16_overflow 0
		.amdhsa_tg_split 0
		.amdhsa_exception_fp_ieee_invalid_op 0
		.amdhsa_exception_fp_denorm_src 0
		.amdhsa_exception_fp_ieee_div_zero 0
		.amdhsa_exception_fp_ieee_overflow 0
		.amdhsa_exception_fp_ieee_underflow 0
		.amdhsa_exception_fp_ieee_inexact 0
		.amdhsa_exception_int_div_zero 0
	.end_amdhsa_kernel
	.section	.text._ZN4vllm3moe10topkGatingILi4ELi16ELi4ELi16ELi32EifLNS0_11ScoringFuncE0EEEvPKT5_PKbPfiPT4_PiiiibPKf,"axG",@progbits,_ZN4vllm3moe10topkGatingILi4ELi16ELi4ELi16ELi32EifLNS0_11ScoringFuncE0EEEvPKT5_PKbPfiPT4_PiiiibPKf,comdat
.Lfunc_end9:
	.size	_ZN4vllm3moe10topkGatingILi4ELi16ELi4ELi16ELi32EifLNS0_11ScoringFuncE0EEEvPKT5_PKbPfiPT4_PiiiibPKf, .Lfunc_end9-_ZN4vllm3moe10topkGatingILi4ELi16ELi4ELi16ELi32EifLNS0_11ScoringFuncE0EEEvPKT5_PKbPfiPT4_PiiiibPKf
                                        ; -- End function
	.section	.AMDGPU.csdata,"",@progbits
; Kernel info:
; codeLenInByte = 2072
; NumSgprs: 28
; NumVgprs: 24
; NumAgprs: 0
; TotalNumVgprs: 24
; ScratchSize: 0
; MemoryBound: 0
; FloatMode: 240
; IeeeMode: 1
; LDSByteSize: 0 bytes/workgroup (compile time only)
; SGPRBlocks: 3
; VGPRBlocks: 2
; NumSGPRsForWavesPerEU: 28
; NumVGPRsForWavesPerEU: 24
; AccumOffset: 24
; Occupancy: 8
; WaveLimiterHint : 0
; COMPUTE_PGM_RSRC2:SCRATCH_EN: 0
; COMPUTE_PGM_RSRC2:USER_SGPR: 6
; COMPUTE_PGM_RSRC2:TRAP_HANDLER: 0
; COMPUTE_PGM_RSRC2:TGID_X_EN: 1
; COMPUTE_PGM_RSRC2:TGID_Y_EN: 0
; COMPUTE_PGM_RSRC2:TGID_Z_EN: 0
; COMPUTE_PGM_RSRC2:TIDIG_COMP_CNT: 1
; COMPUTE_PGM_RSRC3_GFX90A:ACCUM_OFFSET: 5
; COMPUTE_PGM_RSRC3_GFX90A:TG_SPLIT: 0
	.section	.text._ZN4vllm3moe10topkGatingILi4ELi32ELi4ELi16ELi64EifLNS0_11ScoringFuncE0EEEvPKT5_PKbPfiPT4_PiiiibPKf,"axG",@progbits,_ZN4vllm3moe10topkGatingILi4ELi32ELi4ELi16ELi64EifLNS0_11ScoringFuncE0EEEvPKT5_PKbPfiPT4_PiiiibPKf,comdat
	.protected	_ZN4vllm3moe10topkGatingILi4ELi32ELi4ELi16ELi64EifLNS0_11ScoringFuncE0EEEvPKT5_PKbPfiPT4_PiiiibPKf ; -- Begin function _ZN4vllm3moe10topkGatingILi4ELi32ELi4ELi16ELi64EifLNS0_11ScoringFuncE0EEEvPKT5_PKbPfiPT4_PiiiibPKf
	.globl	_ZN4vllm3moe10topkGatingILi4ELi32ELi4ELi16ELi64EifLNS0_11ScoringFuncE0EEEvPKT5_PKbPfiPT4_PiiiibPKf
	.p2align	8
	.type	_ZN4vllm3moe10topkGatingILi4ELi32ELi4ELi16ELi64EifLNS0_11ScoringFuncE0EEEvPKT5_PKbPfiPT4_PiiiibPKf,@function
_ZN4vllm3moe10topkGatingILi4ELi32ELi4ELi16ELi64EifLNS0_11ScoringFuncE0EEEvPKT5_PKbPfiPT4_PiiiibPKf: ; @_ZN4vllm3moe10topkGatingILi4ELi32ELi4ELi16ELi64EifLNS0_11ScoringFuncE0EEEvPKT5_PKbPfiPT4_PiiiibPKf
; %bb.0:
	s_load_dword s24, s[4:5], 0x18
	v_bfe_u32 v1, v0, 10, 10
	v_and_b32_e32 v0, 0x3ff, v0
	s_lshl_b32 s0, s6, 5
	v_lshlrev_b32_e32 v1, 3, v1
	v_lshrrev_b32_e32 v2, 3, v0
	v_add3_u32 v9, s0, v1, v2
	s_waitcnt lgkmcnt(0)
	v_cmp_gt_i32_e32 vcc, s24, v9
	s_and_saveexec_b64 s[0:1], vcc
	s_cbranch_execz .LBB10_30
; %bb.1:
	s_load_dwordx4 s[0:3], s[4:5], 0x0
	s_load_dwordx2 s[16:17], s[4:5], 0x10
	s_mov_b64 s[6:7], -1
	s_mov_b64 s[18:19], -1
	s_waitcnt lgkmcnt(0)
	s_cmp_eq_u64 s[2:3], 0
	s_cbranch_scc1 .LBB10_3
; %bb.2:
	v_ashrrev_i32_e32 v1, 31, v9
	v_mov_b32_e32 v3, s3
	v_add_co_u32_e32 v2, vcc, s2, v9
	v_addc_co_u32_e32 v3, vcc, v3, v1, vcc
	global_load_ubyte v1, v[2:3], off
	s_waitcnt vmcnt(0)
	v_and_b32_e32 v1, 1, v1
	v_cmp_eq_u32_e32 vcc, 1, v1
	s_xor_b64 s[2:3], vcc, -1
	s_orn2_b64 s[18:19], s[2:3], exec
.LBB10_3:
	v_lshlrev_b32_e32 v2, 5, v9
	v_ashrrev_i32_e32 v3, 31, v2
	v_lshlrev_b64 v[2:3], 2, v[2:3]
	v_mov_b32_e32 v1, s1
	v_add_co_u32_e32 v2, vcc, s0, v2
	v_and_b32_e32 v13, 7, v0
	v_addc_co_u32_e32 v1, vcc, v1, v3, vcc
	v_lshlrev_b32_e32 v0, 4, v13
	v_add_co_u32_e32 v0, vcc, v2, v0
	v_addc_co_u32_e32 v1, vcc, 0, v1, vcc
	global_load_dwordx4 v[0:3], v[0:1], off
	v_mbcnt_lo_u32_b32 v4, -1, 0
	v_mbcnt_hi_u32_b32 v4, -1, v4
	v_and_b32_e32 v5, 0x78, v4
	v_xor_b32_e32 v6, 4, v4
	v_add_u32_e32 v5, 8, v5
	v_cmp_lt_i32_e32 vcc, v6, v5
	v_cndmask_b32_e32 v6, v4, v6, vcc
	v_lshlrev_b32_e32 v14, 2, v6
	v_xor_b32_e32 v8, 2, v4
	v_cmp_lt_i32_e32 vcc, v8, v5
	v_cndmask_b32_e32 v8, v4, v8, vcc
	v_lshlrev_b32_e32 v15, 2, v8
	v_xor_b32_e32 v8, 1, v4
	v_cmp_lt_i32_e32 vcc, v8, v5
	v_cndmask_b32_e32 v4, v4, v8, vcc
	v_lshlrev_b32_e32 v16, 2, v4
	s_mov_b32 s0, 0x3fb8aa3b
	s_mov_b32 s1, 0xc2ce8ed0
	;; [unrolled: 1-line block ×3, first 2 shown]
	s_movk_i32 s8, 0x1f8
	s_waitcnt vmcnt(0)
	v_max_f32_e32 v6, v1, v1
	v_max_f32_e32 v7, v0, v0
	;; [unrolled: 1-line block ×3, first 2 shown]
	v_max3_f32 v6, v6, v2, v3
	ds_bpermute_b32 v7, v14, v6
	s_waitcnt lgkmcnt(0)
	v_max_f32_e32 v7, v7, v7
	v_max_f32_e32 v6, v6, v7
	ds_bpermute_b32 v7, v15, v6
	s_waitcnt lgkmcnt(0)
	v_max_f32_e32 v4, v7, v7
	v_max_f32_e32 v4, v6, v4
	ds_bpermute_b32 v5, v16, v4
	v_mov_b32_e32 v6, 0x7f800000
	s_waitcnt lgkmcnt(0)
	v_max_f32_e32 v5, v5, v5
	v_max_f32_e32 v4, v4, v5
	v_pk_add_f32 v[0:1], v[0:1], v[4:5] op_sel_hi:[1,0] neg_lo:[0,1] neg_hi:[0,1]
	v_sub_f32_e32 v2, v2, v4
	v_sub_f32_e32 v3, v3, v4
	v_mul_f32_e32 v4, 0x3fb8aa3b, v1
	v_mul_f32_e32 v5, 0x3fb8aa3b, v0
	v_fma_f32 v10, v1, s0, -v4
	v_rndne_f32_e32 v11, v4
	v_mul_f32_e32 v7, 0x3fb8aa3b, v2
	v_fma_f32 v12, v0, s0, -v5
	v_rndne_f32_e32 v17, v5
	v_fmac_f32_e32 v10, 0x32a5705f, v1
	v_sub_f32_e32 v4, v4, v11
	v_mul_f32_e32 v8, 0x3fb8aa3b, v3
	v_fma_f32 v18, v2, s0, -v7
	v_rndne_f32_e32 v19, v7
	v_fmac_f32_e32 v12, 0x32a5705f, v0
	v_sub_f32_e32 v5, v5, v17
	v_add_f32_e32 v4, v4, v10
	v_fma_f32 v20, v3, s0, -v8
	v_rndne_f32_e32 v21, v8
	v_cvt_i32_f32_e32 v11, v11
	v_fmac_f32_e32 v18, 0x32a5705f, v2
	v_sub_f32_e32 v7, v7, v19
	v_add_f32_e32 v5, v5, v12
	v_exp_f32_e32 v4, v4
	v_cvt_i32_f32_e32 v17, v17
	v_fmac_f32_e32 v20, 0x32a5705f, v3
	v_sub_f32_e32 v8, v8, v21
	v_add_f32_e32 v7, v7, v18
	v_exp_f32_e32 v5, v5
	v_cvt_i32_f32_e32 v19, v19
	v_add_f32_e32 v8, v8, v20
	v_exp_f32_e32 v7, v7
	v_cvt_i32_f32_e32 v21, v21
	v_exp_f32_e32 v8, v8
	v_ldexp_f32 v4, v4, v11
	v_cmp_ngt_f32_e32 vcc, s1, v1
	v_ldexp_f32 v5, v5, v17
	v_cndmask_b32_e32 v4, 0, v4, vcc
	v_cmp_ngt_f32_e32 vcc, s1, v0
	v_ldexp_f32 v7, v7, v19
	v_cndmask_b32_e32 v5, 0, v5, vcc
	;; [unrolled: 3-line block ×3, first 2 shown]
	v_cmp_ngt_f32_e32 vcc, s1, v3
	v_cndmask_b32_e32 v8, 0, v8, vcc
	v_cmp_nlt_f32_e32 vcc, s2, v1
	v_cndmask_b32_e32 v1, v6, v4, vcc
	v_cmp_nlt_f32_e32 vcc, s2, v0
	;; [unrolled: 2-line block ×4, first 2 shown]
	v_add_f32_e32 v4, v0, v1
	v_cndmask_b32_e32 v3, v6, v8, vcc
	v_add_f32_e32 v4, v4, v2
	v_add_f32_e32 v4, v4, v3
	ds_bpermute_b32 v5, v14, v4
	s_load_dwordx2 s[0:1], s[4:5], 0x40
	v_lshlrev_b32_e32 v17, 2, v13
	s_waitcnt lgkmcnt(0)
	v_add_f32_e32 v4, v4, v5
	ds_bpermute_b32 v5, v15, v4
	s_cmp_eq_u64 s[0:1], 0
	s_waitcnt lgkmcnt(0)
	v_add_f32_e32 v4, v4, v5
	ds_bpermute_b32 v5, v16, v4
	s_waitcnt lgkmcnt(0)
	v_add_f32_e32 v4, v4, v5
	v_div_scale_f32 v5, s[2:3], v4, v4, 1.0
	v_rcp_f32_e32 v6, v5
	v_div_scale_f32 v7, vcc, 1.0, v4, 1.0
	v_fma_f32 v8, -v5, v6, 1.0
	v_fmac_f32_e32 v6, v8, v6
	v_mul_f32_e32 v8, v7, v6
	v_fma_f32 v10, -v5, v8, v7
	v_fmac_f32_e32 v8, v10, v6
	v_fma_f32 v5, -v5, v8, v7
	v_div_fmas_f32 v5, v5, v6, v8
	v_div_fixup_f32 v4, v5, v4, 1.0
	v_mul_f32_e32 v0, v4, v0
	v_mul_f32_e32 v1, v4, v1
	v_cmp_class_f32_e64 vcc, v0, s8
	v_mul_f32_e32 v2, v4, v2
	v_cndmask_b32_e32 v0, 0, v0, vcc
	v_cmp_class_f32_e64 vcc, v1, s8
	v_mul_f32_e32 v3, v4, v3
	v_cndmask_b32_e32 v1, 0, v1, vcc
	v_cmp_class_f32_e64 vcc, v2, s8
	v_cndmask_b32_e32 v2, 0, v2, vcc
	v_cmp_class_f32_e64 vcc, v3, s8
	v_cndmask_b32_e32 v3, 0, v3, vcc
	s_cbranch_scc1 .LBB10_19
; %bb.4:
	v_lshlrev_b32_e32 v4, 2, v17
	global_load_dwordx4 v[4:7], v4, s[0:1]
	s_waitcnt vmcnt(0)
	v_pk_add_f32 v[4:5], v[4:5], v[0:1]
	v_pk_add_f32 v[6:7], v[6:7], v[2:3]
	s_cbranch_execnz .LBB10_6
.LBB10_5:
	v_pk_mov_b32 v[6:7], v[2:3], v[2:3] op_sel:[0,1]
	v_pk_mov_b32 v[4:5], v[0:1], v[0:1] op_sel:[0,1]
.LBB10_6:
	s_load_dwordx4 s[8:11], s[4:5], 0x30
	s_mov_b32 s25, 0
	v_cmp_eq_u32_e64 s[0:1], 0, v13
	s_waitcnt lgkmcnt(0)
	s_bitcmp1_b32 s11, 0
	s_cselect_b64 vcc, -1, 0
	s_cmp_gt_i32 s8, 0
	s_cselect_b64 s[20:21], -1, 0
	s_cmp_lt_i32 s8, 1
	s_cbranch_scc1 .LBB10_20
; %bb.7:
	s_load_dwordx4 s[12:15], s[4:5], 0x20
	v_mul_lo_u32 v19, v9, s8
	v_mov_b32_e32 v18, 0
	v_mov_b32_e32 v20, 0xc61c4000
	;; [unrolled: 1-line block ×3, first 2 shown]
	s_branch .LBB10_10
.LBB10_8:                               ;   in Loop: Header=BB10_10 Depth=1
	s_or_b64 exec, exec, s[4:5]
.LBB10_9:                               ;   in Loop: Header=BB10_10 Depth=1
	s_cmp_eq_u32 s8, s25
	v_add_u32_e32 v21, s24, v21
	s_cbranch_scc1 .LBB10_21
.LBB10_10:                              ; =>This Inner Loop Header: Depth=1
	v_cmp_gt_f32_e64 s[2:3], v5, v4
	v_cndmask_b32_e64 v8, v4, v5, s[2:3]
	v_cndmask_b32_e64 v10, v0, v1, s[2:3]
	s_waitcnt lgkmcnt(0)
	v_cndmask_b32_e64 v11, 0, 1, s[2:3]
	v_cmp_gt_f32_e64 s[2:3], v6, v8
	v_cndmask_b32_e64 v8, v8, v6, s[2:3]
	v_cndmask_b32_e64 v10, v10, v2, s[2:3]
	;; [unrolled: 1-line block ×3, first 2 shown]
	v_cmp_gt_f32_e64 s[2:3], v7, v8
	v_cndmask_b32_e64 v11, v11, 3, s[2:3]
	v_cndmask_b32_e64 v8, v8, v7, s[2:3]
	v_or_b32_e32 v11, v17, v11
	ds_bpermute_b32 v12, v14, v8
	ds_bpermute_b32 v22, v14, v11
	v_cndmask_b32_e64 v10, v10, v3, s[2:3]
	ds_bpermute_b32 v24, v14, v10
	s_waitcnt lgkmcnt(0)
	v_cmp_eq_f32_e64 s[4:5], v8, v12
	v_cmp_lt_i32_e64 s[6:7], v22, v11
	v_cmp_lt_f32_e64 s[2:3], v8, v12
	s_and_b64 s[4:5], s[4:5], s[6:7]
	s_or_b64 s[2:3], s[2:3], s[4:5]
	v_cndmask_b32_e64 v23, v8, v12, s[2:3]
	v_cndmask_b32_e64 v22, v11, v22, s[2:3]
	;; [unrolled: 1-line block ×3, first 2 shown]
	ds_bpermute_b32 v25, v15, v23
	ds_bpermute_b32 v12, v15, v8
	;; [unrolled: 1-line block ×3, first 2 shown]
                                        ; implicit-def: $vgpr10_vgpr11
	s_waitcnt lgkmcnt(2)
	v_cmp_lt_f32_e64 s[6:7], v23, v25
	v_cmp_nlt_f32_e64 s[2:3], v23, v25
	s_and_saveexec_b64 s[22:23], s[2:3]
	s_cbranch_execz .LBB10_12
; %bb.11:                               ;   in Loop: Header=BB10_10 Depth=1
	v_cmp_eq_f32_e64 s[2:3], v23, v25
	s_waitcnt lgkmcnt(0)
	v_cmp_lt_i32_e64 s[4:5], v24, v22
	s_and_b64 s[2:3], s[2:3], s[4:5]
	s_andn2_b64 s[4:5], s[6:7], exec
	s_and_b64 s[2:3], s[2:3], exec
	s_or_b64 s[6:7], s[4:5], s[2:3]
	v_pk_mov_b32 v[10:11], v[8:9], v[8:9] op_sel:[0,1]
.LBB10_12:                              ;   in Loop: Header=BB10_10 Depth=1
	s_or_b64 exec, exec, s[22:23]
	s_and_saveexec_b64 s[2:3], s[6:7]
	s_cbranch_execz .LBB10_14
; %bb.13:                               ;   in Loop: Header=BB10_10 Depth=1
	v_mov_b32_e32 v23, v25
	s_waitcnt lgkmcnt(1)
	v_mov_b32_e32 v8, v12
	s_waitcnt lgkmcnt(0)
	v_mov_b32_e32 v22, v24
	v_pk_mov_b32 v[10:11], v[12:13], v[12:13] op_sel:[0,1]
.LBB10_14:                              ;   in Loop: Header=BB10_10 Depth=1
	s_or_b64 exec, exec, s[2:3]
	s_waitcnt lgkmcnt(1)
	ds_bpermute_b32 v12, v16, v23
	s_waitcnt lgkmcnt(1)
	ds_bpermute_b32 v24, v16, v22
	ds_bpermute_b32 v11, v16, v8
	s_waitcnt lgkmcnt(2)
	v_cmp_eq_f32_e64 s[4:5], v23, v12
	s_waitcnt lgkmcnt(1)
	v_cmp_lt_i32_e64 s[6:7], v24, v22
	v_cmp_lt_f32_e64 s[2:3], v23, v12
	s_and_b64 s[4:5], s[4:5], s[6:7]
	s_or_b64 s[2:3], s[2:3], s[4:5]
	v_cndmask_b32_e64 v8, v22, v24, s[2:3]
	s_and_saveexec_b64 s[6:7], s[0:1]
	s_cbranch_execnz .LBB10_16
; %bb.15:                               ;   in Loop: Header=BB10_10 Depth=1
	s_or_b64 exec, exec, s[6:7]
	s_add_i32 s25, s25, 1
	s_cmp_ge_i32 s25, s8
	s_cbranch_scc1 .LBB10_9
	s_branch .LBB10_17
.LBB10_16:                              ;   in Loop: Header=BB10_10 Depth=1
	s_waitcnt lgkmcnt(0)
	v_cndmask_b32_e64 v12, v10, v11, s[2:3]
	v_add_u32_e32 v10, s25, v19
	v_ashrrev_i32_e32 v11, 31, v10
	v_cmp_le_i32_e64 s[2:3], s9, v8
	v_cmp_gt_i32_e64 s[4:5], s10, v8
	v_lshlrev_b64 v[10:11], 2, v[10:11]
	s_and_b64 s[4:5], s[2:3], s[4:5]
	v_mov_b32_e32 v23, s17
	v_add_co_u32_e64 v22, s[2:3], s16, v10
	v_addc_co_u32_e64 v23, s[2:3], v23, v11, s[2:3]
	global_store_dword v[22:23], v12, off
	v_subrev_u32_e32 v22, s9, v8
	s_and_b64 s[2:3], s[18:19], s[4:5]
	v_cndmask_b32_e64 v24, 32, v22, s[2:3]
	v_mov_b32_e32 v23, s13
	v_add_co_u32_e64 v22, s[2:3], s12, v10
	v_addc_co_u32_e64 v23, s[2:3], v23, v11, s[2:3]
	global_store_dword v[22:23], v24, off
	v_mov_b32_e32 v22, s15
	v_add_co_u32_e64 v10, s[2:3], s14, v10
	v_addc_co_u32_e64 v11, s[2:3], v22, v11, s[2:3]
	global_store_dword v[10:11], v21, off
	v_add_f32_e32 v10, v18, v12
	v_cndmask_b32_e32 v18, v18, v10, vcc
	s_or_b64 exec, exec, s[6:7]
	s_add_i32 s25, s25, 1
	s_cmp_ge_i32 s25, s8
	s_cbranch_scc1 .LBB10_9
.LBB10_17:                              ;   in Loop: Header=BB10_10 Depth=1
	s_waitcnt lgkmcnt(0)
	v_ashrrev_i32_e32 v11, 31, v8
	v_lshrrev_b32_e32 v10, 30, v11
	v_add_u32_e32 v10, v8, v10
	v_ashrrev_i32_e32 v10, 2, v10
	v_lshrrev_b32_e32 v12, 29, v10
	v_add_u32_e32 v12, v10, v12
	v_and_b32_e32 v12, -8, v12
	v_sub_u32_e32 v12, v10, v12
	v_cmp_eq_u32_e64 s[2:3], v13, v12
	s_and_saveexec_b64 s[4:5], s[2:3]
	s_cbranch_execz .LBB10_8
; %bb.18:                               ;   in Loop: Header=BB10_10 Depth=1
	v_lshrrev_b32_e32 v11, 27, v11
	v_add_u32_e32 v11, v8, v11
	v_lshlrev_b32_e32 v10, 2, v10
	v_ashrrev_i32_e32 v11, 5, v11
	v_sub_u32_e32 v8, v8, v10
	v_lshl_add_u32 v8, v11, 2, v8
	v_cmp_ne_u32_e64 s[2:3], 3, v8
	v_cndmask_b32_e64 v7, v20, v7, s[2:3]
	v_cmp_ne_u32_e64 s[2:3], 2, v8
	v_cndmask_b32_e64 v6, v20, v6, s[2:3]
	;; [unrolled: 2-line block ×4, first 2 shown]
	s_branch .LBB10_8
.LBB10_19:
                                        ; implicit-def: $vgpr4_vgpr5_vgpr6_vgpr7
	s_andn2_b64 vcc, exec, s[6:7]
	s_cbranch_vccz .LBB10_5
	s_branch .LBB10_6
.LBB10_20:
	v_mov_b32_e32 v18, 0
.LBB10_21:
	v_cmp_eq_u32_e64 s[0:1], 0, v13
	s_and_b64 s[0:1], s[0:1], vcc
	s_and_b64 exec, exec, s[0:1]
	s_cbranch_execz .LBB10_30
; %bb.22:
	s_andn2_b64 vcc, exec, s[20:21]
	s_cbranch_vccnz .LBB10_30
; %bb.23:
	v_cmp_lt_f32_e32 vcc, 0, v18
	s_mov_b32 s2, 0
	v_cndmask_b32_e32 v0, 1.0, v18, vcc
	v_mul_lo_u32 v4, v9, s8
	s_cmp_eq_u32 s8, 1
	s_mov_b64 s[0:1], -1
	s_cbranch_scc1 .LBB10_27
; %bb.24:
	s_and_b32 s2, s8, 0x7ffffffe
	v_mov_b32_e32 v1, v0
	v_mov_b32_e32 v5, s17
	s_mov_b32 s3, s2
	v_mov_b32_e32 v2, v4
.LBB10_25:                              ; =>This Inner Loop Header: Depth=1
	v_ashrrev_i32_e32 v3, 31, v2
	v_lshlrev_b64 v[6:7], 2, v[2:3]
	v_add_co_u32_e32 v6, vcc, s16, v6
	v_addc_co_u32_e32 v7, vcc, v5, v7, vcc
	global_load_dwordx2 v[8:9], v[6:7], off
	s_add_i32 s3, s3, -2
	s_cmp_lg_u32 s3, 0
	v_add_u32_e32 v2, 2, v2
	s_waitcnt vmcnt(0)
	v_div_scale_f32 v3, s[0:1], v1, v1, v9
	s_waitcnt lgkmcnt(0)
	v_div_scale_f32 v11, s[0:1], v0, v0, v8
	v_rcp_f32_e32 v12, v3
	v_rcp_f32_e32 v13, v11
	v_div_scale_f32 v10, vcc, v9, v1, v9
	v_fma_f32 v15, -v3, v12, 1.0
	v_fma_f32 v16, -v11, v13, 1.0
	v_fmac_f32_e32 v12, v15, v12
	v_div_scale_f32 v14, s[0:1], v8, v0, v8
	v_fmac_f32_e32 v13, v16, v13
	v_mul_f32_e32 v15, v10, v12
	v_mul_f32_e32 v16, v14, v13
	v_fma_f32 v17, -v3, v15, v10
	v_fma_f32 v18, -v11, v16, v14
	v_fmac_f32_e32 v15, v17, v12
	v_fmac_f32_e32 v16, v18, v13
	v_fma_f32 v3, -v3, v15, v10
	v_fma_f32 v10, -v11, v16, v14
	v_div_fmas_f32 v3, v3, v12, v15
	s_mov_b64 vcc, s[0:1]
	v_div_fixup_f32 v9, v3, v1, v9
	v_div_fmas_f32 v3, v10, v13, v16
	v_div_fixup_f32 v8, v3, v0, v8
	global_store_dwordx2 v[6:7], v[8:9], off
	s_cbranch_scc1 .LBB10_25
; %bb.26:
	s_cmp_lg_u32 s2, s8
	s_cselect_b64 s[0:1], -1, 0
.LBB10_27:
	s_and_b64 vcc, exec, s[0:1]
	s_cbranch_vccz .LBB10_30
; %bb.28:
	v_ashrrev_i32_e32 v1, 31, v4
	v_add_co_u32_e32 v2, vcc, s2, v4
	v_addc_co_u32_e32 v3, vcc, 0, v1, vcc
	v_lshlrev_b64 v[2:3], 2, v[2:3]
	v_mov_b32_e32 v1, s17
	v_add_co_u32_e32 v2, vcc, s16, v2
	s_sub_i32 s0, s8, s2
	v_addc_co_u32_e32 v3, vcc, v1, v3, vcc
.LBB10_29:                              ; =>This Inner Loop Header: Depth=1
	global_load_dword v1, v[2:3], off
	s_add_i32 s0, s0, -1
	s_cmp_lg_u32 s0, 0
	s_waitcnt vmcnt(0)
	v_div_scale_f32 v4, s[2:3], v0, v0, v1
	v_rcp_f32_e32 v5, v4
	v_div_scale_f32 v6, vcc, v1, v0, v1
	v_fma_f32 v7, -v4, v5, 1.0
	v_fmac_f32_e32 v5, v7, v5
	v_mul_f32_e32 v7, v6, v5
	v_fma_f32 v8, -v4, v7, v6
	v_fmac_f32_e32 v7, v8, v5
	v_fma_f32 v4, -v4, v7, v6
	v_div_fmas_f32 v4, v4, v5, v7
	v_div_fixup_f32 v1, v4, v0, v1
	global_store_dword v[2:3], v1, off
	v_add_co_u32_e32 v2, vcc, 4, v2
	v_addc_co_u32_e32 v3, vcc, 0, v3, vcc
	s_cbranch_scc1 .LBB10_29
.LBB10_30:
	s_endpgm
	.section	.rodata,"a",@progbits
	.p2align	6, 0x0
	.amdhsa_kernel _ZN4vllm3moe10topkGatingILi4ELi32ELi4ELi16ELi64EifLNS0_11ScoringFuncE0EEEvPKT5_PKbPfiPT4_PiiiibPKf
		.amdhsa_group_segment_fixed_size 0
		.amdhsa_private_segment_fixed_size 0
		.amdhsa_kernarg_size 72
		.amdhsa_user_sgpr_count 6
		.amdhsa_user_sgpr_private_segment_buffer 1
		.amdhsa_user_sgpr_dispatch_ptr 0
		.amdhsa_user_sgpr_queue_ptr 0
		.amdhsa_user_sgpr_kernarg_segment_ptr 1
		.amdhsa_user_sgpr_dispatch_id 0
		.amdhsa_user_sgpr_flat_scratch_init 0
		.amdhsa_user_sgpr_kernarg_preload_length 0
		.amdhsa_user_sgpr_kernarg_preload_offset 0
		.amdhsa_user_sgpr_private_segment_size 0
		.amdhsa_uses_dynamic_stack 0
		.amdhsa_system_sgpr_private_segment_wavefront_offset 0
		.amdhsa_system_sgpr_workgroup_id_x 1
		.amdhsa_system_sgpr_workgroup_id_y 0
		.amdhsa_system_sgpr_workgroup_id_z 0
		.amdhsa_system_sgpr_workgroup_info 0
		.amdhsa_system_vgpr_workitem_id 1
		.amdhsa_next_free_vgpr 26
		.amdhsa_next_free_sgpr 26
		.amdhsa_accum_offset 28
		.amdhsa_reserve_vcc 1
		.amdhsa_reserve_flat_scratch 0
		.amdhsa_float_round_mode_32 0
		.amdhsa_float_round_mode_16_64 0
		.amdhsa_float_denorm_mode_32 3
		.amdhsa_float_denorm_mode_16_64 3
		.amdhsa_dx10_clamp 1
		.amdhsa_ieee_mode 1
		.amdhsa_fp16_overflow 0
		.amdhsa_tg_split 0
		.amdhsa_exception_fp_ieee_invalid_op 0
		.amdhsa_exception_fp_denorm_src 0
		.amdhsa_exception_fp_ieee_div_zero 0
		.amdhsa_exception_fp_ieee_overflow 0
		.amdhsa_exception_fp_ieee_underflow 0
		.amdhsa_exception_fp_ieee_inexact 0
		.amdhsa_exception_int_div_zero 0
	.end_amdhsa_kernel
	.section	.text._ZN4vllm3moe10topkGatingILi4ELi32ELi4ELi16ELi64EifLNS0_11ScoringFuncE0EEEvPKT5_PKbPfiPT4_PiiiibPKf,"axG",@progbits,_ZN4vllm3moe10topkGatingILi4ELi32ELi4ELi16ELi64EifLNS0_11ScoringFuncE0EEEvPKT5_PKbPfiPT4_PiiiibPKf,comdat
.Lfunc_end10:
	.size	_ZN4vllm3moe10topkGatingILi4ELi32ELi4ELi16ELi64EifLNS0_11ScoringFuncE0EEEvPKT5_PKbPfiPT4_PiiiibPKf, .Lfunc_end10-_ZN4vllm3moe10topkGatingILi4ELi32ELi4ELi16ELi64EifLNS0_11ScoringFuncE0EEEvPKT5_PKbPfiPT4_PiiiibPKf
                                        ; -- End function
	.section	.AMDGPU.csdata,"",@progbits
; Kernel info:
; codeLenInByte = 2276
; NumSgprs: 30
; NumVgprs: 26
; NumAgprs: 0
; TotalNumVgprs: 26
; ScratchSize: 0
; MemoryBound: 0
; FloatMode: 240
; IeeeMode: 1
; LDSByteSize: 0 bytes/workgroup (compile time only)
; SGPRBlocks: 3
; VGPRBlocks: 3
; NumSGPRsForWavesPerEU: 30
; NumVGPRsForWavesPerEU: 26
; AccumOffset: 28
; Occupancy: 8
; WaveLimiterHint : 0
; COMPUTE_PGM_RSRC2:SCRATCH_EN: 0
; COMPUTE_PGM_RSRC2:USER_SGPR: 6
; COMPUTE_PGM_RSRC2:TRAP_HANDLER: 0
; COMPUTE_PGM_RSRC2:TGID_X_EN: 1
; COMPUTE_PGM_RSRC2:TGID_Y_EN: 0
; COMPUTE_PGM_RSRC2:TGID_Z_EN: 0
; COMPUTE_PGM_RSRC2:TIDIG_COMP_CNT: 1
; COMPUTE_PGM_RSRC3_GFX90A:ACCUM_OFFSET: 6
; COMPUTE_PGM_RSRC3_GFX90A:TG_SPLIT: 0
	.section	.text._ZN4vllm3moe10topkGatingILi4ELi32ELi4ELi16ELi32EifLNS0_11ScoringFuncE0EEEvPKT5_PKbPfiPT4_PiiiibPKf,"axG",@progbits,_ZN4vllm3moe10topkGatingILi4ELi32ELi4ELi16ELi32EifLNS0_11ScoringFuncE0EEEvPKT5_PKbPfiPT4_PiiiibPKf,comdat
	.protected	_ZN4vllm3moe10topkGatingILi4ELi32ELi4ELi16ELi32EifLNS0_11ScoringFuncE0EEEvPKT5_PKbPfiPT4_PiiiibPKf ; -- Begin function _ZN4vllm3moe10topkGatingILi4ELi32ELi4ELi16ELi32EifLNS0_11ScoringFuncE0EEEvPKT5_PKbPfiPT4_PiiiibPKf
	.globl	_ZN4vllm3moe10topkGatingILi4ELi32ELi4ELi16ELi32EifLNS0_11ScoringFuncE0EEEvPKT5_PKbPfiPT4_PiiiibPKf
	.p2align	8
	.type	_ZN4vllm3moe10topkGatingILi4ELi32ELi4ELi16ELi32EifLNS0_11ScoringFuncE0EEEvPKT5_PKbPfiPT4_PiiiibPKf,@function
_ZN4vllm3moe10topkGatingILi4ELi32ELi4ELi16ELi32EifLNS0_11ScoringFuncE0EEEvPKT5_PKbPfiPT4_PiiiibPKf: ; @_ZN4vllm3moe10topkGatingILi4ELi32ELi4ELi16ELi32EifLNS0_11ScoringFuncE0EEEvPKT5_PKbPfiPT4_PiiiibPKf
; %bb.0:
	s_load_dword s24, s[4:5], 0x18
	v_bfe_u32 v1, v0, 10, 10
	v_and_b32_e32 v0, 0x3ff, v0
	s_lshl_b32 s0, s6, 4
	v_lshlrev_b32_e32 v1, 2, v1
	v_lshrrev_b32_e32 v2, 3, v0
	v_add3_u32 v9, s0, v1, v2
	s_waitcnt lgkmcnt(0)
	v_cmp_gt_i32_e32 vcc, s24, v9
	s_and_saveexec_b64 s[0:1], vcc
	s_cbranch_execz .LBB11_30
; %bb.1:
	s_load_dwordx4 s[0:3], s[4:5], 0x0
	s_load_dwordx2 s[16:17], s[4:5], 0x10
	s_mov_b64 s[6:7], -1
	s_mov_b64 s[18:19], -1
	s_waitcnt lgkmcnt(0)
	s_cmp_eq_u64 s[2:3], 0
	s_cbranch_scc1 .LBB11_3
; %bb.2:
	v_ashrrev_i32_e32 v1, 31, v9
	v_mov_b32_e32 v3, s3
	v_add_co_u32_e32 v2, vcc, s2, v9
	v_addc_co_u32_e32 v3, vcc, v3, v1, vcc
	global_load_ubyte v1, v[2:3], off
	s_waitcnt vmcnt(0)
	v_and_b32_e32 v1, 1, v1
	v_cmp_eq_u32_e32 vcc, 1, v1
	s_xor_b64 s[2:3], vcc, -1
	s_orn2_b64 s[18:19], s[2:3], exec
.LBB11_3:
	v_lshlrev_b32_e32 v2, 5, v9
	v_ashrrev_i32_e32 v3, 31, v2
	v_lshlrev_b64 v[2:3], 2, v[2:3]
	v_mov_b32_e32 v1, s1
	v_add_co_u32_e32 v2, vcc, s0, v2
	v_and_b32_e32 v13, 7, v0
	v_addc_co_u32_e32 v1, vcc, v1, v3, vcc
	v_lshlrev_b32_e32 v0, 4, v13
	v_add_co_u32_e32 v0, vcc, v2, v0
	v_addc_co_u32_e32 v1, vcc, 0, v1, vcc
	global_load_dwordx4 v[0:3], v[0:1], off
	v_mbcnt_lo_u32_b32 v4, -1, 0
	v_mbcnt_hi_u32_b32 v4, -1, v4
	v_and_b32_e32 v5, 0x78, v4
	v_xor_b32_e32 v6, 4, v4
	v_add_u32_e32 v5, 8, v5
	v_cmp_lt_i32_e32 vcc, v6, v5
	v_cndmask_b32_e32 v6, v4, v6, vcc
	v_lshlrev_b32_e32 v14, 2, v6
	v_xor_b32_e32 v8, 2, v4
	v_cmp_lt_i32_e32 vcc, v8, v5
	v_cndmask_b32_e32 v8, v4, v8, vcc
	v_lshlrev_b32_e32 v15, 2, v8
	v_xor_b32_e32 v8, 1, v4
	v_cmp_lt_i32_e32 vcc, v8, v5
	v_cndmask_b32_e32 v4, v4, v8, vcc
	v_lshlrev_b32_e32 v16, 2, v4
	s_mov_b32 s0, 0x3fb8aa3b
	s_mov_b32 s1, 0xc2ce8ed0
	;; [unrolled: 1-line block ×3, first 2 shown]
	s_movk_i32 s8, 0x1f8
	s_waitcnt vmcnt(0)
	v_max_f32_e32 v6, v1, v1
	v_max_f32_e32 v7, v0, v0
	v_max_f32_e32 v6, v7, v6
	v_max3_f32 v6, v6, v2, v3
	ds_bpermute_b32 v7, v14, v6
	s_waitcnt lgkmcnt(0)
	v_max_f32_e32 v7, v7, v7
	v_max_f32_e32 v6, v6, v7
	ds_bpermute_b32 v7, v15, v6
	s_waitcnt lgkmcnt(0)
	v_max_f32_e32 v4, v7, v7
	v_max_f32_e32 v4, v6, v4
	ds_bpermute_b32 v5, v16, v4
	v_mov_b32_e32 v6, 0x7f800000
	s_waitcnt lgkmcnt(0)
	v_max_f32_e32 v5, v5, v5
	v_max_f32_e32 v4, v4, v5
	v_pk_add_f32 v[0:1], v[0:1], v[4:5] op_sel_hi:[1,0] neg_lo:[0,1] neg_hi:[0,1]
	v_sub_f32_e32 v2, v2, v4
	v_sub_f32_e32 v3, v3, v4
	v_mul_f32_e32 v4, 0x3fb8aa3b, v1
	v_mul_f32_e32 v5, 0x3fb8aa3b, v0
	v_fma_f32 v10, v1, s0, -v4
	v_rndne_f32_e32 v11, v4
	v_mul_f32_e32 v7, 0x3fb8aa3b, v2
	v_fma_f32 v12, v0, s0, -v5
	v_rndne_f32_e32 v17, v5
	v_fmac_f32_e32 v10, 0x32a5705f, v1
	v_sub_f32_e32 v4, v4, v11
	v_mul_f32_e32 v8, 0x3fb8aa3b, v3
	v_fma_f32 v18, v2, s0, -v7
	v_rndne_f32_e32 v19, v7
	v_fmac_f32_e32 v12, 0x32a5705f, v0
	v_sub_f32_e32 v5, v5, v17
	v_add_f32_e32 v4, v4, v10
	v_fma_f32 v20, v3, s0, -v8
	v_rndne_f32_e32 v21, v8
	v_cvt_i32_f32_e32 v11, v11
	v_fmac_f32_e32 v18, 0x32a5705f, v2
	v_sub_f32_e32 v7, v7, v19
	v_add_f32_e32 v5, v5, v12
	v_exp_f32_e32 v4, v4
	v_cvt_i32_f32_e32 v17, v17
	v_fmac_f32_e32 v20, 0x32a5705f, v3
	v_sub_f32_e32 v8, v8, v21
	v_add_f32_e32 v7, v7, v18
	v_exp_f32_e32 v5, v5
	v_cvt_i32_f32_e32 v19, v19
	v_add_f32_e32 v8, v8, v20
	v_exp_f32_e32 v7, v7
	v_cvt_i32_f32_e32 v21, v21
	v_exp_f32_e32 v8, v8
	v_ldexp_f32 v4, v4, v11
	v_cmp_ngt_f32_e32 vcc, s1, v1
	v_ldexp_f32 v5, v5, v17
	v_cndmask_b32_e32 v4, 0, v4, vcc
	v_cmp_ngt_f32_e32 vcc, s1, v0
	v_ldexp_f32 v7, v7, v19
	v_cndmask_b32_e32 v5, 0, v5, vcc
	;; [unrolled: 3-line block ×3, first 2 shown]
	v_cmp_ngt_f32_e32 vcc, s1, v3
	v_cndmask_b32_e32 v8, 0, v8, vcc
	v_cmp_nlt_f32_e32 vcc, s2, v1
	v_cndmask_b32_e32 v1, v6, v4, vcc
	v_cmp_nlt_f32_e32 vcc, s2, v0
	;; [unrolled: 2-line block ×4, first 2 shown]
	v_add_f32_e32 v4, v0, v1
	v_cndmask_b32_e32 v3, v6, v8, vcc
	v_add_f32_e32 v4, v4, v2
	v_add_f32_e32 v4, v4, v3
	ds_bpermute_b32 v5, v14, v4
	s_load_dwordx2 s[0:1], s[4:5], 0x40
	v_lshlrev_b32_e32 v17, 2, v13
	s_waitcnt lgkmcnt(0)
	v_add_f32_e32 v4, v4, v5
	ds_bpermute_b32 v5, v15, v4
	s_cmp_eq_u64 s[0:1], 0
	s_waitcnt lgkmcnt(0)
	v_add_f32_e32 v4, v4, v5
	ds_bpermute_b32 v5, v16, v4
	s_waitcnt lgkmcnt(0)
	v_add_f32_e32 v4, v4, v5
	v_div_scale_f32 v5, s[2:3], v4, v4, 1.0
	v_rcp_f32_e32 v6, v5
	v_div_scale_f32 v7, vcc, 1.0, v4, 1.0
	v_fma_f32 v8, -v5, v6, 1.0
	v_fmac_f32_e32 v6, v8, v6
	v_mul_f32_e32 v8, v7, v6
	v_fma_f32 v10, -v5, v8, v7
	v_fmac_f32_e32 v8, v10, v6
	v_fma_f32 v5, -v5, v8, v7
	v_div_fmas_f32 v5, v5, v6, v8
	v_div_fixup_f32 v4, v5, v4, 1.0
	v_mul_f32_e32 v0, v4, v0
	v_mul_f32_e32 v1, v4, v1
	v_cmp_class_f32_e64 vcc, v0, s8
	v_mul_f32_e32 v2, v4, v2
	v_cndmask_b32_e32 v0, 0, v0, vcc
	v_cmp_class_f32_e64 vcc, v1, s8
	v_mul_f32_e32 v3, v4, v3
	v_cndmask_b32_e32 v1, 0, v1, vcc
	v_cmp_class_f32_e64 vcc, v2, s8
	v_cndmask_b32_e32 v2, 0, v2, vcc
	v_cmp_class_f32_e64 vcc, v3, s8
	v_cndmask_b32_e32 v3, 0, v3, vcc
	s_cbranch_scc1 .LBB11_19
; %bb.4:
	v_lshlrev_b32_e32 v4, 2, v17
	global_load_dwordx4 v[4:7], v4, s[0:1]
	s_waitcnt vmcnt(0)
	v_pk_add_f32 v[4:5], v[4:5], v[0:1]
	v_pk_add_f32 v[6:7], v[6:7], v[2:3]
	s_cbranch_execnz .LBB11_6
.LBB11_5:
	v_pk_mov_b32 v[6:7], v[2:3], v[2:3] op_sel:[0,1]
	v_pk_mov_b32 v[4:5], v[0:1], v[0:1] op_sel:[0,1]
.LBB11_6:
	s_load_dwordx4 s[8:11], s[4:5], 0x30
	s_mov_b32 s25, 0
	v_cmp_eq_u32_e64 s[0:1], 0, v13
	s_waitcnt lgkmcnt(0)
	s_bitcmp1_b32 s11, 0
	s_cselect_b64 vcc, -1, 0
	s_cmp_gt_i32 s8, 0
	s_cselect_b64 s[20:21], -1, 0
	s_cmp_lt_i32 s8, 1
	s_cbranch_scc1 .LBB11_20
; %bb.7:
	s_load_dwordx4 s[12:15], s[4:5], 0x20
	v_mul_lo_u32 v19, v9, s8
	v_mov_b32_e32 v18, 0
	v_mov_b32_e32 v20, 0xc61c4000
	;; [unrolled: 1-line block ×3, first 2 shown]
	s_branch .LBB11_10
.LBB11_8:                               ;   in Loop: Header=BB11_10 Depth=1
	s_or_b64 exec, exec, s[4:5]
.LBB11_9:                               ;   in Loop: Header=BB11_10 Depth=1
	s_cmp_eq_u32 s8, s25
	v_add_u32_e32 v21, s24, v21
	s_cbranch_scc1 .LBB11_21
.LBB11_10:                              ; =>This Inner Loop Header: Depth=1
	v_cmp_gt_f32_e64 s[2:3], v5, v4
	v_cndmask_b32_e64 v8, v4, v5, s[2:3]
	v_cndmask_b32_e64 v10, v0, v1, s[2:3]
	s_waitcnt lgkmcnt(0)
	v_cndmask_b32_e64 v11, 0, 1, s[2:3]
	v_cmp_gt_f32_e64 s[2:3], v6, v8
	v_cndmask_b32_e64 v8, v8, v6, s[2:3]
	v_cndmask_b32_e64 v10, v10, v2, s[2:3]
	;; [unrolled: 1-line block ×3, first 2 shown]
	v_cmp_gt_f32_e64 s[2:3], v7, v8
	v_cndmask_b32_e64 v11, v11, 3, s[2:3]
	v_cndmask_b32_e64 v8, v8, v7, s[2:3]
	v_or_b32_e32 v11, v17, v11
	ds_bpermute_b32 v12, v14, v8
	ds_bpermute_b32 v22, v14, v11
	v_cndmask_b32_e64 v10, v10, v3, s[2:3]
	ds_bpermute_b32 v24, v14, v10
	s_waitcnt lgkmcnt(0)
	v_cmp_eq_f32_e64 s[4:5], v8, v12
	v_cmp_lt_i32_e64 s[6:7], v22, v11
	v_cmp_lt_f32_e64 s[2:3], v8, v12
	s_and_b64 s[4:5], s[4:5], s[6:7]
	s_or_b64 s[2:3], s[2:3], s[4:5]
	v_cndmask_b32_e64 v23, v8, v12, s[2:3]
	v_cndmask_b32_e64 v22, v11, v22, s[2:3]
	;; [unrolled: 1-line block ×3, first 2 shown]
	ds_bpermute_b32 v25, v15, v23
	ds_bpermute_b32 v12, v15, v8
	;; [unrolled: 1-line block ×3, first 2 shown]
                                        ; implicit-def: $vgpr10_vgpr11
	s_waitcnt lgkmcnt(2)
	v_cmp_lt_f32_e64 s[6:7], v23, v25
	v_cmp_nlt_f32_e64 s[2:3], v23, v25
	s_and_saveexec_b64 s[22:23], s[2:3]
	s_cbranch_execz .LBB11_12
; %bb.11:                               ;   in Loop: Header=BB11_10 Depth=1
	v_cmp_eq_f32_e64 s[2:3], v23, v25
	s_waitcnt lgkmcnt(0)
	v_cmp_lt_i32_e64 s[4:5], v24, v22
	s_and_b64 s[2:3], s[2:3], s[4:5]
	s_andn2_b64 s[4:5], s[6:7], exec
	s_and_b64 s[2:3], s[2:3], exec
	s_or_b64 s[6:7], s[4:5], s[2:3]
	v_pk_mov_b32 v[10:11], v[8:9], v[8:9] op_sel:[0,1]
.LBB11_12:                              ;   in Loop: Header=BB11_10 Depth=1
	s_or_b64 exec, exec, s[22:23]
	s_and_saveexec_b64 s[2:3], s[6:7]
	s_cbranch_execz .LBB11_14
; %bb.13:                               ;   in Loop: Header=BB11_10 Depth=1
	v_mov_b32_e32 v23, v25
	s_waitcnt lgkmcnt(1)
	v_mov_b32_e32 v8, v12
	s_waitcnt lgkmcnt(0)
	v_mov_b32_e32 v22, v24
	v_pk_mov_b32 v[10:11], v[12:13], v[12:13] op_sel:[0,1]
.LBB11_14:                              ;   in Loop: Header=BB11_10 Depth=1
	s_or_b64 exec, exec, s[2:3]
	s_waitcnt lgkmcnt(1)
	ds_bpermute_b32 v12, v16, v23
	s_waitcnt lgkmcnt(1)
	ds_bpermute_b32 v24, v16, v22
	ds_bpermute_b32 v11, v16, v8
	s_waitcnt lgkmcnt(2)
	v_cmp_eq_f32_e64 s[4:5], v23, v12
	s_waitcnt lgkmcnt(1)
	v_cmp_lt_i32_e64 s[6:7], v24, v22
	v_cmp_lt_f32_e64 s[2:3], v23, v12
	s_and_b64 s[4:5], s[4:5], s[6:7]
	s_or_b64 s[2:3], s[2:3], s[4:5]
	v_cndmask_b32_e64 v8, v22, v24, s[2:3]
	s_and_saveexec_b64 s[6:7], s[0:1]
	s_cbranch_execnz .LBB11_16
; %bb.15:                               ;   in Loop: Header=BB11_10 Depth=1
	s_or_b64 exec, exec, s[6:7]
	s_add_i32 s25, s25, 1
	s_cmp_ge_i32 s25, s8
	s_cbranch_scc1 .LBB11_9
	s_branch .LBB11_17
.LBB11_16:                              ;   in Loop: Header=BB11_10 Depth=1
	s_waitcnt lgkmcnt(0)
	v_cndmask_b32_e64 v12, v10, v11, s[2:3]
	v_add_u32_e32 v10, s25, v19
	v_ashrrev_i32_e32 v11, 31, v10
	v_cmp_le_i32_e64 s[2:3], s9, v8
	v_cmp_gt_i32_e64 s[4:5], s10, v8
	v_lshlrev_b64 v[10:11], 2, v[10:11]
	s_and_b64 s[4:5], s[2:3], s[4:5]
	v_mov_b32_e32 v23, s17
	v_add_co_u32_e64 v22, s[2:3], s16, v10
	v_addc_co_u32_e64 v23, s[2:3], v23, v11, s[2:3]
	global_store_dword v[22:23], v12, off
	v_subrev_u32_e32 v22, s9, v8
	s_and_b64 s[2:3], s[18:19], s[4:5]
	v_cndmask_b32_e64 v24, 32, v22, s[2:3]
	v_mov_b32_e32 v23, s13
	v_add_co_u32_e64 v22, s[2:3], s12, v10
	v_addc_co_u32_e64 v23, s[2:3], v23, v11, s[2:3]
	global_store_dword v[22:23], v24, off
	v_mov_b32_e32 v22, s15
	v_add_co_u32_e64 v10, s[2:3], s14, v10
	v_addc_co_u32_e64 v11, s[2:3], v22, v11, s[2:3]
	global_store_dword v[10:11], v21, off
	v_add_f32_e32 v10, v18, v12
	v_cndmask_b32_e32 v18, v18, v10, vcc
	s_or_b64 exec, exec, s[6:7]
	s_add_i32 s25, s25, 1
	s_cmp_ge_i32 s25, s8
	s_cbranch_scc1 .LBB11_9
.LBB11_17:                              ;   in Loop: Header=BB11_10 Depth=1
	s_waitcnt lgkmcnt(0)
	v_ashrrev_i32_e32 v11, 31, v8
	v_lshrrev_b32_e32 v10, 30, v11
	v_add_u32_e32 v10, v8, v10
	v_ashrrev_i32_e32 v10, 2, v10
	v_lshrrev_b32_e32 v12, 29, v10
	v_add_u32_e32 v12, v10, v12
	v_and_b32_e32 v12, -8, v12
	v_sub_u32_e32 v12, v10, v12
	v_cmp_eq_u32_e64 s[2:3], v13, v12
	s_and_saveexec_b64 s[4:5], s[2:3]
	s_cbranch_execz .LBB11_8
; %bb.18:                               ;   in Loop: Header=BB11_10 Depth=1
	v_lshrrev_b32_e32 v11, 27, v11
	v_add_u32_e32 v11, v8, v11
	v_lshlrev_b32_e32 v10, 2, v10
	v_ashrrev_i32_e32 v11, 5, v11
	v_sub_u32_e32 v8, v8, v10
	v_lshl_add_u32 v8, v11, 2, v8
	v_cmp_ne_u32_e64 s[2:3], 3, v8
	v_cndmask_b32_e64 v7, v20, v7, s[2:3]
	v_cmp_ne_u32_e64 s[2:3], 2, v8
	v_cndmask_b32_e64 v6, v20, v6, s[2:3]
	;; [unrolled: 2-line block ×4, first 2 shown]
	s_branch .LBB11_8
.LBB11_19:
                                        ; implicit-def: $vgpr4_vgpr5_vgpr6_vgpr7
	s_andn2_b64 vcc, exec, s[6:7]
	s_cbranch_vccz .LBB11_5
	s_branch .LBB11_6
.LBB11_20:
	v_mov_b32_e32 v18, 0
.LBB11_21:
	v_cmp_eq_u32_e64 s[0:1], 0, v13
	s_and_b64 s[0:1], s[0:1], vcc
	s_and_b64 exec, exec, s[0:1]
	s_cbranch_execz .LBB11_30
; %bb.22:
	s_andn2_b64 vcc, exec, s[20:21]
	s_cbranch_vccnz .LBB11_30
; %bb.23:
	v_cmp_lt_f32_e32 vcc, 0, v18
	s_mov_b32 s2, 0
	v_cndmask_b32_e32 v0, 1.0, v18, vcc
	v_mul_lo_u32 v4, v9, s8
	s_cmp_eq_u32 s8, 1
	s_mov_b64 s[0:1], -1
	s_cbranch_scc1 .LBB11_27
; %bb.24:
	s_and_b32 s2, s8, 0x7ffffffe
	v_mov_b32_e32 v1, v0
	v_mov_b32_e32 v5, s17
	s_mov_b32 s3, s2
	v_mov_b32_e32 v2, v4
.LBB11_25:                              ; =>This Inner Loop Header: Depth=1
	v_ashrrev_i32_e32 v3, 31, v2
	v_lshlrev_b64 v[6:7], 2, v[2:3]
	v_add_co_u32_e32 v6, vcc, s16, v6
	v_addc_co_u32_e32 v7, vcc, v5, v7, vcc
	global_load_dwordx2 v[8:9], v[6:7], off
	s_add_i32 s3, s3, -2
	s_cmp_lg_u32 s3, 0
	v_add_u32_e32 v2, 2, v2
	s_waitcnt vmcnt(0)
	v_div_scale_f32 v3, s[0:1], v1, v1, v9
	s_waitcnt lgkmcnt(0)
	v_div_scale_f32 v11, s[0:1], v0, v0, v8
	v_rcp_f32_e32 v12, v3
	v_rcp_f32_e32 v13, v11
	v_div_scale_f32 v10, vcc, v9, v1, v9
	v_fma_f32 v15, -v3, v12, 1.0
	v_fma_f32 v16, -v11, v13, 1.0
	v_fmac_f32_e32 v12, v15, v12
	v_div_scale_f32 v14, s[0:1], v8, v0, v8
	v_fmac_f32_e32 v13, v16, v13
	v_mul_f32_e32 v15, v10, v12
	v_mul_f32_e32 v16, v14, v13
	v_fma_f32 v17, -v3, v15, v10
	v_fma_f32 v18, -v11, v16, v14
	v_fmac_f32_e32 v15, v17, v12
	v_fmac_f32_e32 v16, v18, v13
	v_fma_f32 v3, -v3, v15, v10
	v_fma_f32 v10, -v11, v16, v14
	v_div_fmas_f32 v3, v3, v12, v15
	s_mov_b64 vcc, s[0:1]
	v_div_fixup_f32 v9, v3, v1, v9
	v_div_fmas_f32 v3, v10, v13, v16
	v_div_fixup_f32 v8, v3, v0, v8
	global_store_dwordx2 v[6:7], v[8:9], off
	s_cbranch_scc1 .LBB11_25
; %bb.26:
	s_cmp_lg_u32 s2, s8
	s_cselect_b64 s[0:1], -1, 0
.LBB11_27:
	s_and_b64 vcc, exec, s[0:1]
	s_cbranch_vccz .LBB11_30
; %bb.28:
	v_ashrrev_i32_e32 v1, 31, v4
	v_add_co_u32_e32 v2, vcc, s2, v4
	v_addc_co_u32_e32 v3, vcc, 0, v1, vcc
	v_lshlrev_b64 v[2:3], 2, v[2:3]
	v_mov_b32_e32 v1, s17
	v_add_co_u32_e32 v2, vcc, s16, v2
	s_sub_i32 s0, s8, s2
	v_addc_co_u32_e32 v3, vcc, v1, v3, vcc
.LBB11_29:                              ; =>This Inner Loop Header: Depth=1
	global_load_dword v1, v[2:3], off
	s_add_i32 s0, s0, -1
	s_cmp_lg_u32 s0, 0
	s_waitcnt vmcnt(0)
	v_div_scale_f32 v4, s[2:3], v0, v0, v1
	v_rcp_f32_e32 v5, v4
	v_div_scale_f32 v6, vcc, v1, v0, v1
	v_fma_f32 v7, -v4, v5, 1.0
	v_fmac_f32_e32 v5, v7, v5
	v_mul_f32_e32 v7, v6, v5
	v_fma_f32 v8, -v4, v7, v6
	v_fmac_f32_e32 v7, v8, v5
	v_fma_f32 v4, -v4, v7, v6
	v_div_fmas_f32 v4, v4, v5, v7
	v_div_fixup_f32 v1, v4, v0, v1
	global_store_dword v[2:3], v1, off
	v_add_co_u32_e32 v2, vcc, 4, v2
	v_addc_co_u32_e32 v3, vcc, 0, v3, vcc
	s_cbranch_scc1 .LBB11_29
.LBB11_30:
	s_endpgm
	.section	.rodata,"a",@progbits
	.p2align	6, 0x0
	.amdhsa_kernel _ZN4vllm3moe10topkGatingILi4ELi32ELi4ELi16ELi32EifLNS0_11ScoringFuncE0EEEvPKT5_PKbPfiPT4_PiiiibPKf
		.amdhsa_group_segment_fixed_size 0
		.amdhsa_private_segment_fixed_size 0
		.amdhsa_kernarg_size 72
		.amdhsa_user_sgpr_count 6
		.amdhsa_user_sgpr_private_segment_buffer 1
		.amdhsa_user_sgpr_dispatch_ptr 0
		.amdhsa_user_sgpr_queue_ptr 0
		.amdhsa_user_sgpr_kernarg_segment_ptr 1
		.amdhsa_user_sgpr_dispatch_id 0
		.amdhsa_user_sgpr_flat_scratch_init 0
		.amdhsa_user_sgpr_kernarg_preload_length 0
		.amdhsa_user_sgpr_kernarg_preload_offset 0
		.amdhsa_user_sgpr_private_segment_size 0
		.amdhsa_uses_dynamic_stack 0
		.amdhsa_system_sgpr_private_segment_wavefront_offset 0
		.amdhsa_system_sgpr_workgroup_id_x 1
		.amdhsa_system_sgpr_workgroup_id_y 0
		.amdhsa_system_sgpr_workgroup_id_z 0
		.amdhsa_system_sgpr_workgroup_info 0
		.amdhsa_system_vgpr_workitem_id 1
		.amdhsa_next_free_vgpr 26
		.amdhsa_next_free_sgpr 26
		.amdhsa_accum_offset 28
		.amdhsa_reserve_vcc 1
		.amdhsa_reserve_flat_scratch 0
		.amdhsa_float_round_mode_32 0
		.amdhsa_float_round_mode_16_64 0
		.amdhsa_float_denorm_mode_32 3
		.amdhsa_float_denorm_mode_16_64 3
		.amdhsa_dx10_clamp 1
		.amdhsa_ieee_mode 1
		.amdhsa_fp16_overflow 0
		.amdhsa_tg_split 0
		.amdhsa_exception_fp_ieee_invalid_op 0
		.amdhsa_exception_fp_denorm_src 0
		.amdhsa_exception_fp_ieee_div_zero 0
		.amdhsa_exception_fp_ieee_overflow 0
		.amdhsa_exception_fp_ieee_underflow 0
		.amdhsa_exception_fp_ieee_inexact 0
		.amdhsa_exception_int_div_zero 0
	.end_amdhsa_kernel
	.section	.text._ZN4vllm3moe10topkGatingILi4ELi32ELi4ELi16ELi32EifLNS0_11ScoringFuncE0EEEvPKT5_PKbPfiPT4_PiiiibPKf,"axG",@progbits,_ZN4vllm3moe10topkGatingILi4ELi32ELi4ELi16ELi32EifLNS0_11ScoringFuncE0EEEvPKT5_PKbPfiPT4_PiiiibPKf,comdat
.Lfunc_end11:
	.size	_ZN4vllm3moe10topkGatingILi4ELi32ELi4ELi16ELi32EifLNS0_11ScoringFuncE0EEEvPKT5_PKbPfiPT4_PiiiibPKf, .Lfunc_end11-_ZN4vllm3moe10topkGatingILi4ELi32ELi4ELi16ELi32EifLNS0_11ScoringFuncE0EEEvPKT5_PKbPfiPT4_PiiiibPKf
                                        ; -- End function
	.section	.AMDGPU.csdata,"",@progbits
; Kernel info:
; codeLenInByte = 2276
; NumSgprs: 30
; NumVgprs: 26
; NumAgprs: 0
; TotalNumVgprs: 26
; ScratchSize: 0
; MemoryBound: 0
; FloatMode: 240
; IeeeMode: 1
; LDSByteSize: 0 bytes/workgroup (compile time only)
; SGPRBlocks: 3
; VGPRBlocks: 3
; NumSGPRsForWavesPerEU: 30
; NumVGPRsForWavesPerEU: 26
; AccumOffset: 28
; Occupancy: 8
; WaveLimiterHint : 0
; COMPUTE_PGM_RSRC2:SCRATCH_EN: 0
; COMPUTE_PGM_RSRC2:USER_SGPR: 6
; COMPUTE_PGM_RSRC2:TRAP_HANDLER: 0
; COMPUTE_PGM_RSRC2:TGID_X_EN: 1
; COMPUTE_PGM_RSRC2:TGID_Y_EN: 0
; COMPUTE_PGM_RSRC2:TGID_Z_EN: 0
; COMPUTE_PGM_RSRC2:TIDIG_COMP_CNT: 1
; COMPUTE_PGM_RSRC3_GFX90A:ACCUM_OFFSET: 6
; COMPUTE_PGM_RSRC3_GFX90A:TG_SPLIT: 0
	.section	.text._ZN4vllm3moe10topkGatingILi4ELi64ELi4ELi16ELi64EifLNS0_11ScoringFuncE0EEEvPKT5_PKbPfiPT4_PiiiibPKf,"axG",@progbits,_ZN4vllm3moe10topkGatingILi4ELi64ELi4ELi16ELi64EifLNS0_11ScoringFuncE0EEEvPKT5_PKbPfiPT4_PiiiibPKf,comdat
	.protected	_ZN4vllm3moe10topkGatingILi4ELi64ELi4ELi16ELi64EifLNS0_11ScoringFuncE0EEEvPKT5_PKbPfiPT4_PiiiibPKf ; -- Begin function _ZN4vllm3moe10topkGatingILi4ELi64ELi4ELi16ELi64EifLNS0_11ScoringFuncE0EEEvPKT5_PKbPfiPT4_PiiiibPKf
	.globl	_ZN4vllm3moe10topkGatingILi4ELi64ELi4ELi16ELi64EifLNS0_11ScoringFuncE0EEEvPKT5_PKbPfiPT4_PiiiibPKf
	.p2align	8
	.type	_ZN4vllm3moe10topkGatingILi4ELi64ELi4ELi16ELi64EifLNS0_11ScoringFuncE0EEEvPKT5_PKbPfiPT4_PiiiibPKf,@function
_ZN4vllm3moe10topkGatingILi4ELi64ELi4ELi16ELi64EifLNS0_11ScoringFuncE0EEEvPKT5_PKbPfiPT4_PiiiibPKf: ; @_ZN4vllm3moe10topkGatingILi4ELi64ELi4ELi16ELi64EifLNS0_11ScoringFuncE0EEEvPKT5_PKbPfiPT4_PiiiibPKf
; %bb.0:
	s_load_dword s24, s[4:5], 0x18
	v_bfe_u32 v1, v0, 10, 10
	v_and_b32_e32 v0, 0x3ff, v0
	s_lshl_b32 s0, s6, 4
	v_lshlrev_b32_e32 v1, 2, v1
	v_lshrrev_b32_e32 v2, 4, v0
	v_add3_u32 v9, s0, v1, v2
	s_waitcnt lgkmcnt(0)
	v_cmp_gt_i32_e32 vcc, s24, v9
	s_and_saveexec_b64 s[0:1], vcc
	s_cbranch_execz .LBB12_34
; %bb.1:
	s_load_dwordx4 s[0:3], s[4:5], 0x0
	s_load_dwordx2 s[16:17], s[4:5], 0x10
	s_mov_b64 s[6:7], -1
	s_mov_b64 s[18:19], -1
	s_waitcnt lgkmcnt(0)
	s_cmp_eq_u64 s[2:3], 0
	s_cbranch_scc1 .LBB12_3
; %bb.2:
	v_ashrrev_i32_e32 v1, 31, v9
	v_mov_b32_e32 v3, s3
	v_add_co_u32_e32 v2, vcc, s2, v9
	v_addc_co_u32_e32 v3, vcc, v3, v1, vcc
	global_load_ubyte v1, v[2:3], off
	s_waitcnt vmcnt(0)
	v_and_b32_e32 v1, 1, v1
	v_cmp_eq_u32_e32 vcc, 1, v1
	s_xor_b64 s[2:3], vcc, -1
	s_orn2_b64 s[18:19], s[2:3], exec
.LBB12_3:
	v_lshlrev_b32_e32 v2, 6, v9
	v_ashrrev_i32_e32 v3, 31, v2
	v_lshlrev_b64 v[2:3], 2, v[2:3]
	v_mov_b32_e32 v1, s1
	v_add_co_u32_e32 v2, vcc, s0, v2
	v_and_b32_e32 v13, 15, v0
	v_addc_co_u32_e32 v1, vcc, v1, v3, vcc
	v_lshlrev_b32_e32 v0, 4, v13
	v_add_co_u32_e32 v0, vcc, v2, v0
	v_addc_co_u32_e32 v1, vcc, 0, v1, vcc
	global_load_dwordx4 v[0:3], v[0:1], off
	v_mbcnt_lo_u32_b32 v4, -1, 0
	v_mbcnt_hi_u32_b32 v4, -1, v4
	v_and_b32_e32 v5, 0x70, v4
	v_xor_b32_e32 v6, 8, v4
	v_add_u32_e32 v5, 16, v5
	v_cmp_lt_i32_e32 vcc, v6, v5
	v_cndmask_b32_e32 v6, v4, v6, vcc
	v_lshlrev_b32_e32 v14, 2, v6
	v_xor_b32_e32 v8, 4, v4
	v_cmp_lt_i32_e32 vcc, v8, v5
	v_cndmask_b32_e32 v8, v4, v8, vcc
	v_lshlrev_b32_e32 v15, 2, v8
	v_xor_b32_e32 v8, 2, v4
	;; [unrolled: 4-line block ×3, first 2 shown]
	v_cmp_lt_i32_e32 vcc, v8, v5
	v_cndmask_b32_e32 v4, v4, v8, vcc
	v_lshlrev_b32_e32 v17, 2, v4
	s_mov_b32 s0, 0x3fb8aa3b
	s_mov_b32 s1, 0xc2ce8ed0
	;; [unrolled: 1-line block ×3, first 2 shown]
	s_movk_i32 s8, 0x1f8
	s_waitcnt vmcnt(0)
	v_max_f32_e32 v6, v1, v1
	v_max_f32_e32 v7, v0, v0
	v_max_f32_e32 v6, v7, v6
	v_max3_f32 v6, v6, v2, v3
	ds_bpermute_b32 v7, v14, v6
	s_waitcnt lgkmcnt(0)
	v_max_f32_e32 v7, v7, v7
	v_max_f32_e32 v6, v6, v7
	ds_bpermute_b32 v7, v15, v6
	s_waitcnt lgkmcnt(0)
	v_max_f32_e32 v7, v7, v7
	v_max_f32_e32 v6, v6, v7
	;; [unrolled: 4-line block ×3, first 2 shown]
	ds_bpermute_b32 v5, v17, v4
	v_mov_b32_e32 v6, 0x7f800000
	s_waitcnt lgkmcnt(0)
	v_max_f32_e32 v5, v5, v5
	v_max_f32_e32 v4, v4, v5
	v_pk_add_f32 v[0:1], v[0:1], v[4:5] op_sel_hi:[1,0] neg_lo:[0,1] neg_hi:[0,1]
	v_sub_f32_e32 v2, v2, v4
	v_sub_f32_e32 v3, v3, v4
	v_mul_f32_e32 v4, 0x3fb8aa3b, v1
	v_mul_f32_e32 v5, 0x3fb8aa3b, v0
	v_fma_f32 v10, v1, s0, -v4
	v_rndne_f32_e32 v11, v4
	v_mul_f32_e32 v7, 0x3fb8aa3b, v2
	v_fma_f32 v12, v0, s0, -v5
	v_rndne_f32_e32 v18, v5
	v_fmac_f32_e32 v10, 0x32a5705f, v1
	v_sub_f32_e32 v4, v4, v11
	v_mul_f32_e32 v8, 0x3fb8aa3b, v3
	v_fma_f32 v19, v2, s0, -v7
	v_rndne_f32_e32 v20, v7
	v_fmac_f32_e32 v12, 0x32a5705f, v0
	v_sub_f32_e32 v5, v5, v18
	v_add_f32_e32 v4, v4, v10
	v_fma_f32 v21, v3, s0, -v8
	v_rndne_f32_e32 v22, v8
	v_cvt_i32_f32_e32 v11, v11
	v_fmac_f32_e32 v19, 0x32a5705f, v2
	v_sub_f32_e32 v7, v7, v20
	v_add_f32_e32 v5, v5, v12
	v_exp_f32_e32 v4, v4
	v_cvt_i32_f32_e32 v18, v18
	v_fmac_f32_e32 v21, 0x32a5705f, v3
	v_sub_f32_e32 v8, v8, v22
	v_add_f32_e32 v7, v7, v19
	v_exp_f32_e32 v5, v5
	v_cvt_i32_f32_e32 v20, v20
	v_add_f32_e32 v8, v8, v21
	v_exp_f32_e32 v7, v7
	v_cvt_i32_f32_e32 v22, v22
	v_exp_f32_e32 v8, v8
	v_ldexp_f32 v4, v4, v11
	v_cmp_ngt_f32_e32 vcc, s1, v1
	v_ldexp_f32 v5, v5, v18
	v_cndmask_b32_e32 v4, 0, v4, vcc
	v_cmp_ngt_f32_e32 vcc, s1, v0
	v_ldexp_f32 v7, v7, v20
	v_cndmask_b32_e32 v5, 0, v5, vcc
	;; [unrolled: 3-line block ×3, first 2 shown]
	v_cmp_ngt_f32_e32 vcc, s1, v3
	v_cndmask_b32_e32 v8, 0, v8, vcc
	v_cmp_nlt_f32_e32 vcc, s2, v1
	v_cndmask_b32_e32 v1, v6, v4, vcc
	v_cmp_nlt_f32_e32 vcc, s2, v0
	;; [unrolled: 2-line block ×4, first 2 shown]
	v_add_f32_e32 v4, v0, v1
	v_cndmask_b32_e32 v3, v6, v8, vcc
	v_add_f32_e32 v4, v4, v2
	v_add_f32_e32 v4, v4, v3
	ds_bpermute_b32 v5, v14, v4
	s_load_dwordx2 s[0:1], s[4:5], 0x40
	v_lshlrev_b32_e32 v18, 2, v13
	s_waitcnt lgkmcnt(0)
	v_add_f32_e32 v4, v4, v5
	ds_bpermute_b32 v5, v15, v4
	s_cmp_eq_u64 s[0:1], 0
	s_waitcnt lgkmcnt(0)
	v_add_f32_e32 v4, v4, v5
	ds_bpermute_b32 v5, v16, v4
	s_waitcnt lgkmcnt(0)
	v_add_f32_e32 v4, v4, v5
	ds_bpermute_b32 v5, v17, v4
	s_waitcnt lgkmcnt(0)
	v_add_f32_e32 v4, v4, v5
	v_div_scale_f32 v5, s[2:3], v4, v4, 1.0
	v_rcp_f32_e32 v6, v5
	v_div_scale_f32 v7, vcc, 1.0, v4, 1.0
	v_fma_f32 v8, -v5, v6, 1.0
	v_fmac_f32_e32 v6, v8, v6
	v_mul_f32_e32 v8, v7, v6
	v_fma_f32 v10, -v5, v8, v7
	v_fmac_f32_e32 v8, v10, v6
	v_fma_f32 v5, -v5, v8, v7
	v_div_fmas_f32 v5, v5, v6, v8
	v_div_fixup_f32 v4, v5, v4, 1.0
	v_mul_f32_e32 v0, v4, v0
	v_mul_f32_e32 v1, v4, v1
	v_cmp_class_f32_e64 vcc, v0, s8
	v_mul_f32_e32 v2, v4, v2
	v_cndmask_b32_e32 v0, 0, v0, vcc
	v_cmp_class_f32_e64 vcc, v1, s8
	v_mul_f32_e32 v3, v4, v3
	v_cndmask_b32_e32 v1, 0, v1, vcc
	v_cmp_class_f32_e64 vcc, v2, s8
	v_cndmask_b32_e32 v2, 0, v2, vcc
	v_cmp_class_f32_e64 vcc, v3, s8
	v_cndmask_b32_e32 v3, 0, v3, vcc
	s_cbranch_scc1 .LBB12_23
; %bb.4:
	v_lshlrev_b32_e32 v4, 2, v18
	global_load_dwordx4 v[4:7], v4, s[0:1]
	s_waitcnt vmcnt(0)
	v_pk_add_f32 v[4:5], v[4:5], v[0:1]
	v_pk_add_f32 v[6:7], v[6:7], v[2:3]
	s_cbranch_execnz .LBB12_6
.LBB12_5:
	v_pk_mov_b32 v[6:7], v[2:3], v[2:3] op_sel:[0,1]
	v_pk_mov_b32 v[4:5], v[0:1], v[0:1] op_sel:[0,1]
.LBB12_6:
	s_load_dwordx4 s[8:11], s[4:5], 0x30
	s_mov_b32 s25, 0
	v_cmp_eq_u32_e64 s[0:1], 0, v13
	s_waitcnt lgkmcnt(0)
	s_bitcmp1_b32 s11, 0
	s_cselect_b64 vcc, -1, 0
	s_cmp_gt_i32 s8, 0
	s_cselect_b64 s[20:21], -1, 0
	s_cmp_lt_i32 s8, 1
	s_cbranch_scc1 .LBB12_24
; %bb.7:
	s_load_dwordx4 s[12:15], s[4:5], 0x20
	v_mul_lo_u32 v20, v9, s8
	v_mov_b32_e32 v19, 0
	v_mov_b32_e32 v21, 0xc61c4000
	;; [unrolled: 1-line block ×3, first 2 shown]
	s_branch .LBB12_10
.LBB12_8:                               ;   in Loop: Header=BB12_10 Depth=1
	s_or_b64 exec, exec, s[4:5]
.LBB12_9:                               ;   in Loop: Header=BB12_10 Depth=1
	s_cmp_eq_u32 s8, s25
	v_add_u32_e32 v22, s24, v22
	s_cbranch_scc1 .LBB12_25
.LBB12_10:                              ; =>This Inner Loop Header: Depth=1
	v_cmp_gt_f32_e64 s[2:3], v5, v4
	v_cndmask_b32_e64 v8, v4, v5, s[2:3]
	v_cndmask_b32_e64 v10, v0, v1, s[2:3]
	s_waitcnt lgkmcnt(0)
	v_cndmask_b32_e64 v11, 0, 1, s[2:3]
	v_cmp_gt_f32_e64 s[2:3], v6, v8
	v_cndmask_b32_e64 v8, v8, v6, s[2:3]
	v_cndmask_b32_e64 v10, v10, v2, s[2:3]
	v_cndmask_b32_e64 v11, v11, 2, s[2:3]
	v_cmp_gt_f32_e64 s[2:3], v7, v8
	v_cndmask_b32_e64 v11, v11, 3, s[2:3]
	v_cndmask_b32_e64 v8, v8, v7, s[2:3]
	v_or_b32_e32 v11, v18, v11
	ds_bpermute_b32 v12, v14, v8
	ds_bpermute_b32 v23, v14, v11
	v_cndmask_b32_e64 v10, v10, v3, s[2:3]
	ds_bpermute_b32 v25, v14, v10
	s_waitcnt lgkmcnt(0)
	v_cmp_eq_f32_e64 s[4:5], v8, v12
	v_cmp_lt_i32_e64 s[6:7], v23, v11
	v_cmp_lt_f32_e64 s[2:3], v8, v12
	s_and_b64 s[4:5], s[4:5], s[6:7]
	s_or_b64 s[2:3], s[2:3], s[4:5]
	v_cndmask_b32_e64 v24, v11, v23, s[2:3]
	v_cndmask_b32_e64 v23, v8, v12, s[2:3]
	;; [unrolled: 1-line block ×3, first 2 shown]
	ds_bpermute_b32 v26, v15, v23
	ds_bpermute_b32 v12, v15, v8
	;; [unrolled: 1-line block ×3, first 2 shown]
                                        ; implicit-def: $vgpr10_vgpr11
	s_waitcnt lgkmcnt(2)
	v_cmp_lt_f32_e64 s[6:7], v23, v26
	v_cmp_nlt_f32_e64 s[2:3], v23, v26
	s_and_saveexec_b64 s[22:23], s[2:3]
	s_cbranch_execz .LBB12_12
; %bb.11:                               ;   in Loop: Header=BB12_10 Depth=1
	v_cmp_eq_f32_e64 s[2:3], v23, v26
	s_waitcnt lgkmcnt(0)
	v_cmp_lt_i32_e64 s[4:5], v25, v24
	s_and_b64 s[2:3], s[2:3], s[4:5]
	s_andn2_b64 s[4:5], s[6:7], exec
	s_and_b64 s[2:3], s[2:3], exec
	s_or_b64 s[6:7], s[4:5], s[2:3]
	v_pk_mov_b32 v[10:11], v[8:9], v[8:9] op_sel:[0,1]
.LBB12_12:                              ;   in Loop: Header=BB12_10 Depth=1
	s_or_b64 exec, exec, s[22:23]
	s_and_saveexec_b64 s[2:3], s[6:7]
	s_cbranch_execz .LBB12_14
; %bb.13:                               ;   in Loop: Header=BB12_10 Depth=1
	v_mov_b32_e32 v23, v26
	s_waitcnt lgkmcnt(1)
	v_mov_b32_e32 v8, v12
	s_waitcnt lgkmcnt(0)
	v_mov_b32_e32 v24, v25
	v_pk_mov_b32 v[10:11], v[12:13], v[12:13] op_sel:[0,1]
.LBB12_14:                              ;   in Loop: Header=BB12_10 Depth=1
	s_or_b64 exec, exec, s[2:3]
	s_waitcnt lgkmcnt(0)
	ds_bpermute_b32 v25, v16, v23
	ds_bpermute_b32 v12, v16, v8
	;; [unrolled: 1-line block ×3, first 2 shown]
	s_waitcnt lgkmcnt(2)
	v_cmp_lt_f32_e64 s[6:7], v23, v25
	v_cmp_nlt_f32_e64 s[2:3], v23, v25
	s_and_saveexec_b64 s[22:23], s[2:3]
	s_cbranch_execz .LBB12_16
; %bb.15:                               ;   in Loop: Header=BB12_10 Depth=1
	v_cmp_eq_f32_e64 s[2:3], v23, v25
	s_waitcnt lgkmcnt(0)
	v_cmp_lt_i32_e64 s[4:5], v11, v24
	s_and_b64 s[2:3], s[2:3], s[4:5]
	s_andn2_b64 s[4:5], s[6:7], exec
	s_and_b64 s[2:3], s[2:3], exec
	s_or_b64 s[6:7], s[4:5], s[2:3]
.LBB12_16:                              ;   in Loop: Header=BB12_10 Depth=1
	s_or_b64 exec, exec, s[22:23]
	s_and_saveexec_b64 s[2:3], s[6:7]
	s_cbranch_execz .LBB12_18
; %bb.17:                               ;   in Loop: Header=BB12_10 Depth=1
	v_mov_b32_e32 v23, v25
	s_waitcnt lgkmcnt(1)
	v_mov_b32_e32 v8, v12
	s_waitcnt lgkmcnt(0)
	v_mov_b32_e32 v24, v11
	v_pk_mov_b32 v[10:11], v[12:13], v[12:13] op_sel:[0,1]
.LBB12_18:                              ;   in Loop: Header=BB12_10 Depth=1
	s_or_b64 exec, exec, s[2:3]
	s_waitcnt lgkmcnt(1)
	ds_bpermute_b32 v12, v17, v23
	ds_bpermute_b32 v25, v17, v24
	s_waitcnt lgkmcnt(2)
	ds_bpermute_b32 v11, v17, v8
	s_waitcnt lgkmcnt(2)
	v_cmp_eq_f32_e64 s[4:5], v23, v12
	s_waitcnt lgkmcnt(1)
	v_cmp_lt_i32_e64 s[6:7], v25, v24
	v_cmp_lt_f32_e64 s[2:3], v23, v12
	s_and_b64 s[4:5], s[4:5], s[6:7]
	s_or_b64 s[2:3], s[2:3], s[4:5]
	v_cndmask_b32_e64 v8, v24, v25, s[2:3]
	s_and_saveexec_b64 s[6:7], s[0:1]
	s_cbranch_execnz .LBB12_20
; %bb.19:                               ;   in Loop: Header=BB12_10 Depth=1
	s_or_b64 exec, exec, s[6:7]
	s_add_i32 s25, s25, 1
	s_cmp_ge_i32 s25, s8
	s_cbranch_scc1 .LBB12_9
	s_branch .LBB12_21
.LBB12_20:                              ;   in Loop: Header=BB12_10 Depth=1
	s_waitcnt lgkmcnt(0)
	v_cndmask_b32_e64 v12, v10, v11, s[2:3]
	v_add_u32_e32 v10, s25, v20
	v_ashrrev_i32_e32 v11, 31, v10
	v_cmp_le_i32_e64 s[2:3], s9, v8
	v_cmp_gt_i32_e64 s[4:5], s10, v8
	v_lshlrev_b64 v[10:11], 2, v[10:11]
	s_and_b64 s[4:5], s[2:3], s[4:5]
	v_mov_b32_e32 v23, s17
	v_add_co_u32_e64 v24, s[2:3], s16, v10
	v_addc_co_u32_e64 v25, s[2:3], v23, v11, s[2:3]
	v_subrev_u32_e32 v23, s9, v8
	s_and_b64 s[2:3], s[18:19], s[4:5]
	global_store_dword v[24:25], v12, off
	v_cndmask_b32_e64 v23, 64, v23, s[2:3]
	v_mov_b32_e32 v25, s13
	v_add_co_u32_e64 v24, s[2:3], s12, v10
	v_addc_co_u32_e64 v25, s[2:3], v25, v11, s[2:3]
	global_store_dword v[24:25], v23, off
	v_mov_b32_e32 v23, s15
	v_add_co_u32_e64 v10, s[2:3], s14, v10
	v_addc_co_u32_e64 v11, s[2:3], v23, v11, s[2:3]
	global_store_dword v[10:11], v22, off
	v_add_f32_e32 v10, v19, v12
	v_cndmask_b32_e32 v19, v19, v10, vcc
	s_or_b64 exec, exec, s[6:7]
	s_add_i32 s25, s25, 1
	s_cmp_ge_i32 s25, s8
	s_cbranch_scc1 .LBB12_9
.LBB12_21:                              ;   in Loop: Header=BB12_10 Depth=1
	s_waitcnt lgkmcnt(0)
	v_ashrrev_i32_e32 v11, 31, v8
	v_lshrrev_b32_e32 v10, 30, v11
	v_add_u32_e32 v12, v8, v10
	v_ashrrev_i32_e32 v10, 2, v12
	v_ashrrev_i32_e32 v12, 31, v12
	v_lshrrev_b32_e32 v12, 28, v12
	v_add_u32_e32 v12, v10, v12
	v_and_b32_e32 v12, -16, v12
	v_sub_u32_e32 v12, v10, v12
	v_cmp_eq_u32_e64 s[2:3], v13, v12
	s_and_saveexec_b64 s[4:5], s[2:3]
	s_cbranch_execz .LBB12_8
; %bb.22:                               ;   in Loop: Header=BB12_10 Depth=1
	v_lshrrev_b32_e32 v11, 26, v11
	v_add_u32_e32 v11, v8, v11
	v_lshlrev_b32_e32 v10, 2, v10
	v_ashrrev_i32_e32 v11, 6, v11
	v_sub_u32_e32 v8, v8, v10
	v_lshl_add_u32 v8, v11, 2, v8
	v_cmp_ne_u32_e64 s[2:3], 3, v8
	v_cndmask_b32_e64 v7, v21, v7, s[2:3]
	v_cmp_ne_u32_e64 s[2:3], 2, v8
	v_cndmask_b32_e64 v6, v21, v6, s[2:3]
	;; [unrolled: 2-line block ×4, first 2 shown]
	s_branch .LBB12_8
.LBB12_23:
                                        ; implicit-def: $vgpr4_vgpr5_vgpr6_vgpr7
	s_andn2_b64 vcc, exec, s[6:7]
	s_cbranch_vccz .LBB12_5
	s_branch .LBB12_6
.LBB12_24:
	v_mov_b32_e32 v19, 0
.LBB12_25:
	v_cmp_eq_u32_e64 s[0:1], 0, v13
	s_and_b64 s[0:1], s[0:1], vcc
	s_and_b64 exec, exec, s[0:1]
	s_cbranch_execz .LBB12_34
; %bb.26:
	s_andn2_b64 vcc, exec, s[20:21]
	s_cbranch_vccnz .LBB12_34
; %bb.27:
	v_cmp_lt_f32_e32 vcc, 0, v19
	s_mov_b32 s2, 0
	v_cndmask_b32_e32 v0, 1.0, v19, vcc
	v_mul_lo_u32 v4, v9, s8
	s_cmp_eq_u32 s8, 1
	s_mov_b64 s[0:1], -1
	s_cbranch_scc1 .LBB12_31
; %bb.28:
	s_and_b32 s2, s8, 0x7ffffffe
	v_mov_b32_e32 v1, v0
	v_mov_b32_e32 v5, s17
	s_mov_b32 s3, s2
	v_mov_b32_e32 v2, v4
.LBB12_29:                              ; =>This Inner Loop Header: Depth=1
	v_ashrrev_i32_e32 v3, 31, v2
	v_lshlrev_b64 v[6:7], 2, v[2:3]
	v_add_co_u32_e32 v6, vcc, s16, v6
	v_addc_co_u32_e32 v7, vcc, v5, v7, vcc
	global_load_dwordx2 v[8:9], v[6:7], off
	s_add_i32 s3, s3, -2
	s_cmp_lg_u32 s3, 0
	v_add_u32_e32 v2, 2, v2
	s_waitcnt vmcnt(0)
	v_div_scale_f32 v3, s[0:1], v1, v1, v9
	s_waitcnt lgkmcnt(0)
	v_div_scale_f32 v11, s[0:1], v0, v0, v8
	v_rcp_f32_e32 v12, v3
	v_rcp_f32_e32 v13, v11
	v_div_scale_f32 v10, vcc, v9, v1, v9
	v_fma_f32 v15, -v3, v12, 1.0
	v_fma_f32 v16, -v11, v13, 1.0
	v_fmac_f32_e32 v12, v15, v12
	v_div_scale_f32 v14, s[0:1], v8, v0, v8
	v_fmac_f32_e32 v13, v16, v13
	v_mul_f32_e32 v15, v10, v12
	v_mul_f32_e32 v16, v14, v13
	v_fma_f32 v17, -v3, v15, v10
	v_fma_f32 v18, -v11, v16, v14
	v_fmac_f32_e32 v15, v17, v12
	v_fmac_f32_e32 v16, v18, v13
	v_fma_f32 v3, -v3, v15, v10
	v_fma_f32 v10, -v11, v16, v14
	v_div_fmas_f32 v3, v3, v12, v15
	s_mov_b64 vcc, s[0:1]
	v_div_fixup_f32 v9, v3, v1, v9
	v_div_fmas_f32 v3, v10, v13, v16
	v_div_fixup_f32 v8, v3, v0, v8
	global_store_dwordx2 v[6:7], v[8:9], off
	s_cbranch_scc1 .LBB12_29
; %bb.30:
	s_cmp_lg_u32 s2, s8
	s_cselect_b64 s[0:1], -1, 0
.LBB12_31:
	s_and_b64 vcc, exec, s[0:1]
	s_cbranch_vccz .LBB12_34
; %bb.32:
	v_ashrrev_i32_e32 v1, 31, v4
	v_add_co_u32_e32 v2, vcc, s2, v4
	v_addc_co_u32_e32 v3, vcc, 0, v1, vcc
	v_lshlrev_b64 v[2:3], 2, v[2:3]
	v_mov_b32_e32 v1, s17
	v_add_co_u32_e32 v2, vcc, s16, v2
	s_sub_i32 s0, s8, s2
	v_addc_co_u32_e32 v3, vcc, v1, v3, vcc
.LBB12_33:                              ; =>This Inner Loop Header: Depth=1
	global_load_dword v1, v[2:3], off
	s_add_i32 s0, s0, -1
	s_cmp_lg_u32 s0, 0
	s_waitcnt vmcnt(0)
	v_div_scale_f32 v4, s[2:3], v0, v0, v1
	v_rcp_f32_e32 v5, v4
	v_div_scale_f32 v6, vcc, v1, v0, v1
	v_fma_f32 v7, -v4, v5, 1.0
	v_fmac_f32_e32 v5, v7, v5
	v_mul_f32_e32 v7, v6, v5
	v_fma_f32 v8, -v4, v7, v6
	v_fmac_f32_e32 v7, v8, v5
	v_fma_f32 v4, -v4, v7, v6
	v_div_fmas_f32 v4, v4, v5, v7
	v_div_fixup_f32 v1, v4, v0, v1
	global_store_dword v[2:3], v1, off
	v_add_co_u32_e32 v2, vcc, 4, v2
	v_addc_co_u32_e32 v3, vcc, 0, v3, vcc
	s_cbranch_scc1 .LBB12_33
.LBB12_34:
	s_endpgm
	.section	.rodata,"a",@progbits
	.p2align	6, 0x0
	.amdhsa_kernel _ZN4vllm3moe10topkGatingILi4ELi64ELi4ELi16ELi64EifLNS0_11ScoringFuncE0EEEvPKT5_PKbPfiPT4_PiiiibPKf
		.amdhsa_group_segment_fixed_size 0
		.amdhsa_private_segment_fixed_size 0
		.amdhsa_kernarg_size 72
		.amdhsa_user_sgpr_count 6
		.amdhsa_user_sgpr_private_segment_buffer 1
		.amdhsa_user_sgpr_dispatch_ptr 0
		.amdhsa_user_sgpr_queue_ptr 0
		.amdhsa_user_sgpr_kernarg_segment_ptr 1
		.amdhsa_user_sgpr_dispatch_id 0
		.amdhsa_user_sgpr_flat_scratch_init 0
		.amdhsa_user_sgpr_kernarg_preload_length 0
		.amdhsa_user_sgpr_kernarg_preload_offset 0
		.amdhsa_user_sgpr_private_segment_size 0
		.amdhsa_uses_dynamic_stack 0
		.amdhsa_system_sgpr_private_segment_wavefront_offset 0
		.amdhsa_system_sgpr_workgroup_id_x 1
		.amdhsa_system_sgpr_workgroup_id_y 0
		.amdhsa_system_sgpr_workgroup_id_z 0
		.amdhsa_system_sgpr_workgroup_info 0
		.amdhsa_system_vgpr_workitem_id 1
		.amdhsa_next_free_vgpr 27
		.amdhsa_next_free_sgpr 26
		.amdhsa_accum_offset 28
		.amdhsa_reserve_vcc 1
		.amdhsa_reserve_flat_scratch 0
		.amdhsa_float_round_mode_32 0
		.amdhsa_float_round_mode_16_64 0
		.amdhsa_float_denorm_mode_32 3
		.amdhsa_float_denorm_mode_16_64 3
		.amdhsa_dx10_clamp 1
		.amdhsa_ieee_mode 1
		.amdhsa_fp16_overflow 0
		.amdhsa_tg_split 0
		.amdhsa_exception_fp_ieee_invalid_op 0
		.amdhsa_exception_fp_denorm_src 0
		.amdhsa_exception_fp_ieee_div_zero 0
		.amdhsa_exception_fp_ieee_overflow 0
		.amdhsa_exception_fp_ieee_underflow 0
		.amdhsa_exception_fp_ieee_inexact 0
		.amdhsa_exception_int_div_zero 0
	.end_amdhsa_kernel
	.section	.text._ZN4vllm3moe10topkGatingILi4ELi64ELi4ELi16ELi64EifLNS0_11ScoringFuncE0EEEvPKT5_PKbPfiPT4_PiiiibPKf,"axG",@progbits,_ZN4vllm3moe10topkGatingILi4ELi64ELi4ELi16ELi64EifLNS0_11ScoringFuncE0EEEvPKT5_PKbPfiPT4_PiiiibPKf,comdat
.Lfunc_end12:
	.size	_ZN4vllm3moe10topkGatingILi4ELi64ELi4ELi16ELi64EifLNS0_11ScoringFuncE0EEEvPKT5_PKbPfiPT4_PiiiibPKf, .Lfunc_end12-_ZN4vllm3moe10topkGatingILi4ELi64ELi4ELi16ELi64EifLNS0_11ScoringFuncE0EEEvPKT5_PKbPfiPT4_PiiiibPKf
                                        ; -- End function
	.section	.AMDGPU.csdata,"",@progbits
; Kernel info:
; codeLenInByte = 2468
; NumSgprs: 30
; NumVgprs: 27
; NumAgprs: 0
; TotalNumVgprs: 27
; ScratchSize: 0
; MemoryBound: 0
; FloatMode: 240
; IeeeMode: 1
; LDSByteSize: 0 bytes/workgroup (compile time only)
; SGPRBlocks: 3
; VGPRBlocks: 3
; NumSGPRsForWavesPerEU: 30
; NumVGPRsForWavesPerEU: 27
; AccumOffset: 28
; Occupancy: 8
; WaveLimiterHint : 0
; COMPUTE_PGM_RSRC2:SCRATCH_EN: 0
; COMPUTE_PGM_RSRC2:USER_SGPR: 6
; COMPUTE_PGM_RSRC2:TRAP_HANDLER: 0
; COMPUTE_PGM_RSRC2:TGID_X_EN: 1
; COMPUTE_PGM_RSRC2:TGID_Y_EN: 0
; COMPUTE_PGM_RSRC2:TGID_Z_EN: 0
; COMPUTE_PGM_RSRC2:TIDIG_COMP_CNT: 1
; COMPUTE_PGM_RSRC3_GFX90A:ACCUM_OFFSET: 6
; COMPUTE_PGM_RSRC3_GFX90A:TG_SPLIT: 0
	.section	.text._ZN4vllm3moe10topkGatingILi4ELi64ELi4ELi16ELi32EifLNS0_11ScoringFuncE0EEEvPKT5_PKbPfiPT4_PiiiibPKf,"axG",@progbits,_ZN4vllm3moe10topkGatingILi4ELi64ELi4ELi16ELi32EifLNS0_11ScoringFuncE0EEEvPKT5_PKbPfiPT4_PiiiibPKf,comdat
	.protected	_ZN4vllm3moe10topkGatingILi4ELi64ELi4ELi16ELi32EifLNS0_11ScoringFuncE0EEEvPKT5_PKbPfiPT4_PiiiibPKf ; -- Begin function _ZN4vllm3moe10topkGatingILi4ELi64ELi4ELi16ELi32EifLNS0_11ScoringFuncE0EEEvPKT5_PKbPfiPT4_PiiiibPKf
	.globl	_ZN4vllm3moe10topkGatingILi4ELi64ELi4ELi16ELi32EifLNS0_11ScoringFuncE0EEEvPKT5_PKbPfiPT4_PiiiibPKf
	.p2align	8
	.type	_ZN4vllm3moe10topkGatingILi4ELi64ELi4ELi16ELi32EifLNS0_11ScoringFuncE0EEEvPKT5_PKbPfiPT4_PiiiibPKf,@function
_ZN4vllm3moe10topkGatingILi4ELi64ELi4ELi16ELi32EifLNS0_11ScoringFuncE0EEEvPKT5_PKbPfiPT4_PiiiibPKf: ; @_ZN4vllm3moe10topkGatingILi4ELi64ELi4ELi16ELi32EifLNS0_11ScoringFuncE0EEEvPKT5_PKbPfiPT4_PiiiibPKf
; %bb.0:
	s_load_dword s24, s[4:5], 0x18
	v_bfe_u32 v1, v0, 10, 10
	v_and_b32_e32 v0, 0x3ff, v0
	s_lshl_b32 s0, s6, 3
	v_lshlrev_b32_e32 v1, 1, v1
	v_lshrrev_b32_e32 v2, 4, v0
	v_add3_u32 v9, s0, v1, v2
	s_waitcnt lgkmcnt(0)
	v_cmp_gt_i32_e32 vcc, s24, v9
	s_and_saveexec_b64 s[0:1], vcc
	s_cbranch_execz .LBB13_34
; %bb.1:
	s_load_dwordx4 s[0:3], s[4:5], 0x0
	s_load_dwordx2 s[16:17], s[4:5], 0x10
	s_mov_b64 s[6:7], -1
	s_mov_b64 s[18:19], -1
	s_waitcnt lgkmcnt(0)
	s_cmp_eq_u64 s[2:3], 0
	s_cbranch_scc1 .LBB13_3
; %bb.2:
	v_ashrrev_i32_e32 v1, 31, v9
	v_mov_b32_e32 v3, s3
	v_add_co_u32_e32 v2, vcc, s2, v9
	v_addc_co_u32_e32 v3, vcc, v3, v1, vcc
	global_load_ubyte v1, v[2:3], off
	s_waitcnt vmcnt(0)
	v_and_b32_e32 v1, 1, v1
	v_cmp_eq_u32_e32 vcc, 1, v1
	s_xor_b64 s[2:3], vcc, -1
	s_orn2_b64 s[18:19], s[2:3], exec
.LBB13_3:
	v_lshlrev_b32_e32 v2, 6, v9
	v_ashrrev_i32_e32 v3, 31, v2
	v_lshlrev_b64 v[2:3], 2, v[2:3]
	v_mov_b32_e32 v1, s1
	v_add_co_u32_e32 v2, vcc, s0, v2
	v_and_b32_e32 v13, 15, v0
	v_addc_co_u32_e32 v1, vcc, v1, v3, vcc
	v_lshlrev_b32_e32 v0, 4, v13
	v_add_co_u32_e32 v0, vcc, v2, v0
	v_addc_co_u32_e32 v1, vcc, 0, v1, vcc
	global_load_dwordx4 v[0:3], v[0:1], off
	v_mbcnt_lo_u32_b32 v4, -1, 0
	v_mbcnt_hi_u32_b32 v4, -1, v4
	v_and_b32_e32 v5, 0x70, v4
	v_xor_b32_e32 v6, 8, v4
	v_add_u32_e32 v5, 16, v5
	v_cmp_lt_i32_e32 vcc, v6, v5
	v_cndmask_b32_e32 v6, v4, v6, vcc
	v_lshlrev_b32_e32 v14, 2, v6
	v_xor_b32_e32 v8, 4, v4
	v_cmp_lt_i32_e32 vcc, v8, v5
	v_cndmask_b32_e32 v8, v4, v8, vcc
	v_lshlrev_b32_e32 v15, 2, v8
	v_xor_b32_e32 v8, 2, v4
	;; [unrolled: 4-line block ×3, first 2 shown]
	v_cmp_lt_i32_e32 vcc, v8, v5
	v_cndmask_b32_e32 v4, v4, v8, vcc
	v_lshlrev_b32_e32 v17, 2, v4
	s_mov_b32 s0, 0x3fb8aa3b
	s_mov_b32 s1, 0xc2ce8ed0
	;; [unrolled: 1-line block ×3, first 2 shown]
	s_movk_i32 s8, 0x1f8
	s_waitcnt vmcnt(0)
	v_max_f32_e32 v6, v1, v1
	v_max_f32_e32 v7, v0, v0
	;; [unrolled: 1-line block ×3, first 2 shown]
	v_max3_f32 v6, v6, v2, v3
	ds_bpermute_b32 v7, v14, v6
	s_waitcnt lgkmcnt(0)
	v_max_f32_e32 v7, v7, v7
	v_max_f32_e32 v6, v6, v7
	ds_bpermute_b32 v7, v15, v6
	s_waitcnt lgkmcnt(0)
	v_max_f32_e32 v7, v7, v7
	v_max_f32_e32 v6, v6, v7
	;; [unrolled: 4-line block ×3, first 2 shown]
	ds_bpermute_b32 v5, v17, v4
	v_mov_b32_e32 v6, 0x7f800000
	s_waitcnt lgkmcnt(0)
	v_max_f32_e32 v5, v5, v5
	v_max_f32_e32 v4, v4, v5
	v_pk_add_f32 v[0:1], v[0:1], v[4:5] op_sel_hi:[1,0] neg_lo:[0,1] neg_hi:[0,1]
	v_sub_f32_e32 v2, v2, v4
	v_sub_f32_e32 v3, v3, v4
	v_mul_f32_e32 v4, 0x3fb8aa3b, v1
	v_mul_f32_e32 v5, 0x3fb8aa3b, v0
	v_fma_f32 v10, v1, s0, -v4
	v_rndne_f32_e32 v11, v4
	v_mul_f32_e32 v7, 0x3fb8aa3b, v2
	v_fma_f32 v12, v0, s0, -v5
	v_rndne_f32_e32 v18, v5
	v_fmac_f32_e32 v10, 0x32a5705f, v1
	v_sub_f32_e32 v4, v4, v11
	v_mul_f32_e32 v8, 0x3fb8aa3b, v3
	v_fma_f32 v19, v2, s0, -v7
	v_rndne_f32_e32 v20, v7
	v_fmac_f32_e32 v12, 0x32a5705f, v0
	v_sub_f32_e32 v5, v5, v18
	v_add_f32_e32 v4, v4, v10
	v_fma_f32 v21, v3, s0, -v8
	v_rndne_f32_e32 v22, v8
	v_cvt_i32_f32_e32 v11, v11
	v_fmac_f32_e32 v19, 0x32a5705f, v2
	v_sub_f32_e32 v7, v7, v20
	v_add_f32_e32 v5, v5, v12
	v_exp_f32_e32 v4, v4
	v_cvt_i32_f32_e32 v18, v18
	v_fmac_f32_e32 v21, 0x32a5705f, v3
	v_sub_f32_e32 v8, v8, v22
	v_add_f32_e32 v7, v7, v19
	v_exp_f32_e32 v5, v5
	v_cvt_i32_f32_e32 v20, v20
	v_add_f32_e32 v8, v8, v21
	v_exp_f32_e32 v7, v7
	v_cvt_i32_f32_e32 v22, v22
	v_exp_f32_e32 v8, v8
	v_ldexp_f32 v4, v4, v11
	v_cmp_ngt_f32_e32 vcc, s1, v1
	v_ldexp_f32 v5, v5, v18
	v_cndmask_b32_e32 v4, 0, v4, vcc
	v_cmp_ngt_f32_e32 vcc, s1, v0
	v_ldexp_f32 v7, v7, v20
	v_cndmask_b32_e32 v5, 0, v5, vcc
	;; [unrolled: 3-line block ×3, first 2 shown]
	v_cmp_ngt_f32_e32 vcc, s1, v3
	v_cndmask_b32_e32 v8, 0, v8, vcc
	v_cmp_nlt_f32_e32 vcc, s2, v1
	v_cndmask_b32_e32 v1, v6, v4, vcc
	v_cmp_nlt_f32_e32 vcc, s2, v0
	;; [unrolled: 2-line block ×4, first 2 shown]
	v_add_f32_e32 v4, v0, v1
	v_cndmask_b32_e32 v3, v6, v8, vcc
	v_add_f32_e32 v4, v4, v2
	v_add_f32_e32 v4, v4, v3
	ds_bpermute_b32 v5, v14, v4
	s_load_dwordx2 s[0:1], s[4:5], 0x40
	v_lshlrev_b32_e32 v18, 2, v13
	s_waitcnt lgkmcnt(0)
	v_add_f32_e32 v4, v4, v5
	ds_bpermute_b32 v5, v15, v4
	s_cmp_eq_u64 s[0:1], 0
	s_waitcnt lgkmcnt(0)
	v_add_f32_e32 v4, v4, v5
	ds_bpermute_b32 v5, v16, v4
	s_waitcnt lgkmcnt(0)
	v_add_f32_e32 v4, v4, v5
	ds_bpermute_b32 v5, v17, v4
	s_waitcnt lgkmcnt(0)
	v_add_f32_e32 v4, v4, v5
	v_div_scale_f32 v5, s[2:3], v4, v4, 1.0
	v_rcp_f32_e32 v6, v5
	v_div_scale_f32 v7, vcc, 1.0, v4, 1.0
	v_fma_f32 v8, -v5, v6, 1.0
	v_fmac_f32_e32 v6, v8, v6
	v_mul_f32_e32 v8, v7, v6
	v_fma_f32 v10, -v5, v8, v7
	v_fmac_f32_e32 v8, v10, v6
	v_fma_f32 v5, -v5, v8, v7
	v_div_fmas_f32 v5, v5, v6, v8
	v_div_fixup_f32 v4, v5, v4, 1.0
	v_mul_f32_e32 v0, v4, v0
	v_mul_f32_e32 v1, v4, v1
	v_cmp_class_f32_e64 vcc, v0, s8
	v_mul_f32_e32 v2, v4, v2
	v_cndmask_b32_e32 v0, 0, v0, vcc
	v_cmp_class_f32_e64 vcc, v1, s8
	v_mul_f32_e32 v3, v4, v3
	v_cndmask_b32_e32 v1, 0, v1, vcc
	v_cmp_class_f32_e64 vcc, v2, s8
	v_cndmask_b32_e32 v2, 0, v2, vcc
	v_cmp_class_f32_e64 vcc, v3, s8
	v_cndmask_b32_e32 v3, 0, v3, vcc
	s_cbranch_scc1 .LBB13_23
; %bb.4:
	v_lshlrev_b32_e32 v4, 2, v18
	global_load_dwordx4 v[4:7], v4, s[0:1]
	s_waitcnt vmcnt(0)
	v_pk_add_f32 v[4:5], v[4:5], v[0:1]
	v_pk_add_f32 v[6:7], v[6:7], v[2:3]
	s_cbranch_execnz .LBB13_6
.LBB13_5:
	v_pk_mov_b32 v[6:7], v[2:3], v[2:3] op_sel:[0,1]
	v_pk_mov_b32 v[4:5], v[0:1], v[0:1] op_sel:[0,1]
.LBB13_6:
	s_load_dwordx4 s[8:11], s[4:5], 0x30
	s_mov_b32 s25, 0
	v_cmp_eq_u32_e64 s[0:1], 0, v13
	s_waitcnt lgkmcnt(0)
	s_bitcmp1_b32 s11, 0
	s_cselect_b64 vcc, -1, 0
	s_cmp_gt_i32 s8, 0
	s_cselect_b64 s[20:21], -1, 0
	s_cmp_lt_i32 s8, 1
	s_cbranch_scc1 .LBB13_24
; %bb.7:
	s_load_dwordx4 s[12:15], s[4:5], 0x20
	v_mul_lo_u32 v20, v9, s8
	v_mov_b32_e32 v19, 0
	v_mov_b32_e32 v21, 0xc61c4000
	;; [unrolled: 1-line block ×3, first 2 shown]
	s_branch .LBB13_10
.LBB13_8:                               ;   in Loop: Header=BB13_10 Depth=1
	s_or_b64 exec, exec, s[4:5]
.LBB13_9:                               ;   in Loop: Header=BB13_10 Depth=1
	s_cmp_eq_u32 s8, s25
	v_add_u32_e32 v22, s24, v22
	s_cbranch_scc1 .LBB13_25
.LBB13_10:                              ; =>This Inner Loop Header: Depth=1
	v_cmp_gt_f32_e64 s[2:3], v5, v4
	v_cndmask_b32_e64 v8, v4, v5, s[2:3]
	v_cndmask_b32_e64 v10, v0, v1, s[2:3]
	s_waitcnt lgkmcnt(0)
	v_cndmask_b32_e64 v11, 0, 1, s[2:3]
	v_cmp_gt_f32_e64 s[2:3], v6, v8
	v_cndmask_b32_e64 v8, v8, v6, s[2:3]
	v_cndmask_b32_e64 v10, v10, v2, s[2:3]
	;; [unrolled: 1-line block ×3, first 2 shown]
	v_cmp_gt_f32_e64 s[2:3], v7, v8
	v_cndmask_b32_e64 v11, v11, 3, s[2:3]
	v_cndmask_b32_e64 v8, v8, v7, s[2:3]
	v_or_b32_e32 v11, v18, v11
	ds_bpermute_b32 v12, v14, v8
	ds_bpermute_b32 v23, v14, v11
	v_cndmask_b32_e64 v10, v10, v3, s[2:3]
	ds_bpermute_b32 v25, v14, v10
	s_waitcnt lgkmcnt(0)
	v_cmp_eq_f32_e64 s[4:5], v8, v12
	v_cmp_lt_i32_e64 s[6:7], v23, v11
	v_cmp_lt_f32_e64 s[2:3], v8, v12
	s_and_b64 s[4:5], s[4:5], s[6:7]
	s_or_b64 s[2:3], s[2:3], s[4:5]
	v_cndmask_b32_e64 v24, v11, v23, s[2:3]
	v_cndmask_b32_e64 v23, v8, v12, s[2:3]
	;; [unrolled: 1-line block ×3, first 2 shown]
	ds_bpermute_b32 v26, v15, v23
	ds_bpermute_b32 v12, v15, v8
	;; [unrolled: 1-line block ×3, first 2 shown]
                                        ; implicit-def: $vgpr10_vgpr11
	s_waitcnt lgkmcnt(2)
	v_cmp_lt_f32_e64 s[6:7], v23, v26
	v_cmp_nlt_f32_e64 s[2:3], v23, v26
	s_and_saveexec_b64 s[22:23], s[2:3]
	s_cbranch_execz .LBB13_12
; %bb.11:                               ;   in Loop: Header=BB13_10 Depth=1
	v_cmp_eq_f32_e64 s[2:3], v23, v26
	s_waitcnt lgkmcnt(0)
	v_cmp_lt_i32_e64 s[4:5], v25, v24
	s_and_b64 s[2:3], s[2:3], s[4:5]
	s_andn2_b64 s[4:5], s[6:7], exec
	s_and_b64 s[2:3], s[2:3], exec
	s_or_b64 s[6:7], s[4:5], s[2:3]
	v_pk_mov_b32 v[10:11], v[8:9], v[8:9] op_sel:[0,1]
.LBB13_12:                              ;   in Loop: Header=BB13_10 Depth=1
	s_or_b64 exec, exec, s[22:23]
	s_and_saveexec_b64 s[2:3], s[6:7]
	s_cbranch_execz .LBB13_14
; %bb.13:                               ;   in Loop: Header=BB13_10 Depth=1
	v_mov_b32_e32 v23, v26
	s_waitcnt lgkmcnt(1)
	v_mov_b32_e32 v8, v12
	s_waitcnt lgkmcnt(0)
	v_mov_b32_e32 v24, v25
	v_pk_mov_b32 v[10:11], v[12:13], v[12:13] op_sel:[0,1]
.LBB13_14:                              ;   in Loop: Header=BB13_10 Depth=1
	s_or_b64 exec, exec, s[2:3]
	s_waitcnt lgkmcnt(0)
	ds_bpermute_b32 v25, v16, v23
	ds_bpermute_b32 v12, v16, v8
	;; [unrolled: 1-line block ×3, first 2 shown]
	s_waitcnt lgkmcnt(2)
	v_cmp_lt_f32_e64 s[6:7], v23, v25
	v_cmp_nlt_f32_e64 s[2:3], v23, v25
	s_and_saveexec_b64 s[22:23], s[2:3]
	s_cbranch_execz .LBB13_16
; %bb.15:                               ;   in Loop: Header=BB13_10 Depth=1
	v_cmp_eq_f32_e64 s[2:3], v23, v25
	s_waitcnt lgkmcnt(0)
	v_cmp_lt_i32_e64 s[4:5], v11, v24
	s_and_b64 s[2:3], s[2:3], s[4:5]
	s_andn2_b64 s[4:5], s[6:7], exec
	s_and_b64 s[2:3], s[2:3], exec
	s_or_b64 s[6:7], s[4:5], s[2:3]
.LBB13_16:                              ;   in Loop: Header=BB13_10 Depth=1
	s_or_b64 exec, exec, s[22:23]
	s_and_saveexec_b64 s[2:3], s[6:7]
	s_cbranch_execz .LBB13_18
; %bb.17:                               ;   in Loop: Header=BB13_10 Depth=1
	v_mov_b32_e32 v23, v25
	s_waitcnt lgkmcnt(1)
	v_mov_b32_e32 v8, v12
	s_waitcnt lgkmcnt(0)
	v_mov_b32_e32 v24, v11
	v_pk_mov_b32 v[10:11], v[12:13], v[12:13] op_sel:[0,1]
.LBB13_18:                              ;   in Loop: Header=BB13_10 Depth=1
	s_or_b64 exec, exec, s[2:3]
	s_waitcnt lgkmcnt(1)
	ds_bpermute_b32 v12, v17, v23
	ds_bpermute_b32 v25, v17, v24
	s_waitcnt lgkmcnt(2)
	ds_bpermute_b32 v11, v17, v8
	s_waitcnt lgkmcnt(2)
	v_cmp_eq_f32_e64 s[4:5], v23, v12
	s_waitcnt lgkmcnt(1)
	v_cmp_lt_i32_e64 s[6:7], v25, v24
	v_cmp_lt_f32_e64 s[2:3], v23, v12
	s_and_b64 s[4:5], s[4:5], s[6:7]
	s_or_b64 s[2:3], s[2:3], s[4:5]
	v_cndmask_b32_e64 v8, v24, v25, s[2:3]
	s_and_saveexec_b64 s[6:7], s[0:1]
	s_cbranch_execnz .LBB13_20
; %bb.19:                               ;   in Loop: Header=BB13_10 Depth=1
	s_or_b64 exec, exec, s[6:7]
	s_add_i32 s25, s25, 1
	s_cmp_ge_i32 s25, s8
	s_cbranch_scc1 .LBB13_9
	s_branch .LBB13_21
.LBB13_20:                              ;   in Loop: Header=BB13_10 Depth=1
	s_waitcnt lgkmcnt(0)
	v_cndmask_b32_e64 v12, v10, v11, s[2:3]
	v_add_u32_e32 v10, s25, v20
	v_ashrrev_i32_e32 v11, 31, v10
	v_cmp_le_i32_e64 s[2:3], s9, v8
	v_cmp_gt_i32_e64 s[4:5], s10, v8
	v_lshlrev_b64 v[10:11], 2, v[10:11]
	s_and_b64 s[4:5], s[2:3], s[4:5]
	v_mov_b32_e32 v23, s17
	v_add_co_u32_e64 v24, s[2:3], s16, v10
	v_addc_co_u32_e64 v25, s[2:3], v23, v11, s[2:3]
	v_subrev_u32_e32 v23, s9, v8
	s_and_b64 s[2:3], s[18:19], s[4:5]
	global_store_dword v[24:25], v12, off
	v_cndmask_b32_e64 v23, 64, v23, s[2:3]
	v_mov_b32_e32 v25, s13
	v_add_co_u32_e64 v24, s[2:3], s12, v10
	v_addc_co_u32_e64 v25, s[2:3], v25, v11, s[2:3]
	global_store_dword v[24:25], v23, off
	v_mov_b32_e32 v23, s15
	v_add_co_u32_e64 v10, s[2:3], s14, v10
	v_addc_co_u32_e64 v11, s[2:3], v23, v11, s[2:3]
	global_store_dword v[10:11], v22, off
	v_add_f32_e32 v10, v19, v12
	v_cndmask_b32_e32 v19, v19, v10, vcc
	s_or_b64 exec, exec, s[6:7]
	s_add_i32 s25, s25, 1
	s_cmp_ge_i32 s25, s8
	s_cbranch_scc1 .LBB13_9
.LBB13_21:                              ;   in Loop: Header=BB13_10 Depth=1
	s_waitcnt lgkmcnt(0)
	v_ashrrev_i32_e32 v11, 31, v8
	v_lshrrev_b32_e32 v10, 30, v11
	v_add_u32_e32 v12, v8, v10
	v_ashrrev_i32_e32 v10, 2, v12
	v_ashrrev_i32_e32 v12, 31, v12
	v_lshrrev_b32_e32 v12, 28, v12
	v_add_u32_e32 v12, v10, v12
	v_and_b32_e32 v12, -16, v12
	v_sub_u32_e32 v12, v10, v12
	v_cmp_eq_u32_e64 s[2:3], v13, v12
	s_and_saveexec_b64 s[4:5], s[2:3]
	s_cbranch_execz .LBB13_8
; %bb.22:                               ;   in Loop: Header=BB13_10 Depth=1
	v_lshrrev_b32_e32 v11, 26, v11
	v_add_u32_e32 v11, v8, v11
	v_lshlrev_b32_e32 v10, 2, v10
	v_ashrrev_i32_e32 v11, 6, v11
	v_sub_u32_e32 v8, v8, v10
	v_lshl_add_u32 v8, v11, 2, v8
	v_cmp_ne_u32_e64 s[2:3], 3, v8
	v_cndmask_b32_e64 v7, v21, v7, s[2:3]
	v_cmp_ne_u32_e64 s[2:3], 2, v8
	v_cndmask_b32_e64 v6, v21, v6, s[2:3]
	;; [unrolled: 2-line block ×4, first 2 shown]
	s_branch .LBB13_8
.LBB13_23:
                                        ; implicit-def: $vgpr4_vgpr5_vgpr6_vgpr7
	s_andn2_b64 vcc, exec, s[6:7]
	s_cbranch_vccz .LBB13_5
	s_branch .LBB13_6
.LBB13_24:
	v_mov_b32_e32 v19, 0
.LBB13_25:
	v_cmp_eq_u32_e64 s[0:1], 0, v13
	s_and_b64 s[0:1], s[0:1], vcc
	s_and_b64 exec, exec, s[0:1]
	s_cbranch_execz .LBB13_34
; %bb.26:
	s_andn2_b64 vcc, exec, s[20:21]
	s_cbranch_vccnz .LBB13_34
; %bb.27:
	v_cmp_lt_f32_e32 vcc, 0, v19
	s_mov_b32 s2, 0
	v_cndmask_b32_e32 v0, 1.0, v19, vcc
	v_mul_lo_u32 v4, v9, s8
	s_cmp_eq_u32 s8, 1
	s_mov_b64 s[0:1], -1
	s_cbranch_scc1 .LBB13_31
; %bb.28:
	s_and_b32 s2, s8, 0x7ffffffe
	v_mov_b32_e32 v1, v0
	v_mov_b32_e32 v5, s17
	s_mov_b32 s3, s2
	v_mov_b32_e32 v2, v4
.LBB13_29:                              ; =>This Inner Loop Header: Depth=1
	v_ashrrev_i32_e32 v3, 31, v2
	v_lshlrev_b64 v[6:7], 2, v[2:3]
	v_add_co_u32_e32 v6, vcc, s16, v6
	v_addc_co_u32_e32 v7, vcc, v5, v7, vcc
	global_load_dwordx2 v[8:9], v[6:7], off
	s_add_i32 s3, s3, -2
	s_cmp_lg_u32 s3, 0
	v_add_u32_e32 v2, 2, v2
	s_waitcnt vmcnt(0)
	v_div_scale_f32 v3, s[0:1], v1, v1, v9
	s_waitcnt lgkmcnt(0)
	v_div_scale_f32 v11, s[0:1], v0, v0, v8
	v_rcp_f32_e32 v12, v3
	v_rcp_f32_e32 v13, v11
	v_div_scale_f32 v10, vcc, v9, v1, v9
	v_fma_f32 v15, -v3, v12, 1.0
	v_fma_f32 v16, -v11, v13, 1.0
	v_fmac_f32_e32 v12, v15, v12
	v_div_scale_f32 v14, s[0:1], v8, v0, v8
	v_fmac_f32_e32 v13, v16, v13
	v_mul_f32_e32 v15, v10, v12
	v_mul_f32_e32 v16, v14, v13
	v_fma_f32 v17, -v3, v15, v10
	v_fma_f32 v18, -v11, v16, v14
	v_fmac_f32_e32 v15, v17, v12
	v_fmac_f32_e32 v16, v18, v13
	v_fma_f32 v3, -v3, v15, v10
	v_fma_f32 v10, -v11, v16, v14
	v_div_fmas_f32 v3, v3, v12, v15
	s_mov_b64 vcc, s[0:1]
	v_div_fixup_f32 v9, v3, v1, v9
	v_div_fmas_f32 v3, v10, v13, v16
	v_div_fixup_f32 v8, v3, v0, v8
	global_store_dwordx2 v[6:7], v[8:9], off
	s_cbranch_scc1 .LBB13_29
; %bb.30:
	s_cmp_lg_u32 s2, s8
	s_cselect_b64 s[0:1], -1, 0
.LBB13_31:
	s_and_b64 vcc, exec, s[0:1]
	s_cbranch_vccz .LBB13_34
; %bb.32:
	v_ashrrev_i32_e32 v1, 31, v4
	v_add_co_u32_e32 v2, vcc, s2, v4
	v_addc_co_u32_e32 v3, vcc, 0, v1, vcc
	v_lshlrev_b64 v[2:3], 2, v[2:3]
	v_mov_b32_e32 v1, s17
	v_add_co_u32_e32 v2, vcc, s16, v2
	s_sub_i32 s0, s8, s2
	v_addc_co_u32_e32 v3, vcc, v1, v3, vcc
.LBB13_33:                              ; =>This Inner Loop Header: Depth=1
	global_load_dword v1, v[2:3], off
	s_add_i32 s0, s0, -1
	s_cmp_lg_u32 s0, 0
	s_waitcnt vmcnt(0)
	v_div_scale_f32 v4, s[2:3], v0, v0, v1
	v_rcp_f32_e32 v5, v4
	v_div_scale_f32 v6, vcc, v1, v0, v1
	v_fma_f32 v7, -v4, v5, 1.0
	v_fmac_f32_e32 v5, v7, v5
	v_mul_f32_e32 v7, v6, v5
	v_fma_f32 v8, -v4, v7, v6
	v_fmac_f32_e32 v7, v8, v5
	v_fma_f32 v4, -v4, v7, v6
	v_div_fmas_f32 v4, v4, v5, v7
	v_div_fixup_f32 v1, v4, v0, v1
	global_store_dword v[2:3], v1, off
	v_add_co_u32_e32 v2, vcc, 4, v2
	v_addc_co_u32_e32 v3, vcc, 0, v3, vcc
	s_cbranch_scc1 .LBB13_33
.LBB13_34:
	s_endpgm
	.section	.rodata,"a",@progbits
	.p2align	6, 0x0
	.amdhsa_kernel _ZN4vllm3moe10topkGatingILi4ELi64ELi4ELi16ELi32EifLNS0_11ScoringFuncE0EEEvPKT5_PKbPfiPT4_PiiiibPKf
		.amdhsa_group_segment_fixed_size 0
		.amdhsa_private_segment_fixed_size 0
		.amdhsa_kernarg_size 72
		.amdhsa_user_sgpr_count 6
		.amdhsa_user_sgpr_private_segment_buffer 1
		.amdhsa_user_sgpr_dispatch_ptr 0
		.amdhsa_user_sgpr_queue_ptr 0
		.amdhsa_user_sgpr_kernarg_segment_ptr 1
		.amdhsa_user_sgpr_dispatch_id 0
		.amdhsa_user_sgpr_flat_scratch_init 0
		.amdhsa_user_sgpr_kernarg_preload_length 0
		.amdhsa_user_sgpr_kernarg_preload_offset 0
		.amdhsa_user_sgpr_private_segment_size 0
		.amdhsa_uses_dynamic_stack 0
		.amdhsa_system_sgpr_private_segment_wavefront_offset 0
		.amdhsa_system_sgpr_workgroup_id_x 1
		.amdhsa_system_sgpr_workgroup_id_y 0
		.amdhsa_system_sgpr_workgroup_id_z 0
		.amdhsa_system_sgpr_workgroup_info 0
		.amdhsa_system_vgpr_workitem_id 1
		.amdhsa_next_free_vgpr 27
		.amdhsa_next_free_sgpr 26
		.amdhsa_accum_offset 28
		.amdhsa_reserve_vcc 1
		.amdhsa_reserve_flat_scratch 0
		.amdhsa_float_round_mode_32 0
		.amdhsa_float_round_mode_16_64 0
		.amdhsa_float_denorm_mode_32 3
		.amdhsa_float_denorm_mode_16_64 3
		.amdhsa_dx10_clamp 1
		.amdhsa_ieee_mode 1
		.amdhsa_fp16_overflow 0
		.amdhsa_tg_split 0
		.amdhsa_exception_fp_ieee_invalid_op 0
		.amdhsa_exception_fp_denorm_src 0
		.amdhsa_exception_fp_ieee_div_zero 0
		.amdhsa_exception_fp_ieee_overflow 0
		.amdhsa_exception_fp_ieee_underflow 0
		.amdhsa_exception_fp_ieee_inexact 0
		.amdhsa_exception_int_div_zero 0
	.end_amdhsa_kernel
	.section	.text._ZN4vllm3moe10topkGatingILi4ELi64ELi4ELi16ELi32EifLNS0_11ScoringFuncE0EEEvPKT5_PKbPfiPT4_PiiiibPKf,"axG",@progbits,_ZN4vllm3moe10topkGatingILi4ELi64ELi4ELi16ELi32EifLNS0_11ScoringFuncE0EEEvPKT5_PKbPfiPT4_PiiiibPKf,comdat
.Lfunc_end13:
	.size	_ZN4vllm3moe10topkGatingILi4ELi64ELi4ELi16ELi32EifLNS0_11ScoringFuncE0EEEvPKT5_PKbPfiPT4_PiiiibPKf, .Lfunc_end13-_ZN4vllm3moe10topkGatingILi4ELi64ELi4ELi16ELi32EifLNS0_11ScoringFuncE0EEEvPKT5_PKbPfiPT4_PiiiibPKf
                                        ; -- End function
	.section	.AMDGPU.csdata,"",@progbits
; Kernel info:
; codeLenInByte = 2468
; NumSgprs: 30
; NumVgprs: 27
; NumAgprs: 0
; TotalNumVgprs: 27
; ScratchSize: 0
; MemoryBound: 0
; FloatMode: 240
; IeeeMode: 1
; LDSByteSize: 0 bytes/workgroup (compile time only)
; SGPRBlocks: 3
; VGPRBlocks: 3
; NumSGPRsForWavesPerEU: 30
; NumVGPRsForWavesPerEU: 27
; AccumOffset: 28
; Occupancy: 8
; WaveLimiterHint : 0
; COMPUTE_PGM_RSRC2:SCRATCH_EN: 0
; COMPUTE_PGM_RSRC2:USER_SGPR: 6
; COMPUTE_PGM_RSRC2:TRAP_HANDLER: 0
; COMPUTE_PGM_RSRC2:TGID_X_EN: 1
; COMPUTE_PGM_RSRC2:TGID_Y_EN: 0
; COMPUTE_PGM_RSRC2:TGID_Z_EN: 0
; COMPUTE_PGM_RSRC2:TIDIG_COMP_CNT: 1
; COMPUTE_PGM_RSRC3_GFX90A:ACCUM_OFFSET: 6
; COMPUTE_PGM_RSRC3_GFX90A:TG_SPLIT: 0
	.section	.text._ZN4vllm3moe10topkGatingILi4ELi128ELi4ELi16ELi64EifLNS0_11ScoringFuncE0EEEvPKT5_PKbPfiPT4_PiiiibPKf,"axG",@progbits,_ZN4vllm3moe10topkGatingILi4ELi128ELi4ELi16ELi64EifLNS0_11ScoringFuncE0EEEvPKT5_PKbPfiPT4_PiiiibPKf,comdat
	.protected	_ZN4vllm3moe10topkGatingILi4ELi128ELi4ELi16ELi64EifLNS0_11ScoringFuncE0EEEvPKT5_PKbPfiPT4_PiiiibPKf ; -- Begin function _ZN4vllm3moe10topkGatingILi4ELi128ELi4ELi16ELi64EifLNS0_11ScoringFuncE0EEEvPKT5_PKbPfiPT4_PiiiibPKf
	.globl	_ZN4vllm3moe10topkGatingILi4ELi128ELi4ELi16ELi64EifLNS0_11ScoringFuncE0EEEvPKT5_PKbPfiPT4_PiiiibPKf
	.p2align	8
	.type	_ZN4vllm3moe10topkGatingILi4ELi128ELi4ELi16ELi64EifLNS0_11ScoringFuncE0EEEvPKT5_PKbPfiPT4_PiiiibPKf,@function
_ZN4vllm3moe10topkGatingILi4ELi128ELi4ELi16ELi64EifLNS0_11ScoringFuncE0EEEvPKT5_PKbPfiPT4_PiiiibPKf: ; @_ZN4vllm3moe10topkGatingILi4ELi128ELi4ELi16ELi64EifLNS0_11ScoringFuncE0EEEvPKT5_PKbPfiPT4_PiiiibPKf
; %bb.0:
	s_load_dword s24, s[4:5], 0x18
	v_bfe_u32 v1, v0, 10, 10
	v_and_b32_e32 v0, 0x3ff, v0
	s_lshl_b32 s0, s6, 3
	v_lshlrev_b32_e32 v1, 1, v1
	v_lshrrev_b32_e32 v2, 5, v0
	v_add3_u32 v9, s0, v1, v2
	s_waitcnt lgkmcnt(0)
	v_cmp_gt_i32_e32 vcc, s24, v9
	s_and_saveexec_b64 s[0:1], vcc
	s_cbranch_execz .LBB14_38
; %bb.1:
	s_load_dwordx4 s[0:3], s[4:5], 0x0
	s_load_dwordx2 s[16:17], s[4:5], 0x10
	s_mov_b64 s[6:7], -1
	s_mov_b64 s[18:19], -1
	s_waitcnt lgkmcnt(0)
	s_cmp_eq_u64 s[2:3], 0
	s_cbranch_scc1 .LBB14_3
; %bb.2:
	v_ashrrev_i32_e32 v1, 31, v9
	v_mov_b32_e32 v3, s3
	v_add_co_u32_e32 v2, vcc, s2, v9
	v_addc_co_u32_e32 v3, vcc, v3, v1, vcc
	global_load_ubyte v1, v[2:3], off
	s_waitcnt vmcnt(0)
	v_and_b32_e32 v1, 1, v1
	v_cmp_eq_u32_e32 vcc, 1, v1
	s_xor_b64 s[2:3], vcc, -1
	s_orn2_b64 s[18:19], s[2:3], exec
.LBB14_3:
	v_lshlrev_b32_e32 v2, 7, v9
	v_ashrrev_i32_e32 v3, 31, v2
	v_lshlrev_b64 v[2:3], 2, v[2:3]
	v_mov_b32_e32 v1, s1
	v_add_co_u32_e32 v2, vcc, s0, v2
	v_and_b32_e32 v13, 31, v0
	v_addc_co_u32_e32 v1, vcc, v1, v3, vcc
	v_lshlrev_b32_e32 v0, 4, v13
	v_add_co_u32_e32 v0, vcc, v2, v0
	v_addc_co_u32_e32 v1, vcc, 0, v1, vcc
	global_load_dwordx4 v[0:3], v[0:1], off
	v_mbcnt_lo_u32_b32 v4, -1, 0
	v_mbcnt_hi_u32_b32 v4, -1, v4
	v_and_b32_e32 v5, 0x60, v4
	v_xor_b32_e32 v6, 16, v4
	v_add_u32_e32 v5, 32, v5
	v_cmp_lt_i32_e32 vcc, v6, v5
	v_cndmask_b32_e32 v6, v4, v6, vcc
	v_lshlrev_b32_e32 v14, 2, v6
	v_xor_b32_e32 v8, 8, v4
	v_cmp_lt_i32_e32 vcc, v8, v5
	v_cndmask_b32_e32 v8, v4, v8, vcc
	v_lshlrev_b32_e32 v15, 2, v8
	v_xor_b32_e32 v8, 4, v4
	;; [unrolled: 4-line block ×4, first 2 shown]
	v_cmp_lt_i32_e32 vcc, v8, v5
	v_cndmask_b32_e32 v4, v4, v8, vcc
	v_lshlrev_b32_e32 v18, 2, v4
	s_mov_b32 s0, 0x3fb8aa3b
	s_mov_b32 s1, 0xc2ce8ed0
	;; [unrolled: 1-line block ×3, first 2 shown]
	s_movk_i32 s8, 0x1f8
	s_waitcnt vmcnt(0)
	v_max_f32_e32 v6, v1, v1
	v_max_f32_e32 v7, v0, v0
	;; [unrolled: 1-line block ×3, first 2 shown]
	v_max3_f32 v6, v6, v2, v3
	ds_bpermute_b32 v7, v14, v6
	s_waitcnt lgkmcnt(0)
	v_max_f32_e32 v7, v7, v7
	v_max_f32_e32 v6, v6, v7
	ds_bpermute_b32 v7, v15, v6
	s_waitcnt lgkmcnt(0)
	v_max_f32_e32 v7, v7, v7
	v_max_f32_e32 v6, v6, v7
	;; [unrolled: 4-line block ×4, first 2 shown]
	ds_bpermute_b32 v5, v18, v4
	v_mov_b32_e32 v6, 0x7f800000
	s_waitcnt lgkmcnt(0)
	v_max_f32_e32 v5, v5, v5
	v_max_f32_e32 v4, v4, v5
	v_pk_add_f32 v[0:1], v[0:1], v[4:5] op_sel_hi:[1,0] neg_lo:[0,1] neg_hi:[0,1]
	v_sub_f32_e32 v2, v2, v4
	v_sub_f32_e32 v3, v3, v4
	v_mul_f32_e32 v4, 0x3fb8aa3b, v1
	v_mul_f32_e32 v5, 0x3fb8aa3b, v0
	v_fma_f32 v10, v1, s0, -v4
	v_rndne_f32_e32 v11, v4
	v_mul_f32_e32 v7, 0x3fb8aa3b, v2
	v_fma_f32 v12, v0, s0, -v5
	v_rndne_f32_e32 v19, v5
	v_fmac_f32_e32 v10, 0x32a5705f, v1
	v_sub_f32_e32 v4, v4, v11
	v_mul_f32_e32 v8, 0x3fb8aa3b, v3
	v_fma_f32 v20, v2, s0, -v7
	v_rndne_f32_e32 v21, v7
	v_fmac_f32_e32 v12, 0x32a5705f, v0
	v_sub_f32_e32 v5, v5, v19
	v_add_f32_e32 v4, v4, v10
	v_fma_f32 v22, v3, s0, -v8
	v_rndne_f32_e32 v23, v8
	v_cvt_i32_f32_e32 v11, v11
	v_fmac_f32_e32 v20, 0x32a5705f, v2
	v_sub_f32_e32 v7, v7, v21
	v_add_f32_e32 v5, v5, v12
	v_exp_f32_e32 v4, v4
	v_cvt_i32_f32_e32 v19, v19
	v_fmac_f32_e32 v22, 0x32a5705f, v3
	v_sub_f32_e32 v8, v8, v23
	v_add_f32_e32 v7, v7, v20
	v_exp_f32_e32 v5, v5
	v_cvt_i32_f32_e32 v21, v21
	v_add_f32_e32 v8, v8, v22
	v_exp_f32_e32 v7, v7
	v_cvt_i32_f32_e32 v23, v23
	v_exp_f32_e32 v8, v8
	v_ldexp_f32 v4, v4, v11
	v_cmp_ngt_f32_e32 vcc, s1, v1
	v_ldexp_f32 v5, v5, v19
	v_cndmask_b32_e32 v4, 0, v4, vcc
	v_cmp_ngt_f32_e32 vcc, s1, v0
	v_ldexp_f32 v7, v7, v21
	v_cndmask_b32_e32 v5, 0, v5, vcc
	v_cmp_ngt_f32_e32 vcc, s1, v2
	v_ldexp_f32 v8, v8, v23
	v_cndmask_b32_e32 v7, 0, v7, vcc
	v_cmp_ngt_f32_e32 vcc, s1, v3
	v_cndmask_b32_e32 v8, 0, v8, vcc
	v_cmp_nlt_f32_e32 vcc, s2, v1
	v_cndmask_b32_e32 v1, v6, v4, vcc
	v_cmp_nlt_f32_e32 vcc, s2, v0
	;; [unrolled: 2-line block ×4, first 2 shown]
	v_add_f32_e32 v4, v0, v1
	v_cndmask_b32_e32 v3, v6, v8, vcc
	v_add_f32_e32 v4, v4, v2
	v_add_f32_e32 v4, v4, v3
	ds_bpermute_b32 v5, v14, v4
	s_load_dwordx2 s[0:1], s[4:5], 0x40
	v_lshlrev_b32_e32 v19, 2, v13
	s_waitcnt lgkmcnt(0)
	v_add_f32_e32 v4, v4, v5
	ds_bpermute_b32 v5, v15, v4
	s_cmp_eq_u64 s[0:1], 0
	s_waitcnt lgkmcnt(0)
	v_add_f32_e32 v4, v4, v5
	ds_bpermute_b32 v5, v16, v4
	s_waitcnt lgkmcnt(0)
	v_add_f32_e32 v4, v4, v5
	ds_bpermute_b32 v5, v17, v4
	;; [unrolled: 3-line block ×3, first 2 shown]
	s_waitcnt lgkmcnt(0)
	v_add_f32_e32 v4, v4, v5
	v_div_scale_f32 v5, s[2:3], v4, v4, 1.0
	v_rcp_f32_e32 v6, v5
	v_div_scale_f32 v7, vcc, 1.0, v4, 1.0
	v_fma_f32 v8, -v5, v6, 1.0
	v_fmac_f32_e32 v6, v8, v6
	v_mul_f32_e32 v8, v7, v6
	v_fma_f32 v10, -v5, v8, v7
	v_fmac_f32_e32 v8, v10, v6
	v_fma_f32 v5, -v5, v8, v7
	v_div_fmas_f32 v5, v5, v6, v8
	v_div_fixup_f32 v4, v5, v4, 1.0
	v_mul_f32_e32 v0, v4, v0
	v_mul_f32_e32 v1, v4, v1
	v_cmp_class_f32_e64 vcc, v0, s8
	v_mul_f32_e32 v2, v4, v2
	v_cndmask_b32_e32 v0, 0, v0, vcc
	v_cmp_class_f32_e64 vcc, v1, s8
	v_mul_f32_e32 v3, v4, v3
	v_cndmask_b32_e32 v1, 0, v1, vcc
	v_cmp_class_f32_e64 vcc, v2, s8
	v_cndmask_b32_e32 v2, 0, v2, vcc
	v_cmp_class_f32_e64 vcc, v3, s8
	v_cndmask_b32_e32 v3, 0, v3, vcc
	s_cbranch_scc1 .LBB14_27
; %bb.4:
	v_lshlrev_b32_e32 v4, 2, v19
	global_load_dwordx4 v[4:7], v4, s[0:1]
	s_waitcnt vmcnt(0)
	v_pk_add_f32 v[4:5], v[4:5], v[0:1]
	v_pk_add_f32 v[6:7], v[6:7], v[2:3]
	s_cbranch_execnz .LBB14_6
.LBB14_5:
	v_pk_mov_b32 v[6:7], v[2:3], v[2:3] op_sel:[0,1]
	v_pk_mov_b32 v[4:5], v[0:1], v[0:1] op_sel:[0,1]
.LBB14_6:
	s_load_dwordx4 s[8:11], s[4:5], 0x30
	s_mov_b32 s25, 0
	v_cmp_eq_u32_e64 s[0:1], 0, v13
	s_waitcnt lgkmcnt(0)
	s_bitcmp1_b32 s11, 0
	s_cselect_b64 vcc, -1, 0
	s_cmp_gt_i32 s8, 0
	s_cselect_b64 s[20:21], -1, 0
	s_cmp_lt_i32 s8, 1
	s_cbranch_scc1 .LBB14_28
; %bb.7:
	s_load_dwordx4 s[12:15], s[4:5], 0x20
	v_mul_lo_u32 v21, v9, s8
	v_mov_b32_e32 v20, 0
	v_mov_b32_e32 v22, 0x80
	;; [unrolled: 1-line block ×4, first 2 shown]
	s_branch .LBB14_10
.LBB14_8:                               ;   in Loop: Header=BB14_10 Depth=1
	s_or_b64 exec, exec, s[4:5]
.LBB14_9:                               ;   in Loop: Header=BB14_10 Depth=1
	s_cmp_eq_u32 s8, s25
	v_add_u32_e32 v24, s24, v24
	s_cbranch_scc1 .LBB14_29
.LBB14_10:                              ; =>This Inner Loop Header: Depth=1
	v_cmp_gt_f32_e64 s[2:3], v5, v4
	v_cndmask_b32_e64 v8, v4, v5, s[2:3]
	v_cndmask_b32_e64 v10, v0, v1, s[2:3]
	s_waitcnt lgkmcnt(0)
	v_cndmask_b32_e64 v11, 0, 1, s[2:3]
	v_cmp_gt_f32_e64 s[2:3], v6, v8
	v_cndmask_b32_e64 v8, v8, v6, s[2:3]
	v_cndmask_b32_e64 v10, v10, v2, s[2:3]
	;; [unrolled: 1-line block ×3, first 2 shown]
	v_cmp_gt_f32_e64 s[2:3], v7, v8
	v_cndmask_b32_e64 v11, v11, 3, s[2:3]
	v_cndmask_b32_e64 v8, v8, v7, s[2:3]
	v_or_b32_e32 v11, v19, v11
	ds_bpermute_b32 v12, v14, v8
	ds_bpermute_b32 v25, v14, v11
	v_cndmask_b32_e64 v10, v10, v3, s[2:3]
	ds_bpermute_b32 v27, v14, v10
	s_waitcnt lgkmcnt(0)
	v_cmp_eq_f32_e64 s[4:5], v8, v12
	v_cmp_lt_i32_e64 s[6:7], v25, v11
	v_cmp_lt_f32_e64 s[2:3], v8, v12
	s_and_b64 s[4:5], s[4:5], s[6:7]
	s_or_b64 s[2:3], s[2:3], s[4:5]
	v_cndmask_b32_e64 v26, v11, v25, s[2:3]
	v_cndmask_b32_e64 v25, v8, v12, s[2:3]
	;; [unrolled: 1-line block ×3, first 2 shown]
	ds_bpermute_b32 v28, v15, v25
	ds_bpermute_b32 v12, v15, v8
	;; [unrolled: 1-line block ×3, first 2 shown]
                                        ; implicit-def: $vgpr10_vgpr11
	s_waitcnt lgkmcnt(2)
	v_cmp_lt_f32_e64 s[6:7], v25, v28
	v_cmp_nlt_f32_e64 s[2:3], v25, v28
	s_and_saveexec_b64 s[22:23], s[2:3]
	s_cbranch_execz .LBB14_12
; %bb.11:                               ;   in Loop: Header=BB14_10 Depth=1
	v_cmp_eq_f32_e64 s[2:3], v25, v28
	s_waitcnt lgkmcnt(0)
	v_cmp_lt_i32_e64 s[4:5], v27, v26
	s_and_b64 s[2:3], s[2:3], s[4:5]
	s_andn2_b64 s[4:5], s[6:7], exec
	s_and_b64 s[2:3], s[2:3], exec
	s_or_b64 s[6:7], s[4:5], s[2:3]
	v_pk_mov_b32 v[10:11], v[8:9], v[8:9] op_sel:[0,1]
.LBB14_12:                              ;   in Loop: Header=BB14_10 Depth=1
	s_or_b64 exec, exec, s[22:23]
	s_and_saveexec_b64 s[2:3], s[6:7]
	s_cbranch_execz .LBB14_14
; %bb.13:                               ;   in Loop: Header=BB14_10 Depth=1
	v_mov_b32_e32 v25, v28
	s_waitcnt lgkmcnt(1)
	v_mov_b32_e32 v8, v12
	s_waitcnt lgkmcnt(0)
	v_mov_b32_e32 v26, v27
	v_pk_mov_b32 v[10:11], v[12:13], v[12:13] op_sel:[0,1]
.LBB14_14:                              ;   in Loop: Header=BB14_10 Depth=1
	s_or_b64 exec, exec, s[2:3]
	s_waitcnt lgkmcnt(0)
	ds_bpermute_b32 v27, v16, v25
	ds_bpermute_b32 v12, v16, v8
	;; [unrolled: 1-line block ×3, first 2 shown]
	s_waitcnt lgkmcnt(2)
	v_cmp_lt_f32_e64 s[6:7], v25, v27
	v_cmp_nlt_f32_e64 s[2:3], v25, v27
	s_and_saveexec_b64 s[22:23], s[2:3]
	s_cbranch_execz .LBB14_16
; %bb.15:                               ;   in Loop: Header=BB14_10 Depth=1
	v_cmp_eq_f32_e64 s[2:3], v25, v27
	s_waitcnt lgkmcnt(0)
	v_cmp_lt_i32_e64 s[4:5], v11, v26
	s_and_b64 s[2:3], s[2:3], s[4:5]
	s_andn2_b64 s[4:5], s[6:7], exec
	s_and_b64 s[2:3], s[2:3], exec
	s_or_b64 s[6:7], s[4:5], s[2:3]
.LBB14_16:                              ;   in Loop: Header=BB14_10 Depth=1
	s_or_b64 exec, exec, s[22:23]
	s_and_saveexec_b64 s[2:3], s[6:7]
	s_cbranch_execz .LBB14_18
; %bb.17:                               ;   in Loop: Header=BB14_10 Depth=1
	v_mov_b32_e32 v25, v27
	s_waitcnt lgkmcnt(1)
	v_mov_b32_e32 v8, v12
	s_waitcnt lgkmcnt(0)
	v_mov_b32_e32 v26, v11
	v_pk_mov_b32 v[10:11], v[12:13], v[12:13] op_sel:[0,1]
.LBB14_18:                              ;   in Loop: Header=BB14_10 Depth=1
	s_or_b64 exec, exec, s[2:3]
	ds_bpermute_b32 v27, v17, v25
	s_waitcnt lgkmcnt(2)
	ds_bpermute_b32 v12, v17, v8
	s_waitcnt lgkmcnt(2)
	;; [unrolled: 2-line block ×3, first 2 shown]
	v_cmp_lt_f32_e64 s[6:7], v25, v27
	v_cmp_nlt_f32_e64 s[2:3], v25, v27
	s_and_saveexec_b64 s[22:23], s[2:3]
	s_cbranch_execz .LBB14_20
; %bb.19:                               ;   in Loop: Header=BB14_10 Depth=1
	v_cmp_eq_f32_e64 s[2:3], v25, v27
	s_waitcnt lgkmcnt(0)
	v_cmp_lt_i32_e64 s[4:5], v11, v26
	s_and_b64 s[2:3], s[2:3], s[4:5]
	s_andn2_b64 s[4:5], s[6:7], exec
	s_and_b64 s[2:3], s[2:3], exec
	s_or_b64 s[6:7], s[4:5], s[2:3]
.LBB14_20:                              ;   in Loop: Header=BB14_10 Depth=1
	s_or_b64 exec, exec, s[22:23]
	s_and_saveexec_b64 s[2:3], s[6:7]
	s_cbranch_execz .LBB14_22
; %bb.21:                               ;   in Loop: Header=BB14_10 Depth=1
	v_mov_b32_e32 v25, v27
	s_waitcnt lgkmcnt(1)
	v_mov_b32_e32 v8, v12
	s_waitcnt lgkmcnt(0)
	v_mov_b32_e32 v26, v11
	v_pk_mov_b32 v[10:11], v[12:13], v[12:13] op_sel:[0,1]
.LBB14_22:                              ;   in Loop: Header=BB14_10 Depth=1
	s_or_b64 exec, exec, s[2:3]
	s_waitcnt lgkmcnt(1)
	ds_bpermute_b32 v12, v18, v25
	ds_bpermute_b32 v27, v18, v26
	s_waitcnt lgkmcnt(2)
	ds_bpermute_b32 v11, v18, v8
	s_waitcnt lgkmcnt(2)
	v_cmp_eq_f32_e64 s[4:5], v25, v12
	s_waitcnt lgkmcnt(1)
	v_cmp_lt_i32_e64 s[6:7], v27, v26
	v_cmp_lt_f32_e64 s[2:3], v25, v12
	s_and_b64 s[4:5], s[4:5], s[6:7]
	s_or_b64 s[2:3], s[2:3], s[4:5]
	v_cndmask_b32_e64 v8, v26, v27, s[2:3]
	s_and_saveexec_b64 s[6:7], s[0:1]
	s_cbranch_execnz .LBB14_24
; %bb.23:                               ;   in Loop: Header=BB14_10 Depth=1
	s_or_b64 exec, exec, s[6:7]
	s_add_i32 s25, s25, 1
	s_cmp_ge_i32 s25, s8
	s_cbranch_scc1 .LBB14_9
	s_branch .LBB14_25
.LBB14_24:                              ;   in Loop: Header=BB14_10 Depth=1
	s_waitcnt lgkmcnt(0)
	v_cndmask_b32_e64 v12, v10, v11, s[2:3]
	v_add_u32_e32 v10, s25, v21
	v_ashrrev_i32_e32 v11, 31, v10
	v_cmp_le_i32_e64 s[2:3], s9, v8
	v_cmp_gt_i32_e64 s[4:5], s10, v8
	v_lshlrev_b64 v[10:11], 2, v[10:11]
	s_and_b64 s[4:5], s[2:3], s[4:5]
	v_mov_b32_e32 v25, s17
	v_add_co_u32_e64 v26, s[2:3], s16, v10
	v_addc_co_u32_e64 v27, s[2:3], v25, v11, s[2:3]
	v_subrev_u32_e32 v25, s9, v8
	s_and_b64 s[2:3], s[18:19], s[4:5]
	global_store_dword v[26:27], v12, off
	v_cndmask_b32_e64 v25, v22, v25, s[2:3]
	v_mov_b32_e32 v27, s13
	v_add_co_u32_e64 v26, s[2:3], s12, v10
	v_addc_co_u32_e64 v27, s[2:3], v27, v11, s[2:3]
	global_store_dword v[26:27], v25, off
	v_mov_b32_e32 v25, s15
	v_add_co_u32_e64 v10, s[2:3], s14, v10
	v_addc_co_u32_e64 v11, s[2:3], v25, v11, s[2:3]
	global_store_dword v[10:11], v24, off
	v_add_f32_e32 v10, v20, v12
	v_cndmask_b32_e32 v20, v20, v10, vcc
	s_or_b64 exec, exec, s[6:7]
	s_add_i32 s25, s25, 1
	s_cmp_ge_i32 s25, s8
	s_cbranch_scc1 .LBB14_9
.LBB14_25:                              ;   in Loop: Header=BB14_10 Depth=1
	s_waitcnt lgkmcnt(0)
	v_ashrrev_i32_e32 v11, 31, v8
	v_lshrrev_b32_e32 v10, 30, v11
	v_add_u32_e32 v12, v8, v10
	v_ashrrev_i32_e32 v10, 2, v12
	v_ashrrev_i32_e32 v12, 31, v12
	v_lshrrev_b32_e32 v12, 27, v12
	v_add_u32_e32 v12, v10, v12
	v_and_b32_e32 v12, 0xffffffe0, v12
	v_sub_u32_e32 v12, v10, v12
	v_cmp_eq_u32_e64 s[2:3], v13, v12
	s_and_saveexec_b64 s[4:5], s[2:3]
	s_cbranch_execz .LBB14_8
; %bb.26:                               ;   in Loop: Header=BB14_10 Depth=1
	v_lshrrev_b32_e32 v11, 25, v11
	v_add_u32_e32 v11, v8, v11
	v_lshlrev_b32_e32 v10, 2, v10
	v_ashrrev_i32_e32 v11, 7, v11
	v_sub_u32_e32 v8, v8, v10
	v_lshl_add_u32 v8, v11, 2, v8
	v_cmp_ne_u32_e64 s[2:3], 3, v8
	v_cndmask_b32_e64 v7, v23, v7, s[2:3]
	v_cmp_ne_u32_e64 s[2:3], 2, v8
	v_cndmask_b32_e64 v6, v23, v6, s[2:3]
	;; [unrolled: 2-line block ×4, first 2 shown]
	s_branch .LBB14_8
.LBB14_27:
                                        ; implicit-def: $vgpr4_vgpr5_vgpr6_vgpr7
	s_andn2_b64 vcc, exec, s[6:7]
	s_cbranch_vccz .LBB14_5
	s_branch .LBB14_6
.LBB14_28:
	v_mov_b32_e32 v20, 0
.LBB14_29:
	v_cmp_eq_u32_e64 s[0:1], 0, v13
	s_and_b64 s[0:1], s[0:1], vcc
	s_and_b64 exec, exec, s[0:1]
	s_cbranch_execz .LBB14_38
; %bb.30:
	s_andn2_b64 vcc, exec, s[20:21]
	s_cbranch_vccnz .LBB14_38
; %bb.31:
	v_cmp_lt_f32_e32 vcc, 0, v20
	s_mov_b32 s2, 0
	v_cndmask_b32_e32 v0, 1.0, v20, vcc
	v_mul_lo_u32 v4, v9, s8
	s_cmp_eq_u32 s8, 1
	s_mov_b64 s[0:1], -1
	s_cbranch_scc1 .LBB14_35
; %bb.32:
	s_and_b32 s2, s8, 0x7ffffffe
	v_mov_b32_e32 v1, v0
	v_mov_b32_e32 v5, s17
	s_mov_b32 s3, s2
	v_mov_b32_e32 v2, v4
.LBB14_33:                              ; =>This Inner Loop Header: Depth=1
	v_ashrrev_i32_e32 v3, 31, v2
	v_lshlrev_b64 v[6:7], 2, v[2:3]
	v_add_co_u32_e32 v6, vcc, s16, v6
	v_addc_co_u32_e32 v7, vcc, v5, v7, vcc
	global_load_dwordx2 v[8:9], v[6:7], off
	s_add_i32 s3, s3, -2
	s_cmp_lg_u32 s3, 0
	v_add_u32_e32 v2, 2, v2
	s_waitcnt vmcnt(0)
	v_div_scale_f32 v3, s[0:1], v1, v1, v9
	s_waitcnt lgkmcnt(0)
	v_div_scale_f32 v11, s[0:1], v0, v0, v8
	v_rcp_f32_e32 v12, v3
	v_rcp_f32_e32 v13, v11
	v_div_scale_f32 v10, vcc, v9, v1, v9
	v_fma_f32 v15, -v3, v12, 1.0
	v_fma_f32 v16, -v11, v13, 1.0
	v_fmac_f32_e32 v12, v15, v12
	v_div_scale_f32 v14, s[0:1], v8, v0, v8
	v_fmac_f32_e32 v13, v16, v13
	v_mul_f32_e32 v15, v10, v12
	v_mul_f32_e32 v16, v14, v13
	v_fma_f32 v17, -v3, v15, v10
	v_fma_f32 v18, -v11, v16, v14
	v_fmac_f32_e32 v15, v17, v12
	v_fmac_f32_e32 v16, v18, v13
	v_fma_f32 v3, -v3, v15, v10
	v_fma_f32 v10, -v11, v16, v14
	v_div_fmas_f32 v3, v3, v12, v15
	s_mov_b64 vcc, s[0:1]
	v_div_fixup_f32 v9, v3, v1, v9
	v_div_fmas_f32 v3, v10, v13, v16
	v_div_fixup_f32 v8, v3, v0, v8
	global_store_dwordx2 v[6:7], v[8:9], off
	s_cbranch_scc1 .LBB14_33
; %bb.34:
	s_cmp_lg_u32 s2, s8
	s_cselect_b64 s[0:1], -1, 0
.LBB14_35:
	s_and_b64 vcc, exec, s[0:1]
	s_cbranch_vccz .LBB14_38
; %bb.36:
	v_ashrrev_i32_e32 v1, 31, v4
	v_add_co_u32_e32 v2, vcc, s2, v4
	v_addc_co_u32_e32 v3, vcc, 0, v1, vcc
	v_lshlrev_b64 v[2:3], 2, v[2:3]
	v_mov_b32_e32 v1, s17
	v_add_co_u32_e32 v2, vcc, s16, v2
	s_sub_i32 s0, s8, s2
	v_addc_co_u32_e32 v3, vcc, v1, v3, vcc
.LBB14_37:                              ; =>This Inner Loop Header: Depth=1
	global_load_dword v1, v[2:3], off
	s_add_i32 s0, s0, -1
	s_cmp_lg_u32 s0, 0
	s_waitcnt vmcnt(0)
	v_div_scale_f32 v4, s[2:3], v0, v0, v1
	v_rcp_f32_e32 v5, v4
	v_div_scale_f32 v6, vcc, v1, v0, v1
	v_fma_f32 v7, -v4, v5, 1.0
	v_fmac_f32_e32 v5, v7, v5
	v_mul_f32_e32 v7, v6, v5
	v_fma_f32 v8, -v4, v7, v6
	v_fmac_f32_e32 v7, v8, v5
	v_fma_f32 v4, -v4, v7, v6
	v_div_fmas_f32 v4, v4, v5, v7
	v_div_fixup_f32 v1, v4, v0, v1
	global_store_dword v[2:3], v1, off
	v_add_co_u32_e32 v2, vcc, 4, v2
	v_addc_co_u32_e32 v3, vcc, 0, v3, vcc
	s_cbranch_scc1 .LBB14_37
.LBB14_38:
	s_endpgm
	.section	.rodata,"a",@progbits
	.p2align	6, 0x0
	.amdhsa_kernel _ZN4vllm3moe10topkGatingILi4ELi128ELi4ELi16ELi64EifLNS0_11ScoringFuncE0EEEvPKT5_PKbPfiPT4_PiiiibPKf
		.amdhsa_group_segment_fixed_size 0
		.amdhsa_private_segment_fixed_size 0
		.amdhsa_kernarg_size 72
		.amdhsa_user_sgpr_count 6
		.amdhsa_user_sgpr_private_segment_buffer 1
		.amdhsa_user_sgpr_dispatch_ptr 0
		.amdhsa_user_sgpr_queue_ptr 0
		.amdhsa_user_sgpr_kernarg_segment_ptr 1
		.amdhsa_user_sgpr_dispatch_id 0
		.amdhsa_user_sgpr_flat_scratch_init 0
		.amdhsa_user_sgpr_kernarg_preload_length 0
		.amdhsa_user_sgpr_kernarg_preload_offset 0
		.amdhsa_user_sgpr_private_segment_size 0
		.amdhsa_uses_dynamic_stack 0
		.amdhsa_system_sgpr_private_segment_wavefront_offset 0
		.amdhsa_system_sgpr_workgroup_id_x 1
		.amdhsa_system_sgpr_workgroup_id_y 0
		.amdhsa_system_sgpr_workgroup_id_z 0
		.amdhsa_system_sgpr_workgroup_info 0
		.amdhsa_system_vgpr_workitem_id 1
		.amdhsa_next_free_vgpr 29
		.amdhsa_next_free_sgpr 26
		.amdhsa_accum_offset 32
		.amdhsa_reserve_vcc 1
		.amdhsa_reserve_flat_scratch 0
		.amdhsa_float_round_mode_32 0
		.amdhsa_float_round_mode_16_64 0
		.amdhsa_float_denorm_mode_32 3
		.amdhsa_float_denorm_mode_16_64 3
		.amdhsa_dx10_clamp 1
		.amdhsa_ieee_mode 1
		.amdhsa_fp16_overflow 0
		.amdhsa_tg_split 0
		.amdhsa_exception_fp_ieee_invalid_op 0
		.amdhsa_exception_fp_denorm_src 0
		.amdhsa_exception_fp_ieee_div_zero 0
		.amdhsa_exception_fp_ieee_overflow 0
		.amdhsa_exception_fp_ieee_underflow 0
		.amdhsa_exception_fp_ieee_inexact 0
		.amdhsa_exception_int_div_zero 0
	.end_amdhsa_kernel
	.section	.text._ZN4vllm3moe10topkGatingILi4ELi128ELi4ELi16ELi64EifLNS0_11ScoringFuncE0EEEvPKT5_PKbPfiPT4_PiiiibPKf,"axG",@progbits,_ZN4vllm3moe10topkGatingILi4ELi128ELi4ELi16ELi64EifLNS0_11ScoringFuncE0EEEvPKT5_PKbPfiPT4_PiiiibPKf,comdat
.Lfunc_end14:
	.size	_ZN4vllm3moe10topkGatingILi4ELi128ELi4ELi16ELi64EifLNS0_11ScoringFuncE0EEEvPKT5_PKbPfiPT4_PiiiibPKf, .Lfunc_end14-_ZN4vllm3moe10topkGatingILi4ELi128ELi4ELi16ELi64EifLNS0_11ScoringFuncE0EEEvPKT5_PKbPfiPT4_PiiiibPKf
                                        ; -- End function
	.section	.AMDGPU.csdata,"",@progbits
; Kernel info:
; codeLenInByte = 2672
; NumSgprs: 30
; NumVgprs: 29
; NumAgprs: 0
; TotalNumVgprs: 29
; ScratchSize: 0
; MemoryBound: 0
; FloatMode: 240
; IeeeMode: 1
; LDSByteSize: 0 bytes/workgroup (compile time only)
; SGPRBlocks: 3
; VGPRBlocks: 3
; NumSGPRsForWavesPerEU: 30
; NumVGPRsForWavesPerEU: 29
; AccumOffset: 32
; Occupancy: 8
; WaveLimiterHint : 0
; COMPUTE_PGM_RSRC2:SCRATCH_EN: 0
; COMPUTE_PGM_RSRC2:USER_SGPR: 6
; COMPUTE_PGM_RSRC2:TRAP_HANDLER: 0
; COMPUTE_PGM_RSRC2:TGID_X_EN: 1
; COMPUTE_PGM_RSRC2:TGID_Y_EN: 0
; COMPUTE_PGM_RSRC2:TGID_Z_EN: 0
; COMPUTE_PGM_RSRC2:TIDIG_COMP_CNT: 1
; COMPUTE_PGM_RSRC3_GFX90A:ACCUM_OFFSET: 7
; COMPUTE_PGM_RSRC3_GFX90A:TG_SPLIT: 0
	.section	.text._ZN4vllm3moe10topkGatingILi4ELi128ELi4ELi16ELi32EifLNS0_11ScoringFuncE0EEEvPKT5_PKbPfiPT4_PiiiibPKf,"axG",@progbits,_ZN4vllm3moe10topkGatingILi4ELi128ELi4ELi16ELi32EifLNS0_11ScoringFuncE0EEEvPKT5_PKbPfiPT4_PiiiibPKf,comdat
	.protected	_ZN4vllm3moe10topkGatingILi4ELi128ELi4ELi16ELi32EifLNS0_11ScoringFuncE0EEEvPKT5_PKbPfiPT4_PiiiibPKf ; -- Begin function _ZN4vllm3moe10topkGatingILi4ELi128ELi4ELi16ELi32EifLNS0_11ScoringFuncE0EEEvPKT5_PKbPfiPT4_PiiiibPKf
	.globl	_ZN4vllm3moe10topkGatingILi4ELi128ELi4ELi16ELi32EifLNS0_11ScoringFuncE0EEEvPKT5_PKbPfiPT4_PiiiibPKf
	.p2align	8
	.type	_ZN4vllm3moe10topkGatingILi4ELi128ELi4ELi16ELi32EifLNS0_11ScoringFuncE0EEEvPKT5_PKbPfiPT4_PiiiibPKf,@function
_ZN4vllm3moe10topkGatingILi4ELi128ELi4ELi16ELi32EifLNS0_11ScoringFuncE0EEEvPKT5_PKbPfiPT4_PiiiibPKf: ; @_ZN4vllm3moe10topkGatingILi4ELi128ELi4ELi16ELi32EifLNS0_11ScoringFuncE0EEEvPKT5_PKbPfiPT4_PiiiibPKf
; %bb.0:
	s_load_dword s24, s[4:5], 0x18
	v_and_b32_e32 v1, 0x3ff, v0
	s_lshl_b32 s0, s6, 2
	v_lshrrev_b32_e32 v2, 5, v1
	v_bfe_u32 v0, v0, 10, 10
	v_add3_u32 v9, s0, v0, v2
	s_waitcnt lgkmcnt(0)
	v_cmp_gt_i32_e32 vcc, s24, v9
	s_and_saveexec_b64 s[0:1], vcc
	s_cbranch_execz .LBB15_38
; %bb.1:
	s_load_dwordx4 s[0:3], s[4:5], 0x0
	s_load_dwordx2 s[16:17], s[4:5], 0x10
	s_mov_b64 s[6:7], -1
	s_mov_b64 s[18:19], -1
	s_waitcnt lgkmcnt(0)
	s_cmp_eq_u64 s[2:3], 0
	s_cbranch_scc1 .LBB15_3
; %bb.2:
	v_ashrrev_i32_e32 v0, 31, v9
	v_mov_b32_e32 v3, s3
	v_add_co_u32_e32 v2, vcc, s2, v9
	v_addc_co_u32_e32 v3, vcc, v3, v0, vcc
	global_load_ubyte v0, v[2:3], off
	s_waitcnt vmcnt(0)
	v_and_b32_e32 v0, 1, v0
	v_cmp_eq_u32_e32 vcc, 1, v0
	s_xor_b64 s[2:3], vcc, -1
	s_orn2_b64 s[18:19], s[2:3], exec
.LBB15_3:
	v_lshlrev_b32_e32 v2, 7, v9
	v_ashrrev_i32_e32 v3, 31, v2
	v_lshlrev_b64 v[2:3], 2, v[2:3]
	v_mov_b32_e32 v0, s1
	v_add_co_u32_e32 v2, vcc, s0, v2
	v_and_b32_e32 v13, 31, v1
	v_addc_co_u32_e32 v3, vcc, v0, v3, vcc
	v_lshlrev_b32_e32 v0, 4, v13
	v_add_co_u32_e32 v0, vcc, v2, v0
	v_addc_co_u32_e32 v1, vcc, 0, v3, vcc
	global_load_dwordx4 v[0:3], v[0:1], off
	v_mbcnt_lo_u32_b32 v4, -1, 0
	v_mbcnt_hi_u32_b32 v4, -1, v4
	v_and_b32_e32 v5, 0x60, v4
	v_xor_b32_e32 v6, 16, v4
	v_add_u32_e32 v5, 32, v5
	v_cmp_lt_i32_e32 vcc, v6, v5
	v_cndmask_b32_e32 v6, v4, v6, vcc
	v_lshlrev_b32_e32 v14, 2, v6
	v_xor_b32_e32 v8, 8, v4
	v_cmp_lt_i32_e32 vcc, v8, v5
	v_cndmask_b32_e32 v8, v4, v8, vcc
	v_lshlrev_b32_e32 v15, 2, v8
	v_xor_b32_e32 v8, 4, v4
	;; [unrolled: 4-line block ×4, first 2 shown]
	v_cmp_lt_i32_e32 vcc, v8, v5
	v_cndmask_b32_e32 v4, v4, v8, vcc
	v_lshlrev_b32_e32 v18, 2, v4
	s_mov_b32 s0, 0x3fb8aa3b
	s_mov_b32 s1, 0xc2ce8ed0
	;; [unrolled: 1-line block ×3, first 2 shown]
	s_movk_i32 s8, 0x1f8
	s_waitcnt vmcnt(0)
	v_max_f32_e32 v6, v1, v1
	v_max_f32_e32 v7, v0, v0
	;; [unrolled: 1-line block ×3, first 2 shown]
	v_max3_f32 v6, v6, v2, v3
	ds_bpermute_b32 v7, v14, v6
	s_waitcnt lgkmcnt(0)
	v_max_f32_e32 v7, v7, v7
	v_max_f32_e32 v6, v6, v7
	ds_bpermute_b32 v7, v15, v6
	s_waitcnt lgkmcnt(0)
	v_max_f32_e32 v7, v7, v7
	v_max_f32_e32 v6, v6, v7
	;; [unrolled: 4-line block ×4, first 2 shown]
	ds_bpermute_b32 v5, v18, v4
	v_mov_b32_e32 v6, 0x7f800000
	s_waitcnt lgkmcnt(0)
	v_max_f32_e32 v5, v5, v5
	v_max_f32_e32 v4, v4, v5
	v_pk_add_f32 v[0:1], v[0:1], v[4:5] op_sel_hi:[1,0] neg_lo:[0,1] neg_hi:[0,1]
	v_sub_f32_e32 v2, v2, v4
	v_sub_f32_e32 v3, v3, v4
	v_mul_f32_e32 v4, 0x3fb8aa3b, v1
	v_mul_f32_e32 v5, 0x3fb8aa3b, v0
	v_fma_f32 v10, v1, s0, -v4
	v_rndne_f32_e32 v11, v4
	v_mul_f32_e32 v7, 0x3fb8aa3b, v2
	v_fma_f32 v12, v0, s0, -v5
	v_rndne_f32_e32 v19, v5
	v_fmac_f32_e32 v10, 0x32a5705f, v1
	v_sub_f32_e32 v4, v4, v11
	v_mul_f32_e32 v8, 0x3fb8aa3b, v3
	v_fma_f32 v20, v2, s0, -v7
	v_rndne_f32_e32 v21, v7
	v_fmac_f32_e32 v12, 0x32a5705f, v0
	v_sub_f32_e32 v5, v5, v19
	v_add_f32_e32 v4, v4, v10
	v_fma_f32 v22, v3, s0, -v8
	v_rndne_f32_e32 v23, v8
	v_cvt_i32_f32_e32 v11, v11
	v_fmac_f32_e32 v20, 0x32a5705f, v2
	v_sub_f32_e32 v7, v7, v21
	v_add_f32_e32 v5, v5, v12
	v_exp_f32_e32 v4, v4
	v_cvt_i32_f32_e32 v19, v19
	v_fmac_f32_e32 v22, 0x32a5705f, v3
	v_sub_f32_e32 v8, v8, v23
	v_add_f32_e32 v7, v7, v20
	v_exp_f32_e32 v5, v5
	v_cvt_i32_f32_e32 v21, v21
	v_add_f32_e32 v8, v8, v22
	v_exp_f32_e32 v7, v7
	v_cvt_i32_f32_e32 v23, v23
	v_exp_f32_e32 v8, v8
	v_ldexp_f32 v4, v4, v11
	v_cmp_ngt_f32_e32 vcc, s1, v1
	v_ldexp_f32 v5, v5, v19
	v_cndmask_b32_e32 v4, 0, v4, vcc
	v_cmp_ngt_f32_e32 vcc, s1, v0
	v_ldexp_f32 v7, v7, v21
	v_cndmask_b32_e32 v5, 0, v5, vcc
	;; [unrolled: 3-line block ×3, first 2 shown]
	v_cmp_ngt_f32_e32 vcc, s1, v3
	v_cndmask_b32_e32 v8, 0, v8, vcc
	v_cmp_nlt_f32_e32 vcc, s2, v1
	v_cndmask_b32_e32 v1, v6, v4, vcc
	v_cmp_nlt_f32_e32 vcc, s2, v0
	;; [unrolled: 2-line block ×4, first 2 shown]
	v_add_f32_e32 v4, v0, v1
	v_cndmask_b32_e32 v3, v6, v8, vcc
	v_add_f32_e32 v4, v4, v2
	v_add_f32_e32 v4, v4, v3
	ds_bpermute_b32 v5, v14, v4
	s_load_dwordx2 s[0:1], s[4:5], 0x40
	v_lshlrev_b32_e32 v19, 2, v13
	s_waitcnt lgkmcnt(0)
	v_add_f32_e32 v4, v4, v5
	ds_bpermute_b32 v5, v15, v4
	s_cmp_eq_u64 s[0:1], 0
	s_waitcnt lgkmcnt(0)
	v_add_f32_e32 v4, v4, v5
	ds_bpermute_b32 v5, v16, v4
	s_waitcnt lgkmcnt(0)
	v_add_f32_e32 v4, v4, v5
	ds_bpermute_b32 v5, v17, v4
	;; [unrolled: 3-line block ×3, first 2 shown]
	s_waitcnt lgkmcnt(0)
	v_add_f32_e32 v4, v4, v5
	v_div_scale_f32 v5, s[2:3], v4, v4, 1.0
	v_rcp_f32_e32 v6, v5
	v_div_scale_f32 v7, vcc, 1.0, v4, 1.0
	v_fma_f32 v8, -v5, v6, 1.0
	v_fmac_f32_e32 v6, v8, v6
	v_mul_f32_e32 v8, v7, v6
	v_fma_f32 v10, -v5, v8, v7
	v_fmac_f32_e32 v8, v10, v6
	v_fma_f32 v5, -v5, v8, v7
	v_div_fmas_f32 v5, v5, v6, v8
	v_div_fixup_f32 v4, v5, v4, 1.0
	v_mul_f32_e32 v0, v4, v0
	v_mul_f32_e32 v1, v4, v1
	v_cmp_class_f32_e64 vcc, v0, s8
	v_mul_f32_e32 v2, v4, v2
	v_cndmask_b32_e32 v0, 0, v0, vcc
	v_cmp_class_f32_e64 vcc, v1, s8
	v_mul_f32_e32 v3, v4, v3
	v_cndmask_b32_e32 v1, 0, v1, vcc
	v_cmp_class_f32_e64 vcc, v2, s8
	v_cndmask_b32_e32 v2, 0, v2, vcc
	v_cmp_class_f32_e64 vcc, v3, s8
	v_cndmask_b32_e32 v3, 0, v3, vcc
	s_cbranch_scc1 .LBB15_27
; %bb.4:
	v_lshlrev_b32_e32 v4, 2, v19
	global_load_dwordx4 v[4:7], v4, s[0:1]
	s_waitcnt vmcnt(0)
	v_pk_add_f32 v[4:5], v[4:5], v[0:1]
	v_pk_add_f32 v[6:7], v[6:7], v[2:3]
	s_cbranch_execnz .LBB15_6
.LBB15_5:
	v_pk_mov_b32 v[6:7], v[2:3], v[2:3] op_sel:[0,1]
	v_pk_mov_b32 v[4:5], v[0:1], v[0:1] op_sel:[0,1]
.LBB15_6:
	s_load_dwordx4 s[8:11], s[4:5], 0x30
	s_mov_b32 s25, 0
	v_cmp_eq_u32_e64 s[0:1], 0, v13
	s_waitcnt lgkmcnt(0)
	s_bitcmp1_b32 s11, 0
	s_cselect_b64 vcc, -1, 0
	s_cmp_gt_i32 s8, 0
	s_cselect_b64 s[20:21], -1, 0
	s_cmp_lt_i32 s8, 1
	s_cbranch_scc1 .LBB15_28
; %bb.7:
	s_load_dwordx4 s[12:15], s[4:5], 0x20
	v_mul_lo_u32 v21, v9, s8
	v_mov_b32_e32 v20, 0
	v_mov_b32_e32 v22, 0x80
	;; [unrolled: 1-line block ×4, first 2 shown]
	s_branch .LBB15_10
.LBB15_8:                               ;   in Loop: Header=BB15_10 Depth=1
	s_or_b64 exec, exec, s[4:5]
.LBB15_9:                               ;   in Loop: Header=BB15_10 Depth=1
	s_cmp_eq_u32 s8, s25
	v_add_u32_e32 v24, s24, v24
	s_cbranch_scc1 .LBB15_29
.LBB15_10:                              ; =>This Inner Loop Header: Depth=1
	v_cmp_gt_f32_e64 s[2:3], v5, v4
	v_cndmask_b32_e64 v8, v4, v5, s[2:3]
	v_cndmask_b32_e64 v10, v0, v1, s[2:3]
	s_waitcnt lgkmcnt(0)
	v_cndmask_b32_e64 v11, 0, 1, s[2:3]
	v_cmp_gt_f32_e64 s[2:3], v6, v8
	v_cndmask_b32_e64 v8, v8, v6, s[2:3]
	v_cndmask_b32_e64 v10, v10, v2, s[2:3]
	;; [unrolled: 1-line block ×3, first 2 shown]
	v_cmp_gt_f32_e64 s[2:3], v7, v8
	v_cndmask_b32_e64 v11, v11, 3, s[2:3]
	v_cndmask_b32_e64 v8, v8, v7, s[2:3]
	v_or_b32_e32 v11, v19, v11
	ds_bpermute_b32 v12, v14, v8
	ds_bpermute_b32 v25, v14, v11
	v_cndmask_b32_e64 v10, v10, v3, s[2:3]
	ds_bpermute_b32 v27, v14, v10
	s_waitcnt lgkmcnt(0)
	v_cmp_eq_f32_e64 s[4:5], v8, v12
	v_cmp_lt_i32_e64 s[6:7], v25, v11
	v_cmp_lt_f32_e64 s[2:3], v8, v12
	s_and_b64 s[4:5], s[4:5], s[6:7]
	s_or_b64 s[2:3], s[2:3], s[4:5]
	v_cndmask_b32_e64 v26, v11, v25, s[2:3]
	v_cndmask_b32_e64 v25, v8, v12, s[2:3]
	;; [unrolled: 1-line block ×3, first 2 shown]
	ds_bpermute_b32 v28, v15, v25
	ds_bpermute_b32 v12, v15, v8
	ds_bpermute_b32 v27, v15, v26
                                        ; implicit-def: $vgpr10_vgpr11
	s_waitcnt lgkmcnt(2)
	v_cmp_lt_f32_e64 s[6:7], v25, v28
	v_cmp_nlt_f32_e64 s[2:3], v25, v28
	s_and_saveexec_b64 s[22:23], s[2:3]
	s_cbranch_execz .LBB15_12
; %bb.11:                               ;   in Loop: Header=BB15_10 Depth=1
	v_cmp_eq_f32_e64 s[2:3], v25, v28
	s_waitcnt lgkmcnt(0)
	v_cmp_lt_i32_e64 s[4:5], v27, v26
	s_and_b64 s[2:3], s[2:3], s[4:5]
	s_andn2_b64 s[4:5], s[6:7], exec
	s_and_b64 s[2:3], s[2:3], exec
	s_or_b64 s[6:7], s[4:5], s[2:3]
	v_pk_mov_b32 v[10:11], v[8:9], v[8:9] op_sel:[0,1]
.LBB15_12:                              ;   in Loop: Header=BB15_10 Depth=1
	s_or_b64 exec, exec, s[22:23]
	s_and_saveexec_b64 s[2:3], s[6:7]
	s_cbranch_execz .LBB15_14
; %bb.13:                               ;   in Loop: Header=BB15_10 Depth=1
	v_mov_b32_e32 v25, v28
	s_waitcnt lgkmcnt(1)
	v_mov_b32_e32 v8, v12
	s_waitcnt lgkmcnt(0)
	v_mov_b32_e32 v26, v27
	v_pk_mov_b32 v[10:11], v[12:13], v[12:13] op_sel:[0,1]
.LBB15_14:                              ;   in Loop: Header=BB15_10 Depth=1
	s_or_b64 exec, exec, s[2:3]
	s_waitcnt lgkmcnt(0)
	ds_bpermute_b32 v27, v16, v25
	ds_bpermute_b32 v12, v16, v8
	;; [unrolled: 1-line block ×3, first 2 shown]
	s_waitcnt lgkmcnt(2)
	v_cmp_lt_f32_e64 s[6:7], v25, v27
	v_cmp_nlt_f32_e64 s[2:3], v25, v27
	s_and_saveexec_b64 s[22:23], s[2:3]
	s_cbranch_execz .LBB15_16
; %bb.15:                               ;   in Loop: Header=BB15_10 Depth=1
	v_cmp_eq_f32_e64 s[2:3], v25, v27
	s_waitcnt lgkmcnt(0)
	v_cmp_lt_i32_e64 s[4:5], v11, v26
	s_and_b64 s[2:3], s[2:3], s[4:5]
	s_andn2_b64 s[4:5], s[6:7], exec
	s_and_b64 s[2:3], s[2:3], exec
	s_or_b64 s[6:7], s[4:5], s[2:3]
.LBB15_16:                              ;   in Loop: Header=BB15_10 Depth=1
	s_or_b64 exec, exec, s[22:23]
	s_and_saveexec_b64 s[2:3], s[6:7]
	s_cbranch_execz .LBB15_18
; %bb.17:                               ;   in Loop: Header=BB15_10 Depth=1
	v_mov_b32_e32 v25, v27
	s_waitcnt lgkmcnt(1)
	v_mov_b32_e32 v8, v12
	s_waitcnt lgkmcnt(0)
	v_mov_b32_e32 v26, v11
	v_pk_mov_b32 v[10:11], v[12:13], v[12:13] op_sel:[0,1]
.LBB15_18:                              ;   in Loop: Header=BB15_10 Depth=1
	s_or_b64 exec, exec, s[2:3]
	ds_bpermute_b32 v27, v17, v25
	s_waitcnt lgkmcnt(2)
	ds_bpermute_b32 v12, v17, v8
	s_waitcnt lgkmcnt(2)
	;; [unrolled: 2-line block ×3, first 2 shown]
	v_cmp_lt_f32_e64 s[6:7], v25, v27
	v_cmp_nlt_f32_e64 s[2:3], v25, v27
	s_and_saveexec_b64 s[22:23], s[2:3]
	s_cbranch_execz .LBB15_20
; %bb.19:                               ;   in Loop: Header=BB15_10 Depth=1
	v_cmp_eq_f32_e64 s[2:3], v25, v27
	s_waitcnt lgkmcnt(0)
	v_cmp_lt_i32_e64 s[4:5], v11, v26
	s_and_b64 s[2:3], s[2:3], s[4:5]
	s_andn2_b64 s[4:5], s[6:7], exec
	s_and_b64 s[2:3], s[2:3], exec
	s_or_b64 s[6:7], s[4:5], s[2:3]
.LBB15_20:                              ;   in Loop: Header=BB15_10 Depth=1
	s_or_b64 exec, exec, s[22:23]
	s_and_saveexec_b64 s[2:3], s[6:7]
	s_cbranch_execz .LBB15_22
; %bb.21:                               ;   in Loop: Header=BB15_10 Depth=1
	v_mov_b32_e32 v25, v27
	s_waitcnt lgkmcnt(1)
	v_mov_b32_e32 v8, v12
	s_waitcnt lgkmcnt(0)
	v_mov_b32_e32 v26, v11
	v_pk_mov_b32 v[10:11], v[12:13], v[12:13] op_sel:[0,1]
.LBB15_22:                              ;   in Loop: Header=BB15_10 Depth=1
	s_or_b64 exec, exec, s[2:3]
	s_waitcnt lgkmcnt(1)
	ds_bpermute_b32 v12, v18, v25
	ds_bpermute_b32 v27, v18, v26
	s_waitcnt lgkmcnt(2)
	ds_bpermute_b32 v11, v18, v8
	s_waitcnt lgkmcnt(2)
	v_cmp_eq_f32_e64 s[4:5], v25, v12
	s_waitcnt lgkmcnt(1)
	v_cmp_lt_i32_e64 s[6:7], v27, v26
	v_cmp_lt_f32_e64 s[2:3], v25, v12
	s_and_b64 s[4:5], s[4:5], s[6:7]
	s_or_b64 s[2:3], s[2:3], s[4:5]
	v_cndmask_b32_e64 v8, v26, v27, s[2:3]
	s_and_saveexec_b64 s[6:7], s[0:1]
	s_cbranch_execnz .LBB15_24
; %bb.23:                               ;   in Loop: Header=BB15_10 Depth=1
	s_or_b64 exec, exec, s[6:7]
	s_add_i32 s25, s25, 1
	s_cmp_ge_i32 s25, s8
	s_cbranch_scc1 .LBB15_9
	s_branch .LBB15_25
.LBB15_24:                              ;   in Loop: Header=BB15_10 Depth=1
	s_waitcnt lgkmcnt(0)
	v_cndmask_b32_e64 v12, v10, v11, s[2:3]
	v_add_u32_e32 v10, s25, v21
	v_ashrrev_i32_e32 v11, 31, v10
	v_cmp_le_i32_e64 s[2:3], s9, v8
	v_cmp_gt_i32_e64 s[4:5], s10, v8
	v_lshlrev_b64 v[10:11], 2, v[10:11]
	s_and_b64 s[4:5], s[2:3], s[4:5]
	v_mov_b32_e32 v25, s17
	v_add_co_u32_e64 v26, s[2:3], s16, v10
	v_addc_co_u32_e64 v27, s[2:3], v25, v11, s[2:3]
	v_subrev_u32_e32 v25, s9, v8
	s_and_b64 s[2:3], s[18:19], s[4:5]
	global_store_dword v[26:27], v12, off
	v_cndmask_b32_e64 v25, v22, v25, s[2:3]
	v_mov_b32_e32 v27, s13
	v_add_co_u32_e64 v26, s[2:3], s12, v10
	v_addc_co_u32_e64 v27, s[2:3], v27, v11, s[2:3]
	global_store_dword v[26:27], v25, off
	v_mov_b32_e32 v25, s15
	v_add_co_u32_e64 v10, s[2:3], s14, v10
	v_addc_co_u32_e64 v11, s[2:3], v25, v11, s[2:3]
	global_store_dword v[10:11], v24, off
	v_add_f32_e32 v10, v20, v12
	v_cndmask_b32_e32 v20, v20, v10, vcc
	s_or_b64 exec, exec, s[6:7]
	s_add_i32 s25, s25, 1
	s_cmp_ge_i32 s25, s8
	s_cbranch_scc1 .LBB15_9
.LBB15_25:                              ;   in Loop: Header=BB15_10 Depth=1
	s_waitcnt lgkmcnt(0)
	v_ashrrev_i32_e32 v11, 31, v8
	v_lshrrev_b32_e32 v10, 30, v11
	v_add_u32_e32 v12, v8, v10
	v_ashrrev_i32_e32 v10, 2, v12
	v_ashrrev_i32_e32 v12, 31, v12
	v_lshrrev_b32_e32 v12, 27, v12
	v_add_u32_e32 v12, v10, v12
	v_and_b32_e32 v12, 0xffffffe0, v12
	v_sub_u32_e32 v12, v10, v12
	v_cmp_eq_u32_e64 s[2:3], v13, v12
	s_and_saveexec_b64 s[4:5], s[2:3]
	s_cbranch_execz .LBB15_8
; %bb.26:                               ;   in Loop: Header=BB15_10 Depth=1
	v_lshrrev_b32_e32 v11, 25, v11
	v_add_u32_e32 v11, v8, v11
	v_lshlrev_b32_e32 v10, 2, v10
	v_ashrrev_i32_e32 v11, 7, v11
	v_sub_u32_e32 v8, v8, v10
	v_lshl_add_u32 v8, v11, 2, v8
	v_cmp_ne_u32_e64 s[2:3], 3, v8
	v_cndmask_b32_e64 v7, v23, v7, s[2:3]
	v_cmp_ne_u32_e64 s[2:3], 2, v8
	v_cndmask_b32_e64 v6, v23, v6, s[2:3]
	;; [unrolled: 2-line block ×4, first 2 shown]
	s_branch .LBB15_8
.LBB15_27:
                                        ; implicit-def: $vgpr4_vgpr5_vgpr6_vgpr7
	s_andn2_b64 vcc, exec, s[6:7]
	s_cbranch_vccz .LBB15_5
	s_branch .LBB15_6
.LBB15_28:
	v_mov_b32_e32 v20, 0
.LBB15_29:
	v_cmp_eq_u32_e64 s[0:1], 0, v13
	s_and_b64 s[0:1], s[0:1], vcc
	s_and_b64 exec, exec, s[0:1]
	s_cbranch_execz .LBB15_38
; %bb.30:
	s_andn2_b64 vcc, exec, s[20:21]
	s_cbranch_vccnz .LBB15_38
; %bb.31:
	v_cmp_lt_f32_e32 vcc, 0, v20
	s_mov_b32 s2, 0
	v_cndmask_b32_e32 v0, 1.0, v20, vcc
	v_mul_lo_u32 v4, v9, s8
	s_cmp_eq_u32 s8, 1
	s_mov_b64 s[0:1], -1
	s_cbranch_scc1 .LBB15_35
; %bb.32:
	s_and_b32 s2, s8, 0x7ffffffe
	v_mov_b32_e32 v1, v0
	v_mov_b32_e32 v5, s17
	s_mov_b32 s3, s2
	v_mov_b32_e32 v2, v4
.LBB15_33:                              ; =>This Inner Loop Header: Depth=1
	v_ashrrev_i32_e32 v3, 31, v2
	v_lshlrev_b64 v[6:7], 2, v[2:3]
	v_add_co_u32_e32 v6, vcc, s16, v6
	v_addc_co_u32_e32 v7, vcc, v5, v7, vcc
	global_load_dwordx2 v[8:9], v[6:7], off
	s_add_i32 s3, s3, -2
	s_cmp_lg_u32 s3, 0
	v_add_u32_e32 v2, 2, v2
	s_waitcnt vmcnt(0)
	v_div_scale_f32 v3, s[0:1], v1, v1, v9
	s_waitcnt lgkmcnt(0)
	v_div_scale_f32 v11, s[0:1], v0, v0, v8
	v_rcp_f32_e32 v12, v3
	v_rcp_f32_e32 v13, v11
	v_div_scale_f32 v10, vcc, v9, v1, v9
	v_fma_f32 v15, -v3, v12, 1.0
	v_fma_f32 v16, -v11, v13, 1.0
	v_fmac_f32_e32 v12, v15, v12
	v_div_scale_f32 v14, s[0:1], v8, v0, v8
	v_fmac_f32_e32 v13, v16, v13
	v_mul_f32_e32 v15, v10, v12
	v_mul_f32_e32 v16, v14, v13
	v_fma_f32 v17, -v3, v15, v10
	v_fma_f32 v18, -v11, v16, v14
	v_fmac_f32_e32 v15, v17, v12
	v_fmac_f32_e32 v16, v18, v13
	v_fma_f32 v3, -v3, v15, v10
	v_fma_f32 v10, -v11, v16, v14
	v_div_fmas_f32 v3, v3, v12, v15
	s_mov_b64 vcc, s[0:1]
	v_div_fixup_f32 v9, v3, v1, v9
	v_div_fmas_f32 v3, v10, v13, v16
	v_div_fixup_f32 v8, v3, v0, v8
	global_store_dwordx2 v[6:7], v[8:9], off
	s_cbranch_scc1 .LBB15_33
; %bb.34:
	s_cmp_lg_u32 s2, s8
	s_cselect_b64 s[0:1], -1, 0
.LBB15_35:
	s_and_b64 vcc, exec, s[0:1]
	s_cbranch_vccz .LBB15_38
; %bb.36:
	v_ashrrev_i32_e32 v1, 31, v4
	v_add_co_u32_e32 v2, vcc, s2, v4
	v_addc_co_u32_e32 v3, vcc, 0, v1, vcc
	v_lshlrev_b64 v[2:3], 2, v[2:3]
	v_mov_b32_e32 v1, s17
	v_add_co_u32_e32 v2, vcc, s16, v2
	s_sub_i32 s0, s8, s2
	v_addc_co_u32_e32 v3, vcc, v1, v3, vcc
.LBB15_37:                              ; =>This Inner Loop Header: Depth=1
	global_load_dword v1, v[2:3], off
	s_add_i32 s0, s0, -1
	s_cmp_lg_u32 s0, 0
	s_waitcnt vmcnt(0)
	v_div_scale_f32 v4, s[2:3], v0, v0, v1
	v_rcp_f32_e32 v5, v4
	v_div_scale_f32 v6, vcc, v1, v0, v1
	v_fma_f32 v7, -v4, v5, 1.0
	v_fmac_f32_e32 v5, v7, v5
	v_mul_f32_e32 v7, v6, v5
	v_fma_f32 v8, -v4, v7, v6
	v_fmac_f32_e32 v7, v8, v5
	v_fma_f32 v4, -v4, v7, v6
	v_div_fmas_f32 v4, v4, v5, v7
	v_div_fixup_f32 v1, v4, v0, v1
	global_store_dword v[2:3], v1, off
	v_add_co_u32_e32 v2, vcc, 4, v2
	v_addc_co_u32_e32 v3, vcc, 0, v3, vcc
	s_cbranch_scc1 .LBB15_37
.LBB15_38:
	s_endpgm
	.section	.rodata,"a",@progbits
	.p2align	6, 0x0
	.amdhsa_kernel _ZN4vllm3moe10topkGatingILi4ELi128ELi4ELi16ELi32EifLNS0_11ScoringFuncE0EEEvPKT5_PKbPfiPT4_PiiiibPKf
		.amdhsa_group_segment_fixed_size 0
		.amdhsa_private_segment_fixed_size 0
		.amdhsa_kernarg_size 72
		.amdhsa_user_sgpr_count 6
		.amdhsa_user_sgpr_private_segment_buffer 1
		.amdhsa_user_sgpr_dispatch_ptr 0
		.amdhsa_user_sgpr_queue_ptr 0
		.amdhsa_user_sgpr_kernarg_segment_ptr 1
		.amdhsa_user_sgpr_dispatch_id 0
		.amdhsa_user_sgpr_flat_scratch_init 0
		.amdhsa_user_sgpr_kernarg_preload_length 0
		.amdhsa_user_sgpr_kernarg_preload_offset 0
		.amdhsa_user_sgpr_private_segment_size 0
		.amdhsa_uses_dynamic_stack 0
		.amdhsa_system_sgpr_private_segment_wavefront_offset 0
		.amdhsa_system_sgpr_workgroup_id_x 1
		.amdhsa_system_sgpr_workgroup_id_y 0
		.amdhsa_system_sgpr_workgroup_id_z 0
		.amdhsa_system_sgpr_workgroup_info 0
		.amdhsa_system_vgpr_workitem_id 1
		.amdhsa_next_free_vgpr 29
		.amdhsa_next_free_sgpr 26
		.amdhsa_accum_offset 32
		.amdhsa_reserve_vcc 1
		.amdhsa_reserve_flat_scratch 0
		.amdhsa_float_round_mode_32 0
		.amdhsa_float_round_mode_16_64 0
		.amdhsa_float_denorm_mode_32 3
		.amdhsa_float_denorm_mode_16_64 3
		.amdhsa_dx10_clamp 1
		.amdhsa_ieee_mode 1
		.amdhsa_fp16_overflow 0
		.amdhsa_tg_split 0
		.amdhsa_exception_fp_ieee_invalid_op 0
		.amdhsa_exception_fp_denorm_src 0
		.amdhsa_exception_fp_ieee_div_zero 0
		.amdhsa_exception_fp_ieee_overflow 0
		.amdhsa_exception_fp_ieee_underflow 0
		.amdhsa_exception_fp_ieee_inexact 0
		.amdhsa_exception_int_div_zero 0
	.end_amdhsa_kernel
	.section	.text._ZN4vllm3moe10topkGatingILi4ELi128ELi4ELi16ELi32EifLNS0_11ScoringFuncE0EEEvPKT5_PKbPfiPT4_PiiiibPKf,"axG",@progbits,_ZN4vllm3moe10topkGatingILi4ELi128ELi4ELi16ELi32EifLNS0_11ScoringFuncE0EEEvPKT5_PKbPfiPT4_PiiiibPKf,comdat
.Lfunc_end15:
	.size	_ZN4vllm3moe10topkGatingILi4ELi128ELi4ELi16ELi32EifLNS0_11ScoringFuncE0EEEvPKT5_PKbPfiPT4_PiiiibPKf, .Lfunc_end15-_ZN4vllm3moe10topkGatingILi4ELi128ELi4ELi16ELi32EifLNS0_11ScoringFuncE0EEEvPKT5_PKbPfiPT4_PiiiibPKf
                                        ; -- End function
	.section	.AMDGPU.csdata,"",@progbits
; Kernel info:
; codeLenInByte = 2668
; NumSgprs: 30
; NumVgprs: 29
; NumAgprs: 0
; TotalNumVgprs: 29
; ScratchSize: 0
; MemoryBound: 0
; FloatMode: 240
; IeeeMode: 1
; LDSByteSize: 0 bytes/workgroup (compile time only)
; SGPRBlocks: 3
; VGPRBlocks: 3
; NumSGPRsForWavesPerEU: 30
; NumVGPRsForWavesPerEU: 29
; AccumOffset: 32
; Occupancy: 8
; WaveLimiterHint : 0
; COMPUTE_PGM_RSRC2:SCRATCH_EN: 0
; COMPUTE_PGM_RSRC2:USER_SGPR: 6
; COMPUTE_PGM_RSRC2:TRAP_HANDLER: 0
; COMPUTE_PGM_RSRC2:TGID_X_EN: 1
; COMPUTE_PGM_RSRC2:TGID_Y_EN: 0
; COMPUTE_PGM_RSRC2:TGID_Z_EN: 0
; COMPUTE_PGM_RSRC2:TIDIG_COMP_CNT: 1
; COMPUTE_PGM_RSRC3_GFX90A:ACCUM_OFFSET: 7
; COMPUTE_PGM_RSRC3_GFX90A:TG_SPLIT: 0
	.section	.text._ZN4vllm3moe10topkGatingILi4ELi256ELi4ELi16ELi64EifLNS0_11ScoringFuncE0EEEvPKT5_PKbPfiPT4_PiiiibPKf,"axG",@progbits,_ZN4vllm3moe10topkGatingILi4ELi256ELi4ELi16ELi64EifLNS0_11ScoringFuncE0EEEvPKT5_PKbPfiPT4_PiiiibPKf,comdat
	.protected	_ZN4vllm3moe10topkGatingILi4ELi256ELi4ELi16ELi64EifLNS0_11ScoringFuncE0EEEvPKT5_PKbPfiPT4_PiiiibPKf ; -- Begin function _ZN4vllm3moe10topkGatingILi4ELi256ELi4ELi16ELi64EifLNS0_11ScoringFuncE0EEEvPKT5_PKbPfiPT4_PiiiibPKf
	.globl	_ZN4vllm3moe10topkGatingILi4ELi256ELi4ELi16ELi64EifLNS0_11ScoringFuncE0EEEvPKT5_PKbPfiPT4_PiiiibPKf
	.p2align	8
	.type	_ZN4vllm3moe10topkGatingILi4ELi256ELi4ELi16ELi64EifLNS0_11ScoringFuncE0EEEvPKT5_PKbPfiPT4_PiiiibPKf,@function
_ZN4vllm3moe10topkGatingILi4ELi256ELi4ELi16ELi64EifLNS0_11ScoringFuncE0EEEvPKT5_PKbPfiPT4_PiiiibPKf: ; @_ZN4vllm3moe10topkGatingILi4ELi256ELi4ELi16ELi64EifLNS0_11ScoringFuncE0EEEvPKT5_PKbPfiPT4_PiiiibPKf
; %bb.0:
	s_load_dword s24, s[4:5], 0x18
	v_and_b32_e32 v1, 0x3ff, v0
	s_lshl_b32 s0, s6, 2
	v_lshrrev_b32_e32 v2, 6, v1
	v_bfe_u32 v0, v0, 10, 10
	v_add3_u32 v9, s0, v0, v2
	s_waitcnt lgkmcnt(0)
	v_cmp_gt_i32_e32 vcc, s24, v9
	s_and_saveexec_b64 s[0:1], vcc
	s_cbranch_execz .LBB16_42
; %bb.1:
	s_load_dwordx4 s[0:3], s[4:5], 0x0
	s_load_dwordx2 s[16:17], s[4:5], 0x10
	s_mov_b64 s[6:7], -1
	s_mov_b64 s[18:19], -1
	s_waitcnt lgkmcnt(0)
	s_cmp_eq_u64 s[2:3], 0
	s_cbranch_scc1 .LBB16_3
; %bb.2:
	v_ashrrev_i32_e32 v0, 31, v9
	v_mov_b32_e32 v3, s3
	v_add_co_u32_e32 v2, vcc, s2, v9
	v_addc_co_u32_e32 v3, vcc, v3, v0, vcc
	global_load_ubyte v0, v[2:3], off
	s_waitcnt vmcnt(0)
	v_and_b32_e32 v0, 1, v0
	v_cmp_eq_u32_e32 vcc, 1, v0
	s_xor_b64 s[2:3], vcc, -1
	s_orn2_b64 s[18:19], s[2:3], exec
.LBB16_3:
	v_lshlrev_b32_e32 v2, 8, v9
	v_ashrrev_i32_e32 v3, 31, v2
	v_lshlrev_b64 v[2:3], 2, v[2:3]
	v_mov_b32_e32 v0, s1
	v_add_co_u32_e32 v2, vcc, s0, v2
	v_and_b32_e32 v13, 63, v1
	v_addc_co_u32_e32 v3, vcc, v0, v3, vcc
	v_lshlrev_b32_e32 v0, 4, v13
	v_add_co_u32_e32 v0, vcc, v2, v0
	v_addc_co_u32_e32 v1, vcc, 0, v3, vcc
	global_load_dwordx4 v[0:3], v[0:1], off
	v_mbcnt_lo_u32_b32 v4, -1, 0
	v_mbcnt_hi_u32_b32 v4, -1, v4
	v_and_b32_e32 v5, 64, v4
	v_xor_b32_e32 v6, 32, v4
	v_add_u32_e32 v5, 64, v5
	v_cmp_lt_i32_e32 vcc, v6, v5
	v_cndmask_b32_e32 v6, v4, v6, vcc
	v_lshlrev_b32_e32 v14, 2, v6
	v_xor_b32_e32 v8, 16, v4
	v_cmp_lt_i32_e32 vcc, v8, v5
	v_cndmask_b32_e32 v8, v4, v8, vcc
	v_lshlrev_b32_e32 v15, 2, v8
	v_xor_b32_e32 v8, 8, v4
	;; [unrolled: 4-line block ×5, first 2 shown]
	v_cmp_lt_i32_e32 vcc, v8, v5
	v_cndmask_b32_e32 v4, v4, v8, vcc
	v_lshlrev_b32_e32 v19, 2, v4
	s_mov_b32 s0, 0x3fb8aa3b
	s_mov_b32 s1, 0xc2ce8ed0
	;; [unrolled: 1-line block ×3, first 2 shown]
	s_movk_i32 s8, 0x1f8
	s_waitcnt vmcnt(0)
	v_max_f32_e32 v6, v1, v1
	v_max_f32_e32 v7, v0, v0
	;; [unrolled: 1-line block ×3, first 2 shown]
	v_max3_f32 v6, v6, v2, v3
	ds_bpermute_b32 v7, v14, v6
	s_waitcnt lgkmcnt(0)
	v_max_f32_e32 v7, v7, v7
	v_max_f32_e32 v6, v6, v7
	ds_bpermute_b32 v7, v15, v6
	s_waitcnt lgkmcnt(0)
	v_max_f32_e32 v7, v7, v7
	v_max_f32_e32 v6, v6, v7
	;; [unrolled: 4-line block ×5, first 2 shown]
	ds_bpermute_b32 v5, v19, v4
	v_mov_b32_e32 v6, 0x7f800000
	s_waitcnt lgkmcnt(0)
	v_max_f32_e32 v5, v5, v5
	v_max_f32_e32 v4, v4, v5
	v_pk_add_f32 v[0:1], v[0:1], v[4:5] op_sel_hi:[1,0] neg_lo:[0,1] neg_hi:[0,1]
	v_sub_f32_e32 v2, v2, v4
	v_sub_f32_e32 v3, v3, v4
	v_mul_f32_e32 v4, 0x3fb8aa3b, v1
	v_mul_f32_e32 v5, 0x3fb8aa3b, v0
	v_fma_f32 v10, v1, s0, -v4
	v_rndne_f32_e32 v11, v4
	v_mul_f32_e32 v7, 0x3fb8aa3b, v2
	v_fma_f32 v12, v0, s0, -v5
	v_rndne_f32_e32 v20, v5
	v_fmac_f32_e32 v10, 0x32a5705f, v1
	v_sub_f32_e32 v4, v4, v11
	v_mul_f32_e32 v8, 0x3fb8aa3b, v3
	v_fma_f32 v21, v2, s0, -v7
	v_rndne_f32_e32 v22, v7
	v_fmac_f32_e32 v12, 0x32a5705f, v0
	v_sub_f32_e32 v5, v5, v20
	v_add_f32_e32 v4, v4, v10
	v_fma_f32 v23, v3, s0, -v8
	v_rndne_f32_e32 v24, v8
	v_cvt_i32_f32_e32 v11, v11
	v_fmac_f32_e32 v21, 0x32a5705f, v2
	v_sub_f32_e32 v7, v7, v22
	v_add_f32_e32 v5, v5, v12
	v_exp_f32_e32 v4, v4
	v_cvt_i32_f32_e32 v20, v20
	v_fmac_f32_e32 v23, 0x32a5705f, v3
	v_sub_f32_e32 v8, v8, v24
	v_add_f32_e32 v7, v7, v21
	v_exp_f32_e32 v5, v5
	v_cvt_i32_f32_e32 v22, v22
	v_add_f32_e32 v8, v8, v23
	v_exp_f32_e32 v7, v7
	v_cvt_i32_f32_e32 v24, v24
	v_exp_f32_e32 v8, v8
	v_ldexp_f32 v4, v4, v11
	v_cmp_ngt_f32_e32 vcc, s1, v1
	v_ldexp_f32 v5, v5, v20
	v_cndmask_b32_e32 v4, 0, v4, vcc
	v_cmp_ngt_f32_e32 vcc, s1, v0
	v_ldexp_f32 v7, v7, v22
	v_cndmask_b32_e32 v5, 0, v5, vcc
	;; [unrolled: 3-line block ×3, first 2 shown]
	v_cmp_ngt_f32_e32 vcc, s1, v3
	v_cndmask_b32_e32 v8, 0, v8, vcc
	v_cmp_nlt_f32_e32 vcc, s2, v1
	v_cndmask_b32_e32 v1, v6, v4, vcc
	v_cmp_nlt_f32_e32 vcc, s2, v0
	;; [unrolled: 2-line block ×4, first 2 shown]
	v_add_f32_e32 v4, v0, v1
	v_cndmask_b32_e32 v3, v6, v8, vcc
	v_add_f32_e32 v4, v4, v2
	v_add_f32_e32 v4, v4, v3
	ds_bpermute_b32 v5, v14, v4
	s_load_dwordx2 s[0:1], s[4:5], 0x40
	v_lshlrev_b32_e32 v20, 2, v13
	s_waitcnt lgkmcnt(0)
	v_add_f32_e32 v4, v4, v5
	ds_bpermute_b32 v5, v15, v4
	s_cmp_eq_u64 s[0:1], 0
	s_waitcnt lgkmcnt(0)
	v_add_f32_e32 v4, v4, v5
	ds_bpermute_b32 v5, v16, v4
	s_waitcnt lgkmcnt(0)
	v_add_f32_e32 v4, v4, v5
	ds_bpermute_b32 v5, v17, v4
	;; [unrolled: 3-line block ×4, first 2 shown]
	s_waitcnt lgkmcnt(0)
	v_add_f32_e32 v4, v4, v5
	v_div_scale_f32 v5, s[2:3], v4, v4, 1.0
	v_rcp_f32_e32 v6, v5
	v_div_scale_f32 v7, vcc, 1.0, v4, 1.0
	v_fma_f32 v8, -v5, v6, 1.0
	v_fmac_f32_e32 v6, v8, v6
	v_mul_f32_e32 v8, v7, v6
	v_fma_f32 v10, -v5, v8, v7
	v_fmac_f32_e32 v8, v10, v6
	v_fma_f32 v5, -v5, v8, v7
	v_div_fmas_f32 v5, v5, v6, v8
	v_div_fixup_f32 v4, v5, v4, 1.0
	v_mul_f32_e32 v0, v4, v0
	v_mul_f32_e32 v1, v4, v1
	v_cmp_class_f32_e64 vcc, v0, s8
	v_mul_f32_e32 v2, v4, v2
	v_cndmask_b32_e32 v0, 0, v0, vcc
	v_cmp_class_f32_e64 vcc, v1, s8
	v_mul_f32_e32 v3, v4, v3
	v_cndmask_b32_e32 v1, 0, v1, vcc
	v_cmp_class_f32_e64 vcc, v2, s8
	v_cndmask_b32_e32 v2, 0, v2, vcc
	v_cmp_class_f32_e64 vcc, v3, s8
	v_cndmask_b32_e32 v3, 0, v3, vcc
	s_cbranch_scc1 .LBB16_31
; %bb.4:
	v_lshlrev_b32_e32 v4, 2, v20
	global_load_dwordx4 v[4:7], v4, s[0:1]
	s_waitcnt vmcnt(0)
	v_pk_add_f32 v[4:5], v[4:5], v[0:1]
	v_pk_add_f32 v[6:7], v[6:7], v[2:3]
	s_cbranch_execnz .LBB16_6
.LBB16_5:
	v_pk_mov_b32 v[6:7], v[2:3], v[2:3] op_sel:[0,1]
	v_pk_mov_b32 v[4:5], v[0:1], v[0:1] op_sel:[0,1]
.LBB16_6:
	s_load_dwordx4 s[8:11], s[4:5], 0x30
	s_mov_b32 s25, 0
	v_cmp_eq_u32_e64 s[0:1], 0, v13
	s_waitcnt lgkmcnt(0)
	s_bitcmp1_b32 s11, 0
	s_cselect_b64 vcc, -1, 0
	s_cmp_gt_i32 s8, 0
	s_cselect_b64 s[20:21], -1, 0
	s_cmp_lt_i32 s8, 1
	s_cbranch_scc1 .LBB16_32
; %bb.7:
	s_load_dwordx4 s[12:15], s[4:5], 0x20
	v_mul_lo_u32 v22, v9, s8
	v_mov_b32_e32 v21, 0
	v_mov_b32_e32 v23, 0x100
	;; [unrolled: 1-line block ×4, first 2 shown]
	s_branch .LBB16_10
.LBB16_8:                               ;   in Loop: Header=BB16_10 Depth=1
	s_or_b64 exec, exec, s[4:5]
.LBB16_9:                               ;   in Loop: Header=BB16_10 Depth=1
	s_cmp_eq_u32 s8, s25
	v_add_u32_e32 v25, s24, v25
	s_cbranch_scc1 .LBB16_33
.LBB16_10:                              ; =>This Inner Loop Header: Depth=1
	v_cmp_gt_f32_e64 s[2:3], v5, v4
	v_cndmask_b32_e64 v8, v4, v5, s[2:3]
	v_cndmask_b32_e64 v10, v0, v1, s[2:3]
	s_waitcnt lgkmcnt(0)
	v_cndmask_b32_e64 v11, 0, 1, s[2:3]
	v_cmp_gt_f32_e64 s[2:3], v6, v8
	v_cndmask_b32_e64 v8, v8, v6, s[2:3]
	v_cndmask_b32_e64 v10, v10, v2, s[2:3]
	;; [unrolled: 1-line block ×3, first 2 shown]
	v_cmp_gt_f32_e64 s[2:3], v7, v8
	v_cndmask_b32_e64 v11, v11, 3, s[2:3]
	v_cndmask_b32_e64 v8, v8, v7, s[2:3]
	v_or_b32_e32 v11, v20, v11
	ds_bpermute_b32 v12, v14, v8
	ds_bpermute_b32 v26, v14, v11
	v_cndmask_b32_e64 v10, v10, v3, s[2:3]
	ds_bpermute_b32 v28, v14, v10
	s_waitcnt lgkmcnt(0)
	v_cmp_eq_f32_e64 s[4:5], v8, v12
	v_cmp_lt_i32_e64 s[6:7], v26, v11
	v_cmp_lt_f32_e64 s[2:3], v8, v12
	s_and_b64 s[4:5], s[4:5], s[6:7]
	s_or_b64 s[2:3], s[2:3], s[4:5]
	v_cndmask_b32_e64 v27, v11, v26, s[2:3]
	v_cndmask_b32_e64 v26, v8, v12, s[2:3]
	;; [unrolled: 1-line block ×3, first 2 shown]
	ds_bpermute_b32 v29, v15, v26
	ds_bpermute_b32 v12, v15, v8
	;; [unrolled: 1-line block ×3, first 2 shown]
                                        ; implicit-def: $vgpr10_vgpr11
	s_waitcnt lgkmcnt(2)
	v_cmp_lt_f32_e64 s[6:7], v26, v29
	v_cmp_nlt_f32_e64 s[2:3], v26, v29
	s_and_saveexec_b64 s[22:23], s[2:3]
	s_cbranch_execz .LBB16_12
; %bb.11:                               ;   in Loop: Header=BB16_10 Depth=1
	v_cmp_eq_f32_e64 s[2:3], v26, v29
	s_waitcnt lgkmcnt(0)
	v_cmp_lt_i32_e64 s[4:5], v28, v27
	s_and_b64 s[2:3], s[2:3], s[4:5]
	s_andn2_b64 s[4:5], s[6:7], exec
	s_and_b64 s[2:3], s[2:3], exec
	s_or_b64 s[6:7], s[4:5], s[2:3]
	v_pk_mov_b32 v[10:11], v[8:9], v[8:9] op_sel:[0,1]
.LBB16_12:                              ;   in Loop: Header=BB16_10 Depth=1
	s_or_b64 exec, exec, s[22:23]
	s_and_saveexec_b64 s[2:3], s[6:7]
	s_cbranch_execz .LBB16_14
; %bb.13:                               ;   in Loop: Header=BB16_10 Depth=1
	v_mov_b32_e32 v26, v29
	s_waitcnt lgkmcnt(1)
	v_mov_b32_e32 v8, v12
	s_waitcnt lgkmcnt(0)
	v_mov_b32_e32 v27, v28
	v_pk_mov_b32 v[10:11], v[12:13], v[12:13] op_sel:[0,1]
.LBB16_14:                              ;   in Loop: Header=BB16_10 Depth=1
	s_or_b64 exec, exec, s[2:3]
	s_waitcnt lgkmcnt(0)
	ds_bpermute_b32 v28, v16, v26
	ds_bpermute_b32 v12, v16, v8
	;; [unrolled: 1-line block ×3, first 2 shown]
	s_waitcnt lgkmcnt(2)
	v_cmp_lt_f32_e64 s[6:7], v26, v28
	v_cmp_nlt_f32_e64 s[2:3], v26, v28
	s_and_saveexec_b64 s[22:23], s[2:3]
	s_cbranch_execz .LBB16_16
; %bb.15:                               ;   in Loop: Header=BB16_10 Depth=1
	v_cmp_eq_f32_e64 s[2:3], v26, v28
	s_waitcnt lgkmcnt(0)
	v_cmp_lt_i32_e64 s[4:5], v11, v27
	s_and_b64 s[2:3], s[2:3], s[4:5]
	s_andn2_b64 s[4:5], s[6:7], exec
	s_and_b64 s[2:3], s[2:3], exec
	s_or_b64 s[6:7], s[4:5], s[2:3]
.LBB16_16:                              ;   in Loop: Header=BB16_10 Depth=1
	s_or_b64 exec, exec, s[22:23]
	s_and_saveexec_b64 s[2:3], s[6:7]
	s_cbranch_execz .LBB16_18
; %bb.17:                               ;   in Loop: Header=BB16_10 Depth=1
	v_mov_b32_e32 v26, v28
	s_waitcnt lgkmcnt(1)
	v_mov_b32_e32 v8, v12
	s_waitcnt lgkmcnt(0)
	v_mov_b32_e32 v27, v11
	v_pk_mov_b32 v[10:11], v[12:13], v[12:13] op_sel:[0,1]
.LBB16_18:                              ;   in Loop: Header=BB16_10 Depth=1
	s_or_b64 exec, exec, s[2:3]
	ds_bpermute_b32 v28, v17, v26
	s_waitcnt lgkmcnt(2)
	ds_bpermute_b32 v12, v17, v8
	s_waitcnt lgkmcnt(2)
	;; [unrolled: 2-line block ×3, first 2 shown]
	v_cmp_lt_f32_e64 s[6:7], v26, v28
	v_cmp_nlt_f32_e64 s[2:3], v26, v28
	s_and_saveexec_b64 s[22:23], s[2:3]
	s_cbranch_execz .LBB16_20
; %bb.19:                               ;   in Loop: Header=BB16_10 Depth=1
	v_cmp_eq_f32_e64 s[2:3], v26, v28
	s_waitcnt lgkmcnt(0)
	v_cmp_lt_i32_e64 s[4:5], v11, v27
	s_and_b64 s[2:3], s[2:3], s[4:5]
	s_andn2_b64 s[4:5], s[6:7], exec
	s_and_b64 s[2:3], s[2:3], exec
	s_or_b64 s[6:7], s[4:5], s[2:3]
.LBB16_20:                              ;   in Loop: Header=BB16_10 Depth=1
	s_or_b64 exec, exec, s[22:23]
	s_and_saveexec_b64 s[2:3], s[6:7]
	s_cbranch_execz .LBB16_22
; %bb.21:                               ;   in Loop: Header=BB16_10 Depth=1
	v_mov_b32_e32 v26, v28
	s_waitcnt lgkmcnt(1)
	v_mov_b32_e32 v8, v12
	s_waitcnt lgkmcnt(0)
	v_mov_b32_e32 v27, v11
	v_pk_mov_b32 v[10:11], v[12:13], v[12:13] op_sel:[0,1]
.LBB16_22:                              ;   in Loop: Header=BB16_10 Depth=1
	s_or_b64 exec, exec, s[2:3]
	ds_bpermute_b32 v28, v18, v26
	s_waitcnt lgkmcnt(2)
	ds_bpermute_b32 v12, v18, v8
	s_waitcnt lgkmcnt(2)
	;; [unrolled: 2-line block ×3, first 2 shown]
	v_cmp_lt_f32_e64 s[6:7], v26, v28
	v_cmp_nlt_f32_e64 s[2:3], v26, v28
	s_and_saveexec_b64 s[22:23], s[2:3]
	s_cbranch_execz .LBB16_24
; %bb.23:                               ;   in Loop: Header=BB16_10 Depth=1
	v_cmp_eq_f32_e64 s[2:3], v26, v28
	s_waitcnt lgkmcnt(0)
	v_cmp_lt_i32_e64 s[4:5], v11, v27
	s_and_b64 s[2:3], s[2:3], s[4:5]
	s_andn2_b64 s[4:5], s[6:7], exec
	s_and_b64 s[2:3], s[2:3], exec
	s_or_b64 s[6:7], s[4:5], s[2:3]
.LBB16_24:                              ;   in Loop: Header=BB16_10 Depth=1
	s_or_b64 exec, exec, s[22:23]
	s_and_saveexec_b64 s[2:3], s[6:7]
	s_cbranch_execz .LBB16_26
; %bb.25:                               ;   in Loop: Header=BB16_10 Depth=1
	v_mov_b32_e32 v26, v28
	s_waitcnt lgkmcnt(1)
	v_mov_b32_e32 v8, v12
	s_waitcnt lgkmcnt(0)
	v_mov_b32_e32 v27, v11
	v_pk_mov_b32 v[10:11], v[12:13], v[12:13] op_sel:[0,1]
.LBB16_26:                              ;   in Loop: Header=BB16_10 Depth=1
	s_or_b64 exec, exec, s[2:3]
	s_waitcnt lgkmcnt(1)
	ds_bpermute_b32 v12, v19, v26
	ds_bpermute_b32 v28, v19, v27
	s_waitcnt lgkmcnt(2)
	ds_bpermute_b32 v11, v19, v8
	s_waitcnt lgkmcnt(2)
	v_cmp_eq_f32_e64 s[4:5], v26, v12
	s_waitcnt lgkmcnt(1)
	v_cmp_lt_i32_e64 s[6:7], v28, v27
	v_cmp_lt_f32_e64 s[2:3], v26, v12
	s_and_b64 s[4:5], s[4:5], s[6:7]
	s_or_b64 s[2:3], s[2:3], s[4:5]
	v_cndmask_b32_e64 v8, v27, v28, s[2:3]
	s_and_saveexec_b64 s[6:7], s[0:1]
	s_cbranch_execnz .LBB16_28
; %bb.27:                               ;   in Loop: Header=BB16_10 Depth=1
	s_or_b64 exec, exec, s[6:7]
	s_add_i32 s25, s25, 1
	s_cmp_ge_i32 s25, s8
	s_cbranch_scc1 .LBB16_9
	s_branch .LBB16_29
.LBB16_28:                              ;   in Loop: Header=BB16_10 Depth=1
	s_waitcnt lgkmcnt(0)
	v_cndmask_b32_e64 v12, v10, v11, s[2:3]
	v_add_u32_e32 v10, s25, v22
	v_ashrrev_i32_e32 v11, 31, v10
	v_cmp_le_i32_e64 s[2:3], s9, v8
	v_cmp_gt_i32_e64 s[4:5], s10, v8
	v_lshlrev_b64 v[10:11], 2, v[10:11]
	s_and_b64 s[4:5], s[2:3], s[4:5]
	v_mov_b32_e32 v27, s17
	v_add_co_u32_e64 v26, s[2:3], s16, v10
	v_addc_co_u32_e64 v27, s[2:3], v27, v11, s[2:3]
	global_store_dword v[26:27], v12, off
	v_subrev_u32_e32 v26, s9, v8
	s_and_b64 s[2:3], s[18:19], s[4:5]
	v_cndmask_b32_e64 v28, v23, v26, s[2:3]
	v_mov_b32_e32 v27, s13
	v_add_co_u32_e64 v26, s[2:3], s12, v10
	v_addc_co_u32_e64 v27, s[2:3], v27, v11, s[2:3]
	global_store_dword v[26:27], v28, off
	v_mov_b32_e32 v26, s15
	v_add_co_u32_e64 v10, s[2:3], s14, v10
	v_addc_co_u32_e64 v11, s[2:3], v26, v11, s[2:3]
	global_store_dword v[10:11], v25, off
	v_add_f32_e32 v10, v21, v12
	v_cndmask_b32_e32 v21, v21, v10, vcc
	s_or_b64 exec, exec, s[6:7]
	s_add_i32 s25, s25, 1
	s_cmp_ge_i32 s25, s8
	s_cbranch_scc1 .LBB16_9
.LBB16_29:                              ;   in Loop: Header=BB16_10 Depth=1
	v_ashrrev_i32_e32 v10, 31, v8
	s_waitcnt lgkmcnt(0)
	v_lshrrev_b32_e32 v11, 30, v10
	v_add_u32_e32 v12, v8, v11
	v_ashrrev_i32_e32 v11, 2, v12
	v_ashrrev_i32_e32 v12, 31, v12
	v_lshrrev_b32_e32 v12, 26, v12
	v_add_u32_e32 v12, v11, v12
	v_and_b32_e32 v12, 0xffffffc0, v12
	v_sub_u32_e32 v12, v11, v12
	v_cmp_eq_u32_e64 s[2:3], v13, v12
	s_and_saveexec_b64 s[4:5], s[2:3]
	s_cbranch_execz .LBB16_8
; %bb.30:                               ;   in Loop: Header=BB16_10 Depth=1
	v_add_u32_sdwa v10, v8, v10 dst_sel:DWORD dst_unused:UNUSED_PAD src0_sel:DWORD src1_sel:BYTE_3
	v_lshlrev_b32_e32 v11, 2, v11
	v_ashrrev_i32_e32 v10, 8, v10
	v_sub_u32_e32 v8, v8, v11
	v_lshl_add_u32 v8, v10, 2, v8
	v_cmp_ne_u32_e64 s[2:3], 3, v8
	v_cndmask_b32_e64 v7, v24, v7, s[2:3]
	v_cmp_ne_u32_e64 s[2:3], 2, v8
	v_cndmask_b32_e64 v6, v24, v6, s[2:3]
	;; [unrolled: 2-line block ×4, first 2 shown]
	s_branch .LBB16_8
.LBB16_31:
                                        ; implicit-def: $vgpr4_vgpr5_vgpr6_vgpr7
	s_andn2_b64 vcc, exec, s[6:7]
	s_cbranch_vccz .LBB16_5
	s_branch .LBB16_6
.LBB16_32:
	v_mov_b32_e32 v21, 0
.LBB16_33:
	v_cmp_eq_u32_e64 s[0:1], 0, v13
	s_and_b64 s[0:1], s[0:1], vcc
	s_and_b64 exec, exec, s[0:1]
	s_cbranch_execz .LBB16_42
; %bb.34:
	s_andn2_b64 vcc, exec, s[20:21]
	s_cbranch_vccnz .LBB16_42
; %bb.35:
	v_cmp_lt_f32_e32 vcc, 0, v21
	s_mov_b32 s2, 0
	v_cndmask_b32_e32 v0, 1.0, v21, vcc
	v_mul_lo_u32 v4, v9, s8
	s_cmp_eq_u32 s8, 1
	s_mov_b64 s[0:1], -1
	s_cbranch_scc1 .LBB16_39
; %bb.36:
	s_and_b32 s2, s8, 0x7ffffffe
	v_mov_b32_e32 v1, v0
	v_mov_b32_e32 v5, s17
	s_mov_b32 s3, s2
	v_mov_b32_e32 v2, v4
.LBB16_37:                              ; =>This Inner Loop Header: Depth=1
	v_ashrrev_i32_e32 v3, 31, v2
	v_lshlrev_b64 v[6:7], 2, v[2:3]
	v_add_co_u32_e32 v6, vcc, s16, v6
	v_addc_co_u32_e32 v7, vcc, v5, v7, vcc
	global_load_dwordx2 v[8:9], v[6:7], off
	s_add_i32 s3, s3, -2
	s_cmp_lg_u32 s3, 0
	v_add_u32_e32 v2, 2, v2
	s_waitcnt vmcnt(0)
	v_div_scale_f32 v3, s[0:1], v1, v1, v9
	s_waitcnt lgkmcnt(0)
	v_div_scale_f32 v11, s[0:1], v0, v0, v8
	v_rcp_f32_e32 v12, v3
	v_rcp_f32_e32 v13, v11
	v_div_scale_f32 v10, vcc, v9, v1, v9
	v_fma_f32 v15, -v3, v12, 1.0
	v_fma_f32 v16, -v11, v13, 1.0
	v_fmac_f32_e32 v12, v15, v12
	v_div_scale_f32 v14, s[0:1], v8, v0, v8
	v_fmac_f32_e32 v13, v16, v13
	v_mul_f32_e32 v15, v10, v12
	v_mul_f32_e32 v16, v14, v13
	v_fma_f32 v17, -v3, v15, v10
	v_fma_f32 v18, -v11, v16, v14
	v_fmac_f32_e32 v15, v17, v12
	v_fmac_f32_e32 v16, v18, v13
	v_fma_f32 v3, -v3, v15, v10
	v_fma_f32 v10, -v11, v16, v14
	v_div_fmas_f32 v3, v3, v12, v15
	s_mov_b64 vcc, s[0:1]
	v_div_fixup_f32 v9, v3, v1, v9
	v_div_fmas_f32 v3, v10, v13, v16
	v_div_fixup_f32 v8, v3, v0, v8
	global_store_dwordx2 v[6:7], v[8:9], off
	s_cbranch_scc1 .LBB16_37
; %bb.38:
	s_cmp_lg_u32 s2, s8
	s_cselect_b64 s[0:1], -1, 0
.LBB16_39:
	s_and_b64 vcc, exec, s[0:1]
	s_cbranch_vccz .LBB16_42
; %bb.40:
	v_ashrrev_i32_e32 v1, 31, v4
	v_add_co_u32_e32 v2, vcc, s2, v4
	v_addc_co_u32_e32 v3, vcc, 0, v1, vcc
	v_lshlrev_b64 v[2:3], 2, v[2:3]
	v_mov_b32_e32 v1, s17
	v_add_co_u32_e32 v2, vcc, s16, v2
	s_sub_i32 s0, s8, s2
	v_addc_co_u32_e32 v3, vcc, v1, v3, vcc
.LBB16_41:                              ; =>This Inner Loop Header: Depth=1
	global_load_dword v1, v[2:3], off
	s_add_i32 s0, s0, -1
	s_cmp_lg_u32 s0, 0
	s_waitcnt vmcnt(0)
	v_div_scale_f32 v4, s[2:3], v0, v0, v1
	v_rcp_f32_e32 v5, v4
	v_div_scale_f32 v6, vcc, v1, v0, v1
	v_fma_f32 v7, -v4, v5, 1.0
	v_fmac_f32_e32 v5, v7, v5
	v_mul_f32_e32 v7, v6, v5
	v_fma_f32 v8, -v4, v7, v6
	v_fmac_f32_e32 v7, v8, v5
	v_fma_f32 v4, -v4, v7, v6
	v_div_fmas_f32 v4, v4, v5, v7
	v_div_fixup_f32 v1, v4, v0, v1
	global_store_dword v[2:3], v1, off
	v_add_co_u32_e32 v2, vcc, 4, v2
	v_addc_co_u32_e32 v3, vcc, 0, v3, vcc
	s_cbranch_scc1 .LBB16_41
.LBB16_42:
	s_endpgm
	.section	.rodata,"a",@progbits
	.p2align	6, 0x0
	.amdhsa_kernel _ZN4vllm3moe10topkGatingILi4ELi256ELi4ELi16ELi64EifLNS0_11ScoringFuncE0EEEvPKT5_PKbPfiPT4_PiiiibPKf
		.amdhsa_group_segment_fixed_size 0
		.amdhsa_private_segment_fixed_size 0
		.amdhsa_kernarg_size 72
		.amdhsa_user_sgpr_count 6
		.amdhsa_user_sgpr_private_segment_buffer 1
		.amdhsa_user_sgpr_dispatch_ptr 0
		.amdhsa_user_sgpr_queue_ptr 0
		.amdhsa_user_sgpr_kernarg_segment_ptr 1
		.amdhsa_user_sgpr_dispatch_id 0
		.amdhsa_user_sgpr_flat_scratch_init 0
		.amdhsa_user_sgpr_kernarg_preload_length 0
		.amdhsa_user_sgpr_kernarg_preload_offset 0
		.amdhsa_user_sgpr_private_segment_size 0
		.amdhsa_uses_dynamic_stack 0
		.amdhsa_system_sgpr_private_segment_wavefront_offset 0
		.amdhsa_system_sgpr_workgroup_id_x 1
		.amdhsa_system_sgpr_workgroup_id_y 0
		.amdhsa_system_sgpr_workgroup_id_z 0
		.amdhsa_system_sgpr_workgroup_info 0
		.amdhsa_system_vgpr_workitem_id 1
		.amdhsa_next_free_vgpr 30
		.amdhsa_next_free_sgpr 26
		.amdhsa_accum_offset 32
		.amdhsa_reserve_vcc 1
		.amdhsa_reserve_flat_scratch 0
		.amdhsa_float_round_mode_32 0
		.amdhsa_float_round_mode_16_64 0
		.amdhsa_float_denorm_mode_32 3
		.amdhsa_float_denorm_mode_16_64 3
		.amdhsa_dx10_clamp 1
		.amdhsa_ieee_mode 1
		.amdhsa_fp16_overflow 0
		.amdhsa_tg_split 0
		.amdhsa_exception_fp_ieee_invalid_op 0
		.amdhsa_exception_fp_denorm_src 0
		.amdhsa_exception_fp_ieee_div_zero 0
		.amdhsa_exception_fp_ieee_overflow 0
		.amdhsa_exception_fp_ieee_underflow 0
		.amdhsa_exception_fp_ieee_inexact 0
		.amdhsa_exception_int_div_zero 0
	.end_amdhsa_kernel
	.section	.text._ZN4vllm3moe10topkGatingILi4ELi256ELi4ELi16ELi64EifLNS0_11ScoringFuncE0EEEvPKT5_PKbPfiPT4_PiiiibPKf,"axG",@progbits,_ZN4vllm3moe10topkGatingILi4ELi256ELi4ELi16ELi64EifLNS0_11ScoringFuncE0EEEvPKT5_PKbPfiPT4_PiiiibPKf,comdat
.Lfunc_end16:
	.size	_ZN4vllm3moe10topkGatingILi4ELi256ELi4ELi16ELi64EifLNS0_11ScoringFuncE0EEEvPKT5_PKbPfiPT4_PiiiibPKf, .Lfunc_end16-_ZN4vllm3moe10topkGatingILi4ELi256ELi4ELi16ELi64EifLNS0_11ScoringFuncE0EEEvPKT5_PKbPfiPT4_PiiiibPKf
                                        ; -- End function
	.section	.AMDGPU.csdata,"",@progbits
; Kernel info:
; codeLenInByte = 2856
; NumSgprs: 30
; NumVgprs: 30
; NumAgprs: 0
; TotalNumVgprs: 30
; ScratchSize: 0
; MemoryBound: 0
; FloatMode: 240
; IeeeMode: 1
; LDSByteSize: 0 bytes/workgroup (compile time only)
; SGPRBlocks: 3
; VGPRBlocks: 3
; NumSGPRsForWavesPerEU: 30
; NumVGPRsForWavesPerEU: 30
; AccumOffset: 32
; Occupancy: 8
; WaveLimiterHint : 0
; COMPUTE_PGM_RSRC2:SCRATCH_EN: 0
; COMPUTE_PGM_RSRC2:USER_SGPR: 6
; COMPUTE_PGM_RSRC2:TRAP_HANDLER: 0
; COMPUTE_PGM_RSRC2:TGID_X_EN: 1
; COMPUTE_PGM_RSRC2:TGID_Y_EN: 0
; COMPUTE_PGM_RSRC2:TGID_Z_EN: 0
; COMPUTE_PGM_RSRC2:TIDIG_COMP_CNT: 1
; COMPUTE_PGM_RSRC3_GFX90A:ACCUM_OFFSET: 7
; COMPUTE_PGM_RSRC3_GFX90A:TG_SPLIT: 0
	.section	.text._ZN4vllm3moe10topkGatingILi8ELi256ELi4ELi16ELi32EifLNS0_11ScoringFuncE0EEEvPKT5_PKbPfiPT4_PiiiibPKf,"axG",@progbits,_ZN4vllm3moe10topkGatingILi8ELi256ELi4ELi16ELi32EifLNS0_11ScoringFuncE0EEEvPKT5_PKbPfiPT4_PiiiibPKf,comdat
	.protected	_ZN4vllm3moe10topkGatingILi8ELi256ELi4ELi16ELi32EifLNS0_11ScoringFuncE0EEEvPKT5_PKbPfiPT4_PiiiibPKf ; -- Begin function _ZN4vllm3moe10topkGatingILi8ELi256ELi4ELi16ELi32EifLNS0_11ScoringFuncE0EEEvPKT5_PKbPfiPT4_PiiiibPKf
	.globl	_ZN4vllm3moe10topkGatingILi8ELi256ELi4ELi16ELi32EifLNS0_11ScoringFuncE0EEEvPKT5_PKbPfiPT4_PiiiibPKf
	.p2align	8
	.type	_ZN4vllm3moe10topkGatingILi8ELi256ELi4ELi16ELi32EifLNS0_11ScoringFuncE0EEEvPKT5_PKbPfiPT4_PiiiibPKf,@function
_ZN4vllm3moe10topkGatingILi8ELi256ELi4ELi16ELi32EifLNS0_11ScoringFuncE0EEEvPKT5_PKbPfiPT4_PiiiibPKf: ; @_ZN4vllm3moe10topkGatingILi8ELi256ELi4ELi16ELi32EifLNS0_11ScoringFuncE0EEEvPKT5_PKbPfiPT4_PiiiibPKf
; %bb.0:
	s_load_dword s24, s[4:5], 0x18
	v_and_b32_e32 v1, 0x3ff, v0
	s_lshl_b32 s0, s6, 2
	v_lshrrev_b32_e32 v2, 5, v1
	v_bfe_u32 v0, v0, 10, 10
	v_add3_u32 v17, s0, v0, v2
	s_waitcnt lgkmcnt(0)
	v_cmp_gt_i32_e32 vcc, s24, v17
	s_and_saveexec_b64 s[0:1], vcc
	s_cbranch_execz .LBB17_38
; %bb.1:
	s_load_dwordx4 s[0:3], s[4:5], 0x0
	s_load_dwordx2 s[16:17], s[4:5], 0x10
	s_mov_b64 s[6:7], -1
	s_mov_b64 s[18:19], -1
	s_waitcnt lgkmcnt(0)
	s_cmp_eq_u64 s[2:3], 0
	s_cbranch_scc1 .LBB17_3
; %bb.2:
	v_ashrrev_i32_e32 v0, 31, v17
	v_mov_b32_e32 v3, s3
	v_add_co_u32_e32 v2, vcc, s2, v17
	v_addc_co_u32_e32 v3, vcc, v3, v0, vcc
	global_load_ubyte v0, v[2:3], off
	s_waitcnt vmcnt(0)
	v_and_b32_e32 v0, 1, v0
	v_cmp_eq_u32_e32 vcc, 1, v0
	s_xor_b64 s[2:3], vcc, -1
	s_orn2_b64 s[18:19], s[2:3], exec
.LBB17_3:
	v_lshlrev_b32_e32 v2, 8, v17
	v_ashrrev_i32_e32 v3, 31, v2
	v_lshlrev_b64 v[2:3], 2, v[2:3]
	v_mov_b32_e32 v0, s1
	v_add_co_u32_e32 v2, vcc, s0, v2
	v_and_b32_e32 v21, 31, v1
	v_addc_co_u32_e32 v0, vcc, v0, v3, vcc
	v_lshlrev_b32_e32 v1, 4, v21
	v_add_co_u32_e32 v8, vcc, v2, v1
	v_addc_co_u32_e32 v9, vcc, 0, v0, vcc
	global_load_dwordx4 v[0:3], v[8:9], off
	global_load_dwordx4 v[4:7], v[8:9], off offset:512
	v_mbcnt_lo_u32_b32 v8, -1, 0
	v_mbcnt_hi_u32_b32 v8, -1, v8
	v_and_b32_e32 v9, 0x60, v8
	v_xor_b32_e32 v10, 16, v8
	v_add_u32_e32 v9, 32, v9
	v_cmp_lt_i32_e32 vcc, v10, v9
	v_cndmask_b32_e32 v10, v8, v10, vcc
	v_lshlrev_b32_e32 v22, 2, v10
	v_xor_b32_e32 v13, 8, v8
	v_cmp_lt_i32_e32 vcc, v13, v9
	v_cndmask_b32_e32 v13, v8, v13, vcc
	v_lshlrev_b32_e32 v23, 2, v13
	v_xor_b32_e32 v13, 4, v8
	;; [unrolled: 4-line block ×4, first 2 shown]
	v_cmp_lt_i32_e32 vcc, v13, v9
	v_cndmask_b32_e32 v8, v8, v13, vcc
	v_lshlrev_b32_e32 v26, 2, v8
	s_mov_b32 s2, 0x3fb8aa3b
	s_mov_b32 s0, 0xc2ce8ed0
	;; [unrolled: 1-line block ×3, first 2 shown]
	v_mov_b32_e32 v12, 0x7f800000
	s_waitcnt vmcnt(1)
	v_max_f32_e32 v10, v1, v1
	v_max_f32_e32 v11, v0, v0
	;; [unrolled: 1-line block ×3, first 2 shown]
	v_max3_f32 v10, v10, v2, v3
	s_waitcnt vmcnt(0)
	v_max3_f32 v10, v10, v4, v5
	v_max3_f32 v10, v10, v6, v7
	ds_bpermute_b32 v11, v22, v10
	v_mov_b32_e32 v9, v6
	s_waitcnt lgkmcnt(0)
	v_max_f32_e32 v11, v11, v11
	v_max_f32_e32 v10, v10, v11
	ds_bpermute_b32 v11, v23, v10
	s_waitcnt lgkmcnt(0)
	v_max_f32_e32 v11, v11, v11
	v_max_f32_e32 v10, v10, v11
	ds_bpermute_b32 v11, v24, v10
	;; [unrolled: 4-line block ×4, first 2 shown]
	v_mov_b32_e32 v10, v3
	v_mov_b32_e32 v11, v4
	;; [unrolled: 1-line block ×3, first 2 shown]
	s_waitcnt lgkmcnt(0)
	v_max_f32_e32 v3, v14, v14
	v_max_f32_e32 v4, v13, v3
	v_sub_f32_e32 v3, v0, v4
	v_sub_f32_e32 v5, v1, v4
	;; [unrolled: 1-line block ×3, first 2 shown]
	v_mul_f32_e32 v7, 0x3fb8aa3b, v3
	v_sub_f32_e32 v2, v2, v4
	v_pk_add_f32 v[0:1], v[8:9], v[4:5] op_sel_hi:[1,0] neg_lo:[0,1] neg_hi:[0,1]
	v_mul_f32_e32 v8, 0x3fb8aa3b, v5
	v_fma_f32 v16, v3, s2, -v7
	v_rndne_f32_e32 v18, v7
	v_mul_f32_e32 v9, 0x3fb8aa3b, v2
	v_fma_f32 v19, v5, s2, -v8
	v_rndne_f32_e32 v20, v8
	v_fmac_f32_e32 v16, 0x32a5705f, v3
	v_sub_f32_e32 v7, v7, v18
	v_mul_f32_e32 v13, 0x3fb8aa3b, v1
	v_fma_f32 v27, v2, s2, -v9
	v_rndne_f32_e32 v28, v9
	v_fmac_f32_e32 v19, 0x32a5705f, v5
	v_sub_f32_e32 v8, v8, v20
	v_add_f32_e32 v7, v7, v16
	v_fma_f32 v29, v1, s2, -v13
	v_rndne_f32_e32 v30, v13
	v_cvt_i32_f32_e32 v18, v18
	v_fmac_f32_e32 v27, 0x32a5705f, v2
	v_sub_f32_e32 v9, v9, v28
	v_add_f32_e32 v8, v8, v19
	v_exp_f32_e32 v7, v7
	v_cvt_i32_f32_e32 v20, v20
	v_fmac_f32_e32 v29, 0x32a5705f, v1
	v_sub_f32_e32 v13, v13, v30
	v_add_f32_e32 v9, v9, v27
	v_exp_f32_e32 v8, v8
	v_cvt_i32_f32_e32 v28, v28
	v_add_f32_e32 v13, v13, v29
	v_exp_f32_e32 v9, v9
	v_cvt_i32_f32_e32 v30, v30
	v_exp_f32_e32 v13, v13
	v_ldexp_f32 v7, v7, v18
	v_cmp_ngt_f32_e32 vcc, s0, v3
	v_ldexp_f32 v8, v8, v20
	v_cndmask_b32_e32 v7, 0, v7, vcc
	v_cmp_ngt_f32_e32 vcc, s0, v5
	v_ldexp_f32 v9, v9, v28
	v_cndmask_b32_e32 v8, 0, v8, vcc
	;; [unrolled: 3-line block ×3, first 2 shown]
	v_cmp_ngt_f32_e32 vcc, s0, v1
	v_cndmask_b32_e32 v13, 0, v13, vcc
	v_cmp_nlt_f32_e32 vcc, s1, v3
	v_mul_f32_e32 v14, 0x3fb8aa3b, v0
	v_cndmask_b32_e32 v7, v12, v7, vcc
	v_cmp_nlt_f32_e32 vcc, s1, v5
	v_fma_f32 v31, v0, s2, -v14
	v_rndne_f32_e32 v32, v14
	v_cndmask_b32_e32 v5, v12, v8, vcc
	v_cmp_nlt_f32_e32 vcc, s1, v2
	v_mul_f32_e32 v15, 0x3fb8aa3b, v6
	v_fmac_f32_e32 v31, 0x32a5705f, v0
	v_sub_f32_e32 v14, v14, v32
	v_cndmask_b32_e32 v8, v12, v9, vcc
	v_add_f32_e32 v2, v7, v5
	v_fma_f32 v33, v6, s2, -v15
	v_add_f32_e32 v14, v14, v31
	v_add_f32_e32 v9, v2, v8
	v_rndne_f32_e32 v2, v15
	v_cvt_i32_f32_e32 v32, v32
	v_exp_f32_e32 v14, v14
	v_fmac_f32_e32 v33, 0x32a5705f, v6
	v_sub_f32_e32 v3, v15, v2
	v_add_f32_e32 v3, v3, v33
	v_exp_f32_e32 v3, v3
	v_cvt_i32_f32_e32 v2, v2
	v_cmp_nlt_f32_e32 vcc, s1, v1
	v_ldexp_f32 v14, v14, v32
	v_cndmask_b32_e32 v1, v12, v13, vcc
	v_cmp_ngt_f32_e32 vcc, s0, v0
	v_cndmask_b32_e32 v13, 0, v14, vcc
	v_cmp_nlt_f32_e32 vcc, s1, v0
	v_cndmask_b32_e32 v0, v12, v13, vcc
	v_ldexp_f32 v13, v3, v2
	v_pk_add_f32 v[2:3], v[10:11], v[4:5] op_sel_hi:[1,0] neg_lo:[0,1] neg_hi:[0,1]
	v_mul_f32_e32 v4, 0x3fb8aa3b, v3
	v_fma_f32 v10, v3, s2, -v4
	v_rndne_f32_e32 v11, v4
	v_fmac_f32_e32 v10, 0x32a5705f, v3
	v_sub_f32_e32 v4, v4, v11
	v_add_f32_e32 v4, v4, v10
	v_exp_f32_e32 v4, v4
	v_cvt_i32_f32_e32 v10, v11
	v_cmp_ngt_f32_e32 vcc, s0, v6
	v_cndmask_b32_e32 v11, 0, v13, vcc
	v_cmp_nlt_f32_e32 vcc, s1, v6
	v_mul_f32_e32 v6, 0x3fb8aa3b, v2
	v_ldexp_f32 v4, v4, v10
	v_fma_f32 v10, v2, s2, -v6
	v_rndne_f32_e32 v13, v6
	v_fmac_f32_e32 v10, 0x32a5705f, v2
	v_sub_f32_e32 v6, v6, v13
	v_add_f32_e32 v6, v6, v10
	v_exp_f32_e32 v6, v6
	v_cvt_i32_f32_e32 v10, v13
	v_cndmask_b32_e32 v11, v12, v11, vcc
	v_cmp_ngt_f32_e32 vcc, s0, v3
	v_cndmask_b32_e32 v4, 0, v4, vcc
	v_cmp_nlt_f32_e32 vcc, s1, v3
	v_cndmask_b32_e32 v3, v12, v4, vcc
	v_ldexp_f32 v4, v6, v10
	v_cmp_ngt_f32_e32 vcc, s0, v2
	v_cndmask_b32_e32 v4, 0, v4, vcc
	v_cmp_nlt_f32_e32 vcc, s1, v2
	v_cndmask_b32_e32 v2, v12, v4, vcc
	v_add_f32_e32 v4, v9, v2
	v_add_f32_e32 v4, v4, v3
	;; [unrolled: 1-line block ×5, first 2 shown]
	ds_bpermute_b32 v6, v22, v4
	s_movk_i32 s2, 0x1f8
	v_lshlrev_b32_e32 v27, 2, v21
	s_waitcnt lgkmcnt(0)
	v_add_f32_e32 v4, v4, v6
	ds_bpermute_b32 v6, v23, v4
	s_waitcnt lgkmcnt(0)
	v_add_f32_e32 v4, v4, v6
	ds_bpermute_b32 v6, v24, v4
	;; [unrolled: 3-line block ×4, first 2 shown]
	s_waitcnt lgkmcnt(0)
	v_add_f32_e32 v4, v4, v6
	v_div_scale_f32 v6, s[0:1], v4, v4, 1.0
	v_rcp_f32_e32 v9, v6
	s_load_dwordx2 s[0:1], s[4:5], 0x40
	v_fma_f32 v10, -v6, v9, 1.0
	v_fmac_f32_e32 v9, v10, v9
	v_div_scale_f32 v10, vcc, 1.0, v4, 1.0
	v_mul_f32_e32 v12, v10, v9
	v_fma_f32 v13, -v6, v12, v10
	v_fmac_f32_e32 v12, v13, v9
	v_fma_f32 v6, -v6, v12, v10
	v_div_fmas_f32 v6, v6, v9, v12
	v_div_fixup_f32 v4, v6, v4, 1.0
	v_mul_f32_e32 v10, v4, v7
	v_mul_f32_e32 v5, v4, v5
	v_cmp_class_f32_e64 vcc, v10, s2
	v_mul_f32_e32 v12, v4, v8
	v_pk_mul_f32 v[8:9], v[4:5], v[0:1] op_sel_hi:[0,1]
	v_cndmask_b32_e32 v0, 0, v10, vcc
	v_cmp_class_f32_e64 vcc, v5, s2
	v_pk_mul_f32 v[6:7], v[4:5], v[2:3] op_sel_hi:[0,1]
	v_cndmask_b32_e32 v1, 0, v5, vcc
	v_cmp_class_f32_e64 vcc, v12, s2
	v_mov_b32_e32 v5, 0x207
	v_cndmask_b32_e32 v2, 0, v12, vcc
	v_cmp_class_f32_e32 vcc, v7, v5
	v_mul_f32_e32 v11, v4, v11
	v_cndmask_b32_e64 v4, v7, 0, vcc
	v_cmp_class_f32_e32 vcc, v6, v5
	v_cndmask_b32_e64 v3, v6, 0, vcc
	v_cmp_class_f32_e32 vcc, v9, v5
	;; [unrolled: 2-line block ×3, first 2 shown]
	v_cndmask_b32_e64 v5, v8, 0, vcc
	v_cmp_class_f32_e64 vcc, v11, s2
	s_waitcnt lgkmcnt(0)
	s_cmp_eq_u64 s[0:1], 0
	v_cndmask_b32_e32 v7, 0, v11, vcc
	s_cbranch_scc1 .LBB17_27
; %bb.4:
	v_lshlrev_b32_e32 v16, 2, v27
	global_load_dwordx4 v[8:11], v16, s[0:1]
	global_load_dwordx4 v[12:15], v16, s[0:1] offset:512
	s_waitcnt vmcnt(1)
	v_pk_add_f32 v[8:9], v[8:9], v[0:1]
	v_pk_add_f32 v[10:11], v[10:11], v[2:3]
	s_waitcnt vmcnt(0)
	v_pk_add_f32 v[12:13], v[12:13], v[4:5]
	v_pk_add_f32 v[14:15], v[14:15], v[6:7]
	s_cbranch_execnz .LBB17_6
.LBB17_5:
	v_pk_mov_b32 v[14:15], v[6:7], v[6:7] op_sel:[0,1]
	v_pk_mov_b32 v[12:13], v[4:5], v[4:5] op_sel:[0,1]
	;; [unrolled: 1-line block ×4, first 2 shown]
.LBB17_6:
	s_load_dwordx4 s[8:11], s[4:5], 0x30
	s_mov_b32 s25, 0
	v_cmp_eq_u32_e64 s[0:1], 0, v21
	s_waitcnt lgkmcnt(0)
	s_bitcmp1_b32 s11, 0
	s_cselect_b64 vcc, -1, 0
	s_cmp_gt_i32 s8, 0
	s_cselect_b64 s[20:21], -1, 0
	s_cmp_lt_i32 s8, 1
	s_cbranch_scc1 .LBB17_28
; %bb.7:
	s_load_dwordx4 s[12:15], s[4:5], 0x20
	v_mul_lo_u32 v29, v17, s8
	v_mov_b32_e32 v28, 0
	v_mov_b32_e32 v30, 0x80
	;; [unrolled: 1-line block ×8, first 2 shown]
	s_branch .LBB17_10
.LBB17_8:                               ;   in Loop: Header=BB17_10 Depth=1
	s_or_b64 exec, exec, s[4:5]
.LBB17_9:                               ;   in Loop: Header=BB17_10 Depth=1
	s_cmp_eq_u32 s8, s25
	v_add_u32_e32 v36, s24, v36
	s_cbranch_scc1 .LBB17_29
.LBB17_10:                              ; =>This Inner Loop Header: Depth=1
	v_cmp_gt_f32_e64 s[2:3], v9, v8
	v_cndmask_b32_e64 v16, v8, v9, s[2:3]
	v_cndmask_b32_e64 v18, v0, v1, s[2:3]
	s_waitcnt lgkmcnt(0)
	v_cndmask_b32_e64 v19, 0, 1, s[2:3]
	v_cmp_gt_f32_e64 s[2:3], v10, v16
	v_cndmask_b32_e64 v16, v16, v10, s[2:3]
	v_cndmask_b32_e64 v18, v18, v2, s[2:3]
	v_cndmask_b32_e64 v19, v19, 2, s[2:3]
	v_cmp_gt_f32_e64 s[2:3], v11, v16
	v_cndmask_b32_e64 v16, v16, v11, s[2:3]
	v_cndmask_b32_e64 v18, v18, v3, s[2:3]
	;; [unrolled: 4-line block ×6, first 2 shown]
	v_or_b32_e32 v19, v27, v19
	ds_bpermute_b32 v20, v22, v16
	ds_bpermute_b32 v37, v22, v19
	v_cndmask_b32_e64 v18, v18, v7, s[2:3]
	ds_bpermute_b32 v39, v22, v18
	s_waitcnt lgkmcnt(0)
	v_cmp_eq_f32_e64 s[4:5], v16, v20
	v_cmp_lt_i32_e64 s[6:7], v37, v19
	v_cmp_lt_f32_e64 s[2:3], v16, v20
	s_and_b64 s[4:5], s[4:5], s[6:7]
	s_or_b64 s[2:3], s[2:3], s[4:5]
	v_cndmask_b32_e64 v38, v19, v37, s[2:3]
	v_cndmask_b32_e64 v37, v16, v20, s[2:3]
	;; [unrolled: 1-line block ×3, first 2 shown]
	ds_bpermute_b32 v40, v23, v37
	ds_bpermute_b32 v20, v23, v16
	;; [unrolled: 1-line block ×3, first 2 shown]
                                        ; implicit-def: $vgpr18_vgpr19
	s_waitcnt lgkmcnt(2)
	v_cmp_lt_f32_e64 s[6:7], v37, v40
	v_cmp_nlt_f32_e64 s[2:3], v37, v40
	s_and_saveexec_b64 s[22:23], s[2:3]
	s_cbranch_execz .LBB17_12
; %bb.11:                               ;   in Loop: Header=BB17_10 Depth=1
	v_cmp_eq_f32_e64 s[2:3], v37, v40
	s_waitcnt lgkmcnt(0)
	v_cmp_lt_i32_e64 s[4:5], v39, v38
	s_and_b64 s[2:3], s[2:3], s[4:5]
	s_andn2_b64 s[4:5], s[6:7], exec
	s_and_b64 s[2:3], s[2:3], exec
	s_or_b64 s[6:7], s[4:5], s[2:3]
	v_pk_mov_b32 v[18:19], v[16:17], v[16:17] op_sel:[0,1]
.LBB17_12:                              ;   in Loop: Header=BB17_10 Depth=1
	s_or_b64 exec, exec, s[22:23]
	s_and_saveexec_b64 s[2:3], s[6:7]
	s_cbranch_execz .LBB17_14
; %bb.13:                               ;   in Loop: Header=BB17_10 Depth=1
	v_mov_b32_e32 v37, v40
	s_waitcnt lgkmcnt(1)
	v_mov_b32_e32 v16, v20
	s_waitcnt lgkmcnt(0)
	v_mov_b32_e32 v38, v39
	v_pk_mov_b32 v[18:19], v[20:21], v[20:21] op_sel:[0,1]
.LBB17_14:                              ;   in Loop: Header=BB17_10 Depth=1
	s_or_b64 exec, exec, s[2:3]
	s_waitcnt lgkmcnt(0)
	ds_bpermute_b32 v39, v24, v37
	ds_bpermute_b32 v20, v24, v16
	ds_bpermute_b32 v19, v24, v38
	s_waitcnt lgkmcnt(2)
	v_cmp_lt_f32_e64 s[6:7], v37, v39
	v_cmp_nlt_f32_e64 s[2:3], v37, v39
	s_and_saveexec_b64 s[22:23], s[2:3]
	s_cbranch_execz .LBB17_16
; %bb.15:                               ;   in Loop: Header=BB17_10 Depth=1
	v_cmp_eq_f32_e64 s[2:3], v37, v39
	s_waitcnt lgkmcnt(0)
	v_cmp_lt_i32_e64 s[4:5], v19, v38
	s_and_b64 s[2:3], s[2:3], s[4:5]
	s_andn2_b64 s[4:5], s[6:7], exec
	s_and_b64 s[2:3], s[2:3], exec
	s_or_b64 s[6:7], s[4:5], s[2:3]
.LBB17_16:                              ;   in Loop: Header=BB17_10 Depth=1
	s_or_b64 exec, exec, s[22:23]
	s_and_saveexec_b64 s[2:3], s[6:7]
	s_cbranch_execz .LBB17_18
; %bb.17:                               ;   in Loop: Header=BB17_10 Depth=1
	v_mov_b32_e32 v37, v39
	s_waitcnt lgkmcnt(1)
	v_mov_b32_e32 v16, v20
	s_waitcnt lgkmcnt(0)
	v_mov_b32_e32 v38, v19
	v_pk_mov_b32 v[18:19], v[20:21], v[20:21] op_sel:[0,1]
.LBB17_18:                              ;   in Loop: Header=BB17_10 Depth=1
	s_or_b64 exec, exec, s[2:3]
	ds_bpermute_b32 v39, v25, v37
	s_waitcnt lgkmcnt(2)
	ds_bpermute_b32 v20, v25, v16
	s_waitcnt lgkmcnt(2)
	ds_bpermute_b32 v19, v25, v38
	s_waitcnt lgkmcnt(2)
	v_cmp_lt_f32_e64 s[6:7], v37, v39
	v_cmp_nlt_f32_e64 s[2:3], v37, v39
	s_and_saveexec_b64 s[22:23], s[2:3]
	s_cbranch_execz .LBB17_20
; %bb.19:                               ;   in Loop: Header=BB17_10 Depth=1
	v_cmp_eq_f32_e64 s[2:3], v37, v39
	s_waitcnt lgkmcnt(0)
	v_cmp_lt_i32_e64 s[4:5], v19, v38
	s_and_b64 s[2:3], s[2:3], s[4:5]
	s_andn2_b64 s[4:5], s[6:7], exec
	s_and_b64 s[2:3], s[2:3], exec
	s_or_b64 s[6:7], s[4:5], s[2:3]
.LBB17_20:                              ;   in Loop: Header=BB17_10 Depth=1
	s_or_b64 exec, exec, s[22:23]
	s_and_saveexec_b64 s[2:3], s[6:7]
	s_cbranch_execz .LBB17_22
; %bb.21:                               ;   in Loop: Header=BB17_10 Depth=1
	v_mov_b32_e32 v37, v39
	s_waitcnt lgkmcnt(1)
	v_mov_b32_e32 v16, v20
	s_waitcnt lgkmcnt(0)
	v_mov_b32_e32 v38, v19
	v_pk_mov_b32 v[18:19], v[20:21], v[20:21] op_sel:[0,1]
.LBB17_22:                              ;   in Loop: Header=BB17_10 Depth=1
	s_or_b64 exec, exec, s[2:3]
	s_waitcnt lgkmcnt(1)
	ds_bpermute_b32 v20, v26, v37
	ds_bpermute_b32 v39, v26, v38
	s_waitcnt lgkmcnt(2)
	ds_bpermute_b32 v19, v26, v16
	s_waitcnt lgkmcnt(2)
	v_cmp_eq_f32_e64 s[4:5], v37, v20
	s_waitcnt lgkmcnt(1)
	v_cmp_lt_i32_e64 s[6:7], v39, v38
	v_cmp_lt_f32_e64 s[2:3], v37, v20
	s_and_b64 s[4:5], s[4:5], s[6:7]
	s_or_b64 s[2:3], s[2:3], s[4:5]
	v_cndmask_b32_e64 v16, v38, v39, s[2:3]
	s_and_saveexec_b64 s[6:7], s[0:1]
	s_cbranch_execnz .LBB17_24
; %bb.23:                               ;   in Loop: Header=BB17_10 Depth=1
	s_or_b64 exec, exec, s[6:7]
	s_add_i32 s25, s25, 1
	s_cmp_ge_i32 s25, s8
	s_cbranch_scc1 .LBB17_9
	s_branch .LBB17_25
.LBB17_24:                              ;   in Loop: Header=BB17_10 Depth=1
	s_waitcnt lgkmcnt(0)
	v_cndmask_b32_e64 v20, v18, v19, s[2:3]
	v_add_u32_e32 v18, s25, v29
	v_ashrrev_i32_e32 v19, 31, v18
	v_cmp_le_i32_e64 s[2:3], s9, v16
	v_cmp_gt_i32_e64 s[4:5], s10, v16
	v_lshlrev_b64 v[18:19], 2, v[18:19]
	s_and_b64 s[4:5], s[2:3], s[4:5]
	v_mov_b32_e32 v37, s17
	v_add_co_u32_e64 v38, s[2:3], s16, v18
	v_addc_co_u32_e64 v39, s[2:3], v37, v19, s[2:3]
	v_subrev_u32_e32 v37, s9, v16
	s_and_b64 s[2:3], s[18:19], s[4:5]
	global_store_dword v[38:39], v20, off
	v_cndmask_b32_e64 v37, v34, v37, s[2:3]
	v_mov_b32_e32 v39, s13
	v_add_co_u32_e64 v38, s[2:3], s12, v18
	v_addc_co_u32_e64 v39, s[2:3], v39, v19, s[2:3]
	global_store_dword v[38:39], v37, off
	v_mov_b32_e32 v37, s15
	v_add_co_u32_e64 v18, s[2:3], s14, v18
	v_addc_co_u32_e64 v19, s[2:3], v37, v19, s[2:3]
	global_store_dword v[18:19], v36, off
	v_add_f32_e32 v18, v28, v20
	v_cndmask_b32_e32 v28, v28, v18, vcc
	s_or_b64 exec, exec, s[6:7]
	s_add_i32 s25, s25, 1
	s_cmp_ge_i32 s25, s8
	s_cbranch_scc1 .LBB17_9
.LBB17_25:                              ;   in Loop: Header=BB17_10 Depth=1
	s_waitcnt lgkmcnt(0)
	v_ashrrev_i32_e32 v19, 31, v16
	v_lshrrev_b32_e32 v18, 30, v19
	v_add_u32_e32 v20, v16, v18
	v_ashrrev_i32_e32 v18, 2, v20
	v_ashrrev_i32_e32 v20, 31, v20
	v_lshrrev_b32_e32 v20, 27, v20
	v_add_u32_e32 v20, v18, v20
	v_and_b32_e32 v20, 0xffffffe0, v20
	v_sub_u32_e32 v20, v18, v20
	v_cmp_eq_u32_e64 s[2:3], v21, v20
	s_and_saveexec_b64 s[4:5], s[2:3]
	s_cbranch_execz .LBB17_8
; %bb.26:                               ;   in Loop: Header=BB17_10 Depth=1
	v_lshrrev_b32_e32 v19, 25, v19
	v_add_u32_e32 v19, v16, v19
	v_lshlrev_b32_e32 v18, 2, v18
	v_ashrrev_i32_e32 v19, 7, v19
	v_sub_u32_e32 v16, v16, v18
	v_lshl_add_u32 v16, v19, 2, v16
	v_cmp_ne_u32_e64 s[2:3], 7, v16
	v_cndmask_b32_e64 v15, v35, v15, s[2:3]
	v_cmp_ne_u32_e64 s[2:3], 6, v16
	v_cndmask_b32_e64 v14, v35, v14, s[2:3]
	;; [unrolled: 2-line block ×8, first 2 shown]
	s_branch .LBB17_8
.LBB17_27:
                                        ; implicit-def: $vgpr8_vgpr9_vgpr10_vgpr11_vgpr12_vgpr13_vgpr14_vgpr15
	s_andn2_b64 vcc, exec, s[6:7]
	s_cbranch_vccz .LBB17_5
	s_branch .LBB17_6
.LBB17_28:
	v_mov_b32_e32 v28, 0
.LBB17_29:
	v_cmp_eq_u32_e64 s[0:1], 0, v21
	s_and_b64 s[0:1], s[0:1], vcc
	s_and_b64 exec, exec, s[0:1]
	s_cbranch_execz .LBB17_38
; %bb.30:
	s_andn2_b64 vcc, exec, s[20:21]
	s_cbranch_vccnz .LBB17_38
; %bb.31:
	v_cmp_lt_f32_e32 vcc, 0, v28
	s_mov_b32 s2, 0
	v_cndmask_b32_e32 v0, 1.0, v28, vcc
	v_mul_lo_u32 v4, v17, s8
	s_cmp_eq_u32 s8, 1
	s_mov_b64 s[0:1], -1
	s_cbranch_scc1 .LBB17_35
; %bb.32:
	s_and_b32 s2, s8, 0x7ffffffe
	v_mov_b32_e32 v1, v0
	v_mov_b32_e32 v5, s17
	s_mov_b32 s3, s2
	v_mov_b32_e32 v2, v4
.LBB17_33:                              ; =>This Inner Loop Header: Depth=1
	v_ashrrev_i32_e32 v3, 31, v2
	v_lshlrev_b64 v[6:7], 2, v[2:3]
	v_add_co_u32_e32 v6, vcc, s16, v6
	v_addc_co_u32_e32 v7, vcc, v5, v7, vcc
	global_load_dwordx2 v[8:9], v[6:7], off
	s_add_i32 s3, s3, -2
	s_cmp_lg_u32 s3, 0
	v_add_u32_e32 v2, 2, v2
	s_waitcnt vmcnt(0)
	v_div_scale_f32 v3, s[0:1], v1, v1, v9
	v_div_scale_f32 v11, s[0:1], v0, v0, v8
	v_rcp_f32_e32 v12, v3
	v_rcp_f32_e32 v13, v11
	v_div_scale_f32 v10, vcc, v9, v1, v9
	v_fma_f32 v15, -v3, v12, 1.0
	v_fma_f32 v16, -v11, v13, 1.0
	v_fmac_f32_e32 v12, v15, v12
	v_div_scale_f32 v14, s[0:1], v8, v0, v8
	v_fmac_f32_e32 v13, v16, v13
	v_mul_f32_e32 v15, v10, v12
	v_mul_f32_e32 v16, v14, v13
	v_fma_f32 v17, -v3, v15, v10
	v_fma_f32 v18, -v11, v16, v14
	v_fmac_f32_e32 v15, v17, v12
	v_fmac_f32_e32 v16, v18, v13
	v_fma_f32 v3, -v3, v15, v10
	v_fma_f32 v10, -v11, v16, v14
	v_div_fmas_f32 v3, v3, v12, v15
	s_mov_b64 vcc, s[0:1]
	v_div_fixup_f32 v9, v3, v1, v9
	v_div_fmas_f32 v3, v10, v13, v16
	v_div_fixup_f32 v8, v3, v0, v8
	global_store_dwordx2 v[6:7], v[8:9], off
	s_cbranch_scc1 .LBB17_33
; %bb.34:
	s_cmp_lg_u32 s2, s8
	s_cselect_b64 s[0:1], -1, 0
.LBB17_35:
	s_and_b64 vcc, exec, s[0:1]
	s_cbranch_vccz .LBB17_38
; %bb.36:
	v_ashrrev_i32_e32 v1, 31, v4
	v_add_co_u32_e32 v2, vcc, s2, v4
	v_addc_co_u32_e32 v3, vcc, 0, v1, vcc
	v_lshlrev_b64 v[2:3], 2, v[2:3]
	v_mov_b32_e32 v1, s17
	v_add_co_u32_e32 v2, vcc, s16, v2
	s_sub_i32 s0, s8, s2
	v_addc_co_u32_e32 v3, vcc, v1, v3, vcc
.LBB17_37:                              ; =>This Inner Loop Header: Depth=1
	global_load_dword v1, v[2:3], off
	s_add_i32 s0, s0, -1
	s_cmp_lg_u32 s0, 0
	s_waitcnt vmcnt(0)
	v_div_scale_f32 v4, s[2:3], v0, v0, v1
	v_rcp_f32_e32 v5, v4
	v_div_scale_f32 v6, vcc, v1, v0, v1
	v_fma_f32 v7, -v4, v5, 1.0
	v_fmac_f32_e32 v5, v7, v5
	v_mul_f32_e32 v7, v6, v5
	v_fma_f32 v8, -v4, v7, v6
	v_fmac_f32_e32 v7, v8, v5
	v_fma_f32 v4, -v4, v7, v6
	v_div_fmas_f32 v4, v4, v5, v7
	v_div_fixup_f32 v1, v4, v0, v1
	global_store_dword v[2:3], v1, off
	v_add_co_u32_e32 v2, vcc, 4, v2
	v_addc_co_u32_e32 v3, vcc, 0, v3, vcc
	s_cbranch_scc1 .LBB17_37
.LBB17_38:
	s_endpgm
	.section	.rodata,"a",@progbits
	.p2align	6, 0x0
	.amdhsa_kernel _ZN4vllm3moe10topkGatingILi8ELi256ELi4ELi16ELi32EifLNS0_11ScoringFuncE0EEEvPKT5_PKbPfiPT4_PiiiibPKf
		.amdhsa_group_segment_fixed_size 0
		.amdhsa_private_segment_fixed_size 0
		.amdhsa_kernarg_size 72
		.amdhsa_user_sgpr_count 6
		.amdhsa_user_sgpr_private_segment_buffer 1
		.amdhsa_user_sgpr_dispatch_ptr 0
		.amdhsa_user_sgpr_queue_ptr 0
		.amdhsa_user_sgpr_kernarg_segment_ptr 1
		.amdhsa_user_sgpr_dispatch_id 0
		.amdhsa_user_sgpr_flat_scratch_init 0
		.amdhsa_user_sgpr_kernarg_preload_length 0
		.amdhsa_user_sgpr_kernarg_preload_offset 0
		.amdhsa_user_sgpr_private_segment_size 0
		.amdhsa_uses_dynamic_stack 0
		.amdhsa_system_sgpr_private_segment_wavefront_offset 0
		.amdhsa_system_sgpr_workgroup_id_x 1
		.amdhsa_system_sgpr_workgroup_id_y 0
		.amdhsa_system_sgpr_workgroup_id_z 0
		.amdhsa_system_sgpr_workgroup_info 0
		.amdhsa_system_vgpr_workitem_id 1
		.amdhsa_next_free_vgpr 41
		.amdhsa_next_free_sgpr 26
		.amdhsa_accum_offset 44
		.amdhsa_reserve_vcc 1
		.amdhsa_reserve_flat_scratch 0
		.amdhsa_float_round_mode_32 0
		.amdhsa_float_round_mode_16_64 0
		.amdhsa_float_denorm_mode_32 3
		.amdhsa_float_denorm_mode_16_64 3
		.amdhsa_dx10_clamp 1
		.amdhsa_ieee_mode 1
		.amdhsa_fp16_overflow 0
		.amdhsa_tg_split 0
		.amdhsa_exception_fp_ieee_invalid_op 0
		.amdhsa_exception_fp_denorm_src 0
		.amdhsa_exception_fp_ieee_div_zero 0
		.amdhsa_exception_fp_ieee_overflow 0
		.amdhsa_exception_fp_ieee_underflow 0
		.amdhsa_exception_fp_ieee_inexact 0
		.amdhsa_exception_int_div_zero 0
	.end_amdhsa_kernel
	.section	.text._ZN4vllm3moe10topkGatingILi8ELi256ELi4ELi16ELi32EifLNS0_11ScoringFuncE0EEEvPKT5_PKbPfiPT4_PiiiibPKf,"axG",@progbits,_ZN4vllm3moe10topkGatingILi8ELi256ELi4ELi16ELi32EifLNS0_11ScoringFuncE0EEEvPKT5_PKbPfiPT4_PiiiibPKf,comdat
.Lfunc_end17:
	.size	_ZN4vllm3moe10topkGatingILi8ELi256ELi4ELi16ELi32EifLNS0_11ScoringFuncE0EEEvPKT5_PKbPfiPT4_PiiiibPKf, .Lfunc_end17-_ZN4vllm3moe10topkGatingILi8ELi256ELi4ELi16ELi32EifLNS0_11ScoringFuncE0EEEvPKT5_PKbPfiPT4_PiiiibPKf
                                        ; -- End function
	.section	.AMDGPU.csdata,"",@progbits
; Kernel info:
; codeLenInByte = 3356
; NumSgprs: 30
; NumVgprs: 41
; NumAgprs: 0
; TotalNumVgprs: 41
; ScratchSize: 0
; MemoryBound: 0
; FloatMode: 240
; IeeeMode: 1
; LDSByteSize: 0 bytes/workgroup (compile time only)
; SGPRBlocks: 3
; VGPRBlocks: 5
; NumSGPRsForWavesPerEU: 30
; NumVGPRsForWavesPerEU: 41
; AccumOffset: 44
; Occupancy: 8
; WaveLimiterHint : 1
; COMPUTE_PGM_RSRC2:SCRATCH_EN: 0
; COMPUTE_PGM_RSRC2:USER_SGPR: 6
; COMPUTE_PGM_RSRC2:TRAP_HANDLER: 0
; COMPUTE_PGM_RSRC2:TGID_X_EN: 1
; COMPUTE_PGM_RSRC2:TGID_Y_EN: 0
; COMPUTE_PGM_RSRC2:TGID_Z_EN: 0
; COMPUTE_PGM_RSRC2:TIDIG_COMP_CNT: 1
; COMPUTE_PGM_RSRC3_GFX90A:ACCUM_OFFSET: 10
; COMPUTE_PGM_RSRC3_GFX90A:TG_SPLIT: 0
	.section	.text._ZN4vllm3moe10topkGatingILi8ELi512ELi4ELi16ELi64EifLNS0_11ScoringFuncE0EEEvPKT5_PKbPfiPT4_PiiiibPKf,"axG",@progbits,_ZN4vllm3moe10topkGatingILi8ELi512ELi4ELi16ELi64EifLNS0_11ScoringFuncE0EEEvPKT5_PKbPfiPT4_PiiiibPKf,comdat
	.protected	_ZN4vllm3moe10topkGatingILi8ELi512ELi4ELi16ELi64EifLNS0_11ScoringFuncE0EEEvPKT5_PKbPfiPT4_PiiiibPKf ; -- Begin function _ZN4vllm3moe10topkGatingILi8ELi512ELi4ELi16ELi64EifLNS0_11ScoringFuncE0EEEvPKT5_PKbPfiPT4_PiiiibPKf
	.globl	_ZN4vllm3moe10topkGatingILi8ELi512ELi4ELi16ELi64EifLNS0_11ScoringFuncE0EEEvPKT5_PKbPfiPT4_PiiiibPKf
	.p2align	8
	.type	_ZN4vllm3moe10topkGatingILi8ELi512ELi4ELi16ELi64EifLNS0_11ScoringFuncE0EEEvPKT5_PKbPfiPT4_PiiiibPKf,@function
_ZN4vllm3moe10topkGatingILi8ELi512ELi4ELi16ELi64EifLNS0_11ScoringFuncE0EEEvPKT5_PKbPfiPT4_PiiiibPKf: ; @_ZN4vllm3moe10topkGatingILi8ELi512ELi4ELi16ELi64EifLNS0_11ScoringFuncE0EEEvPKT5_PKbPfiPT4_PiiiibPKf
; %bb.0:
	s_load_dword s24, s[4:5], 0x18
	v_and_b32_e32 v1, 0x3ff, v0
	s_lshl_b32 s0, s6, 2
	v_lshrrev_b32_e32 v2, 6, v1
	v_bfe_u32 v0, v0, 10, 10
	v_add3_u32 v17, s0, v0, v2
	s_waitcnt lgkmcnt(0)
	v_cmp_gt_i32_e32 vcc, s24, v17
	s_and_saveexec_b64 s[0:1], vcc
	s_cbranch_execz .LBB18_42
; %bb.1:
	s_load_dwordx4 s[0:3], s[4:5], 0x0
	s_load_dwordx2 s[16:17], s[4:5], 0x10
	s_mov_b64 s[6:7], -1
	s_mov_b64 s[18:19], -1
	s_waitcnt lgkmcnt(0)
	s_cmp_eq_u64 s[2:3], 0
	s_cbranch_scc1 .LBB18_3
; %bb.2:
	v_ashrrev_i32_e32 v0, 31, v17
	v_mov_b32_e32 v3, s3
	v_add_co_u32_e32 v2, vcc, s2, v17
	v_addc_co_u32_e32 v3, vcc, v3, v0, vcc
	global_load_ubyte v0, v[2:3], off
	s_waitcnt vmcnt(0)
	v_and_b32_e32 v0, 1, v0
	v_cmp_eq_u32_e32 vcc, 1, v0
	s_xor_b64 s[2:3], vcc, -1
	s_orn2_b64 s[18:19], s[2:3], exec
.LBB18_3:
	v_lshlrev_b32_e32 v2, 9, v17
	v_ashrrev_i32_e32 v3, 31, v2
	v_lshlrev_b64 v[2:3], 2, v[2:3]
	v_mov_b32_e32 v0, s1
	v_add_co_u32_e32 v2, vcc, s0, v2
	v_and_b32_e32 v21, 63, v1
	v_addc_co_u32_e32 v0, vcc, v0, v3, vcc
	v_lshlrev_b32_e32 v1, 4, v21
	v_add_co_u32_e32 v8, vcc, v2, v1
	v_addc_co_u32_e32 v9, vcc, 0, v0, vcc
	global_load_dwordx4 v[0:3], v[8:9], off
	global_load_dwordx4 v[4:7], v[8:9], off offset:1024
	v_mbcnt_lo_u32_b32 v8, -1, 0
	v_mbcnt_hi_u32_b32 v8, -1, v8
	v_and_b32_e32 v9, 64, v8
	v_xor_b32_e32 v10, 32, v8
	v_add_u32_e32 v9, 64, v9
	v_cmp_lt_i32_e32 vcc, v10, v9
	v_cndmask_b32_e32 v10, v8, v10, vcc
	v_lshlrev_b32_e32 v22, 2, v10
	v_xor_b32_e32 v13, 16, v8
	v_cmp_lt_i32_e32 vcc, v13, v9
	v_cndmask_b32_e32 v13, v8, v13, vcc
	v_lshlrev_b32_e32 v23, 2, v13
	v_xor_b32_e32 v13, 8, v8
	;; [unrolled: 4-line block ×5, first 2 shown]
	v_cmp_lt_i32_e32 vcc, v13, v9
	v_cndmask_b32_e32 v8, v8, v13, vcc
	v_lshlrev_b32_e32 v27, 2, v8
	s_mov_b32 s2, 0x3fb8aa3b
	s_mov_b32 s0, 0xc2ce8ed0
	;; [unrolled: 1-line block ×3, first 2 shown]
	v_mov_b32_e32 v12, 0x7f800000
	s_waitcnt vmcnt(1)
	v_max_f32_e32 v10, v1, v1
	v_max_f32_e32 v11, v0, v0
	v_max_f32_e32 v10, v11, v10
	v_max3_f32 v10, v10, v2, v3
	s_waitcnt vmcnt(0)
	v_max3_f32 v10, v10, v4, v5
	v_max3_f32 v10, v10, v6, v7
	ds_bpermute_b32 v11, v22, v10
	v_mov_b32_e32 v9, v6
	s_waitcnt lgkmcnt(0)
	v_max_f32_e32 v11, v11, v11
	v_max_f32_e32 v10, v10, v11
	ds_bpermute_b32 v11, v23, v10
	s_waitcnt lgkmcnt(0)
	v_max_f32_e32 v11, v11, v11
	v_max_f32_e32 v10, v10, v11
	ds_bpermute_b32 v11, v24, v10
	s_waitcnt lgkmcnt(0)
	v_max_f32_e32 v11, v11, v11
	v_max_f32_e32 v10, v10, v11
	ds_bpermute_b32 v11, v25, v10
	s_waitcnt lgkmcnt(0)
	v_max_f32_e32 v11, v11, v11
	v_max_f32_e32 v10, v10, v11
	ds_bpermute_b32 v11, v26, v10
	s_waitcnt lgkmcnt(0)
	v_max_f32_e32 v8, v11, v11
	v_max_f32_e32 v13, v10, v8
	ds_bpermute_b32 v14, v27, v13
	v_mov_b32_e32 v10, v3
	v_mov_b32_e32 v11, v4
	;; [unrolled: 1-line block ×3, first 2 shown]
	s_waitcnt lgkmcnt(0)
	v_max_f32_e32 v3, v14, v14
	v_max_f32_e32 v4, v13, v3
	v_sub_f32_e32 v3, v0, v4
	v_sub_f32_e32 v5, v1, v4
	;; [unrolled: 1-line block ×3, first 2 shown]
	v_mul_f32_e32 v7, 0x3fb8aa3b, v3
	v_sub_f32_e32 v2, v2, v4
	v_pk_add_f32 v[0:1], v[8:9], v[4:5] op_sel_hi:[1,0] neg_lo:[0,1] neg_hi:[0,1]
	v_mul_f32_e32 v8, 0x3fb8aa3b, v5
	v_fma_f32 v16, v3, s2, -v7
	v_rndne_f32_e32 v18, v7
	v_mul_f32_e32 v9, 0x3fb8aa3b, v2
	v_fma_f32 v19, v5, s2, -v8
	v_rndne_f32_e32 v20, v8
	v_fmac_f32_e32 v16, 0x32a5705f, v3
	v_sub_f32_e32 v7, v7, v18
	v_mul_f32_e32 v13, 0x3fb8aa3b, v1
	v_fma_f32 v28, v2, s2, -v9
	v_rndne_f32_e32 v29, v9
	v_fmac_f32_e32 v19, 0x32a5705f, v5
	v_sub_f32_e32 v8, v8, v20
	v_add_f32_e32 v7, v7, v16
	v_fma_f32 v30, v1, s2, -v13
	v_rndne_f32_e32 v31, v13
	v_cvt_i32_f32_e32 v18, v18
	v_fmac_f32_e32 v28, 0x32a5705f, v2
	v_sub_f32_e32 v9, v9, v29
	v_add_f32_e32 v8, v8, v19
	v_exp_f32_e32 v7, v7
	v_cvt_i32_f32_e32 v20, v20
	v_fmac_f32_e32 v30, 0x32a5705f, v1
	v_sub_f32_e32 v13, v13, v31
	v_add_f32_e32 v9, v9, v28
	v_exp_f32_e32 v8, v8
	v_cvt_i32_f32_e32 v29, v29
	v_add_f32_e32 v13, v13, v30
	v_exp_f32_e32 v9, v9
	v_cvt_i32_f32_e32 v31, v31
	v_exp_f32_e32 v13, v13
	v_ldexp_f32 v7, v7, v18
	v_cmp_ngt_f32_e32 vcc, s0, v3
	v_ldexp_f32 v8, v8, v20
	v_cndmask_b32_e32 v7, 0, v7, vcc
	v_cmp_ngt_f32_e32 vcc, s0, v5
	v_ldexp_f32 v9, v9, v29
	v_cndmask_b32_e32 v8, 0, v8, vcc
	;; [unrolled: 3-line block ×3, first 2 shown]
	v_cmp_ngt_f32_e32 vcc, s0, v1
	v_cndmask_b32_e32 v13, 0, v13, vcc
	v_cmp_nlt_f32_e32 vcc, s1, v3
	v_mul_f32_e32 v14, 0x3fb8aa3b, v0
	v_cndmask_b32_e32 v7, v12, v7, vcc
	v_cmp_nlt_f32_e32 vcc, s1, v5
	v_fma_f32 v32, v0, s2, -v14
	v_rndne_f32_e32 v33, v14
	v_cndmask_b32_e32 v5, v12, v8, vcc
	v_cmp_nlt_f32_e32 vcc, s1, v2
	v_mul_f32_e32 v15, 0x3fb8aa3b, v6
	v_fmac_f32_e32 v32, 0x32a5705f, v0
	v_sub_f32_e32 v14, v14, v33
	v_cndmask_b32_e32 v8, v12, v9, vcc
	v_add_f32_e32 v2, v7, v5
	v_fma_f32 v34, v6, s2, -v15
	v_add_f32_e32 v14, v14, v32
	v_add_f32_e32 v9, v2, v8
	v_rndne_f32_e32 v2, v15
	v_cvt_i32_f32_e32 v33, v33
	v_exp_f32_e32 v14, v14
	v_fmac_f32_e32 v34, 0x32a5705f, v6
	v_sub_f32_e32 v3, v15, v2
	v_add_f32_e32 v3, v3, v34
	v_exp_f32_e32 v3, v3
	v_cvt_i32_f32_e32 v2, v2
	v_cmp_nlt_f32_e32 vcc, s1, v1
	v_ldexp_f32 v14, v14, v33
	v_cndmask_b32_e32 v1, v12, v13, vcc
	v_cmp_ngt_f32_e32 vcc, s0, v0
	v_cndmask_b32_e32 v13, 0, v14, vcc
	v_cmp_nlt_f32_e32 vcc, s1, v0
	v_cndmask_b32_e32 v0, v12, v13, vcc
	v_ldexp_f32 v13, v3, v2
	v_pk_add_f32 v[2:3], v[10:11], v[4:5] op_sel_hi:[1,0] neg_lo:[0,1] neg_hi:[0,1]
	v_mul_f32_e32 v4, 0x3fb8aa3b, v3
	v_fma_f32 v10, v3, s2, -v4
	v_rndne_f32_e32 v11, v4
	v_fmac_f32_e32 v10, 0x32a5705f, v3
	v_sub_f32_e32 v4, v4, v11
	v_add_f32_e32 v4, v4, v10
	v_exp_f32_e32 v4, v4
	v_cvt_i32_f32_e32 v10, v11
	v_cmp_ngt_f32_e32 vcc, s0, v6
	v_cndmask_b32_e32 v11, 0, v13, vcc
	v_cmp_nlt_f32_e32 vcc, s1, v6
	v_mul_f32_e32 v6, 0x3fb8aa3b, v2
	v_ldexp_f32 v4, v4, v10
	v_fma_f32 v10, v2, s2, -v6
	v_rndne_f32_e32 v13, v6
	v_fmac_f32_e32 v10, 0x32a5705f, v2
	v_sub_f32_e32 v6, v6, v13
	v_add_f32_e32 v6, v6, v10
	v_exp_f32_e32 v6, v6
	v_cvt_i32_f32_e32 v10, v13
	v_cndmask_b32_e32 v11, v12, v11, vcc
	v_cmp_ngt_f32_e32 vcc, s0, v3
	v_cndmask_b32_e32 v4, 0, v4, vcc
	v_cmp_nlt_f32_e32 vcc, s1, v3
	v_cndmask_b32_e32 v3, v12, v4, vcc
	v_ldexp_f32 v4, v6, v10
	v_cmp_ngt_f32_e32 vcc, s0, v2
	v_cndmask_b32_e32 v4, 0, v4, vcc
	v_cmp_nlt_f32_e32 vcc, s1, v2
	v_cndmask_b32_e32 v2, v12, v4, vcc
	v_add_f32_e32 v4, v9, v2
	v_add_f32_e32 v4, v4, v3
	;; [unrolled: 1-line block ×5, first 2 shown]
	ds_bpermute_b32 v6, v22, v4
	s_movk_i32 s2, 0x1f8
	v_lshlrev_b32_e32 v28, 2, v21
	s_waitcnt lgkmcnt(0)
	v_add_f32_e32 v4, v4, v6
	ds_bpermute_b32 v6, v23, v4
	s_waitcnt lgkmcnt(0)
	v_add_f32_e32 v4, v4, v6
	ds_bpermute_b32 v6, v24, v4
	;; [unrolled: 3-line block ×5, first 2 shown]
	s_waitcnt lgkmcnt(0)
	v_add_f32_e32 v4, v4, v6
	v_div_scale_f32 v6, s[0:1], v4, v4, 1.0
	v_rcp_f32_e32 v9, v6
	s_load_dwordx2 s[0:1], s[4:5], 0x40
	v_fma_f32 v10, -v6, v9, 1.0
	v_fmac_f32_e32 v9, v10, v9
	v_div_scale_f32 v10, vcc, 1.0, v4, 1.0
	v_mul_f32_e32 v12, v10, v9
	v_fma_f32 v13, -v6, v12, v10
	v_fmac_f32_e32 v12, v13, v9
	v_fma_f32 v6, -v6, v12, v10
	v_div_fmas_f32 v6, v6, v9, v12
	v_div_fixup_f32 v4, v6, v4, 1.0
	v_mul_f32_e32 v10, v4, v7
	v_mul_f32_e32 v5, v4, v5
	v_cmp_class_f32_e64 vcc, v10, s2
	v_mul_f32_e32 v12, v4, v8
	v_pk_mul_f32 v[8:9], v[4:5], v[0:1] op_sel_hi:[0,1]
	v_cndmask_b32_e32 v0, 0, v10, vcc
	v_cmp_class_f32_e64 vcc, v5, s2
	v_pk_mul_f32 v[6:7], v[4:5], v[2:3] op_sel_hi:[0,1]
	v_cndmask_b32_e32 v1, 0, v5, vcc
	v_cmp_class_f32_e64 vcc, v12, s2
	v_mov_b32_e32 v5, 0x207
	v_cndmask_b32_e32 v2, 0, v12, vcc
	v_cmp_class_f32_e32 vcc, v7, v5
	v_mul_f32_e32 v11, v4, v11
	v_cndmask_b32_e64 v4, v7, 0, vcc
	v_cmp_class_f32_e32 vcc, v6, v5
	v_cndmask_b32_e64 v3, v6, 0, vcc
	v_cmp_class_f32_e32 vcc, v9, v5
	;; [unrolled: 2-line block ×3, first 2 shown]
	v_cndmask_b32_e64 v5, v8, 0, vcc
	v_cmp_class_f32_e64 vcc, v11, s2
	s_waitcnt lgkmcnt(0)
	s_cmp_eq_u64 s[0:1], 0
	v_cndmask_b32_e32 v7, 0, v11, vcc
	s_cbranch_scc1 .LBB18_31
; %bb.4:
	v_lshlrev_b32_e32 v16, 2, v28
	global_load_dwordx4 v[8:11], v16, s[0:1]
	global_load_dwordx4 v[12:15], v16, s[0:1] offset:1024
	s_waitcnt vmcnt(1)
	v_pk_add_f32 v[8:9], v[8:9], v[0:1]
	v_pk_add_f32 v[10:11], v[10:11], v[2:3]
	s_waitcnt vmcnt(0)
	v_pk_add_f32 v[12:13], v[12:13], v[4:5]
	v_pk_add_f32 v[14:15], v[14:15], v[6:7]
	s_cbranch_execnz .LBB18_6
.LBB18_5:
	v_pk_mov_b32 v[14:15], v[6:7], v[6:7] op_sel:[0,1]
	v_pk_mov_b32 v[12:13], v[4:5], v[4:5] op_sel:[0,1]
	;; [unrolled: 1-line block ×4, first 2 shown]
.LBB18_6:
	s_load_dwordx4 s[8:11], s[4:5], 0x30
	s_mov_b32 s25, 0
	v_cmp_eq_u32_e64 s[0:1], 0, v21
	s_waitcnt lgkmcnt(0)
	s_bitcmp1_b32 s11, 0
	s_cselect_b64 vcc, -1, 0
	s_cmp_gt_i32 s8, 0
	s_cselect_b64 s[20:21], -1, 0
	s_cmp_lt_i32 s8, 1
	s_cbranch_scc1 .LBB18_32
; %bb.7:
	s_load_dwordx4 s[12:15], s[4:5], 0x20
	v_mul_lo_u32 v30, v17, s8
	v_mov_b32_e32 v29, 0
	v_mov_b32_e32 v31, 0x100
	;; [unrolled: 1-line block ×3, first 2 shown]
	v_bfrev_b32_e32 v33, 4.0
	v_bfrev_b32_e32 v34, -4.0
	v_mov_b32_e32 v35, 0x200
	v_mov_b32_e32 v36, 0xc61c4000
	;; [unrolled: 1-line block ×3, first 2 shown]
	s_branch .LBB18_10
.LBB18_8:                               ;   in Loop: Header=BB18_10 Depth=1
	s_or_b64 exec, exec, s[4:5]
.LBB18_9:                               ;   in Loop: Header=BB18_10 Depth=1
	s_cmp_eq_u32 s8, s25
	v_add_u32_e32 v37, s24, v37
	s_cbranch_scc1 .LBB18_33
.LBB18_10:                              ; =>This Inner Loop Header: Depth=1
	v_cmp_gt_f32_e64 s[2:3], v9, v8
	v_cndmask_b32_e64 v16, v8, v9, s[2:3]
	v_cndmask_b32_e64 v18, v0, v1, s[2:3]
	s_waitcnt lgkmcnt(0)
	v_cndmask_b32_e64 v19, 0, 1, s[2:3]
	v_cmp_gt_f32_e64 s[2:3], v10, v16
	v_cndmask_b32_e64 v16, v16, v10, s[2:3]
	v_cndmask_b32_e64 v18, v18, v2, s[2:3]
	v_cndmask_b32_e64 v19, v19, 2, s[2:3]
	v_cmp_gt_f32_e64 s[2:3], v11, v16
	v_cndmask_b32_e64 v16, v16, v11, s[2:3]
	v_cndmask_b32_e64 v18, v18, v3, s[2:3]
	;; [unrolled: 4-line block ×6, first 2 shown]
	v_or_b32_e32 v19, v28, v19
	ds_bpermute_b32 v20, v22, v16
	ds_bpermute_b32 v38, v22, v19
	v_cndmask_b32_e64 v18, v18, v7, s[2:3]
	ds_bpermute_b32 v40, v22, v18
	s_waitcnt lgkmcnt(0)
	v_cmp_eq_f32_e64 s[4:5], v16, v20
	v_cmp_lt_i32_e64 s[6:7], v38, v19
	v_cmp_lt_f32_e64 s[2:3], v16, v20
	s_and_b64 s[4:5], s[4:5], s[6:7]
	s_or_b64 s[2:3], s[2:3], s[4:5]
	v_cndmask_b32_e64 v39, v19, v38, s[2:3]
	v_cndmask_b32_e64 v38, v16, v20, s[2:3]
	;; [unrolled: 1-line block ×3, first 2 shown]
	ds_bpermute_b32 v41, v23, v38
	ds_bpermute_b32 v20, v23, v16
	;; [unrolled: 1-line block ×3, first 2 shown]
                                        ; implicit-def: $vgpr18_vgpr19
	s_waitcnt lgkmcnt(2)
	v_cmp_lt_f32_e64 s[6:7], v38, v41
	v_cmp_nlt_f32_e64 s[2:3], v38, v41
	s_and_saveexec_b64 s[22:23], s[2:3]
	s_cbranch_execz .LBB18_12
; %bb.11:                               ;   in Loop: Header=BB18_10 Depth=1
	v_cmp_eq_f32_e64 s[2:3], v38, v41
	s_waitcnt lgkmcnt(0)
	v_cmp_lt_i32_e64 s[4:5], v40, v39
	s_and_b64 s[2:3], s[2:3], s[4:5]
	s_andn2_b64 s[4:5], s[6:7], exec
	s_and_b64 s[2:3], s[2:3], exec
	s_or_b64 s[6:7], s[4:5], s[2:3]
	v_pk_mov_b32 v[18:19], v[16:17], v[16:17] op_sel:[0,1]
.LBB18_12:                              ;   in Loop: Header=BB18_10 Depth=1
	s_or_b64 exec, exec, s[22:23]
	s_and_saveexec_b64 s[2:3], s[6:7]
	s_cbranch_execz .LBB18_14
; %bb.13:                               ;   in Loop: Header=BB18_10 Depth=1
	v_mov_b32_e32 v38, v41
	s_waitcnt lgkmcnt(1)
	v_mov_b32_e32 v16, v20
	s_waitcnt lgkmcnt(0)
	v_mov_b32_e32 v39, v40
	v_pk_mov_b32 v[18:19], v[20:21], v[20:21] op_sel:[0,1]
.LBB18_14:                              ;   in Loop: Header=BB18_10 Depth=1
	s_or_b64 exec, exec, s[2:3]
	s_waitcnt lgkmcnt(0)
	ds_bpermute_b32 v40, v24, v38
	ds_bpermute_b32 v20, v24, v16
	;; [unrolled: 1-line block ×3, first 2 shown]
	s_waitcnt lgkmcnt(2)
	v_cmp_lt_f32_e64 s[6:7], v38, v40
	v_cmp_nlt_f32_e64 s[2:3], v38, v40
	s_and_saveexec_b64 s[22:23], s[2:3]
	s_cbranch_execz .LBB18_16
; %bb.15:                               ;   in Loop: Header=BB18_10 Depth=1
	v_cmp_eq_f32_e64 s[2:3], v38, v40
	s_waitcnt lgkmcnt(0)
	v_cmp_lt_i32_e64 s[4:5], v19, v39
	s_and_b64 s[2:3], s[2:3], s[4:5]
	s_andn2_b64 s[4:5], s[6:7], exec
	s_and_b64 s[2:3], s[2:3], exec
	s_or_b64 s[6:7], s[4:5], s[2:3]
.LBB18_16:                              ;   in Loop: Header=BB18_10 Depth=1
	s_or_b64 exec, exec, s[22:23]
	s_and_saveexec_b64 s[2:3], s[6:7]
	s_cbranch_execz .LBB18_18
; %bb.17:                               ;   in Loop: Header=BB18_10 Depth=1
	v_mov_b32_e32 v38, v40
	s_waitcnt lgkmcnt(1)
	v_mov_b32_e32 v16, v20
	s_waitcnt lgkmcnt(0)
	v_mov_b32_e32 v39, v19
	v_pk_mov_b32 v[18:19], v[20:21], v[20:21] op_sel:[0,1]
.LBB18_18:                              ;   in Loop: Header=BB18_10 Depth=1
	s_or_b64 exec, exec, s[2:3]
	ds_bpermute_b32 v40, v25, v38
	s_waitcnt lgkmcnt(2)
	ds_bpermute_b32 v20, v25, v16
	s_waitcnt lgkmcnt(2)
	;; [unrolled: 2-line block ×3, first 2 shown]
	v_cmp_lt_f32_e64 s[6:7], v38, v40
	v_cmp_nlt_f32_e64 s[2:3], v38, v40
	s_and_saveexec_b64 s[22:23], s[2:3]
	s_cbranch_execz .LBB18_20
; %bb.19:                               ;   in Loop: Header=BB18_10 Depth=1
	v_cmp_eq_f32_e64 s[2:3], v38, v40
	s_waitcnt lgkmcnt(0)
	v_cmp_lt_i32_e64 s[4:5], v19, v39
	s_and_b64 s[2:3], s[2:3], s[4:5]
	s_andn2_b64 s[4:5], s[6:7], exec
	s_and_b64 s[2:3], s[2:3], exec
	s_or_b64 s[6:7], s[4:5], s[2:3]
.LBB18_20:                              ;   in Loop: Header=BB18_10 Depth=1
	s_or_b64 exec, exec, s[22:23]
	s_and_saveexec_b64 s[2:3], s[6:7]
	s_cbranch_execz .LBB18_22
; %bb.21:                               ;   in Loop: Header=BB18_10 Depth=1
	v_mov_b32_e32 v38, v40
	s_waitcnt lgkmcnt(1)
	v_mov_b32_e32 v16, v20
	s_waitcnt lgkmcnt(0)
	v_mov_b32_e32 v39, v19
	v_pk_mov_b32 v[18:19], v[20:21], v[20:21] op_sel:[0,1]
.LBB18_22:                              ;   in Loop: Header=BB18_10 Depth=1
	s_or_b64 exec, exec, s[2:3]
	ds_bpermute_b32 v40, v26, v38
	s_waitcnt lgkmcnt(2)
	ds_bpermute_b32 v20, v26, v16
	s_waitcnt lgkmcnt(2)
	;; [unrolled: 2-line block ×3, first 2 shown]
	v_cmp_lt_f32_e64 s[6:7], v38, v40
	v_cmp_nlt_f32_e64 s[2:3], v38, v40
	s_and_saveexec_b64 s[22:23], s[2:3]
	s_cbranch_execz .LBB18_24
; %bb.23:                               ;   in Loop: Header=BB18_10 Depth=1
	v_cmp_eq_f32_e64 s[2:3], v38, v40
	s_waitcnt lgkmcnt(0)
	v_cmp_lt_i32_e64 s[4:5], v19, v39
	s_and_b64 s[2:3], s[2:3], s[4:5]
	s_andn2_b64 s[4:5], s[6:7], exec
	s_and_b64 s[2:3], s[2:3], exec
	s_or_b64 s[6:7], s[4:5], s[2:3]
.LBB18_24:                              ;   in Loop: Header=BB18_10 Depth=1
	s_or_b64 exec, exec, s[22:23]
	s_and_saveexec_b64 s[2:3], s[6:7]
	s_cbranch_execz .LBB18_26
; %bb.25:                               ;   in Loop: Header=BB18_10 Depth=1
	v_mov_b32_e32 v38, v40
	s_waitcnt lgkmcnt(1)
	v_mov_b32_e32 v16, v20
	s_waitcnt lgkmcnt(0)
	v_mov_b32_e32 v39, v19
	v_pk_mov_b32 v[18:19], v[20:21], v[20:21] op_sel:[0,1]
.LBB18_26:                              ;   in Loop: Header=BB18_10 Depth=1
	s_or_b64 exec, exec, s[2:3]
	s_waitcnt lgkmcnt(1)
	ds_bpermute_b32 v20, v27, v38
	ds_bpermute_b32 v40, v27, v39
	s_waitcnt lgkmcnt(2)
	ds_bpermute_b32 v19, v27, v16
	s_waitcnt lgkmcnt(2)
	v_cmp_eq_f32_e64 s[4:5], v38, v20
	s_waitcnt lgkmcnt(1)
	v_cmp_lt_i32_e64 s[6:7], v40, v39
	v_cmp_lt_f32_e64 s[2:3], v38, v20
	s_and_b64 s[4:5], s[4:5], s[6:7]
	s_or_b64 s[2:3], s[2:3], s[4:5]
	v_cndmask_b32_e64 v16, v39, v40, s[2:3]
	s_and_saveexec_b64 s[6:7], s[0:1]
	s_cbranch_execnz .LBB18_28
; %bb.27:                               ;   in Loop: Header=BB18_10 Depth=1
	s_or_b64 exec, exec, s[6:7]
	s_add_i32 s25, s25, 1
	s_cmp_ge_i32 s25, s8
	s_cbranch_scc1 .LBB18_9
	s_branch .LBB18_29
.LBB18_28:                              ;   in Loop: Header=BB18_10 Depth=1
	s_waitcnt lgkmcnt(0)
	v_cndmask_b32_e64 v20, v18, v19, s[2:3]
	v_add_u32_e32 v18, s25, v30
	v_ashrrev_i32_e32 v19, 31, v18
	v_cmp_le_i32_e64 s[2:3], s9, v16
	v_cmp_gt_i32_e64 s[4:5], s10, v16
	v_lshlrev_b64 v[18:19], 2, v[18:19]
	s_and_b64 s[4:5], s[2:3], s[4:5]
	v_mov_b32_e32 v39, s17
	v_add_co_u32_e64 v38, s[2:3], s16, v18
	v_addc_co_u32_e64 v39, s[2:3], v39, v19, s[2:3]
	global_store_dword v[38:39], v20, off
	v_subrev_u32_e32 v38, s9, v16
	s_and_b64 s[2:3], s[18:19], s[4:5]
	v_cndmask_b32_e64 v40, v35, v38, s[2:3]
	v_mov_b32_e32 v39, s13
	v_add_co_u32_e64 v38, s[2:3], s12, v18
	v_addc_co_u32_e64 v39, s[2:3], v39, v19, s[2:3]
	global_store_dword v[38:39], v40, off
	v_mov_b32_e32 v38, s15
	v_add_co_u32_e64 v18, s[2:3], s14, v18
	v_addc_co_u32_e64 v19, s[2:3], v38, v19, s[2:3]
	global_store_dword v[18:19], v37, off
	v_add_f32_e32 v18, v29, v20
	v_cndmask_b32_e32 v29, v29, v18, vcc
	s_or_b64 exec, exec, s[6:7]
	s_add_i32 s25, s25, 1
	s_cmp_ge_i32 s25, s8
	s_cbranch_scc1 .LBB18_9
.LBB18_29:                              ;   in Loop: Header=BB18_10 Depth=1
	v_ashrrev_i32_e32 v18, 31, v16
	s_waitcnt lgkmcnt(0)
	v_lshrrev_b32_e32 v19, 30, v18
	v_add_u32_e32 v20, v16, v19
	v_ashrrev_i32_e32 v19, 2, v20
	v_ashrrev_i32_e32 v20, 31, v20
	v_lshrrev_b32_e32 v20, 26, v20
	v_add_u32_e32 v20, v19, v20
	v_and_b32_e32 v20, 0xffffffc0, v20
	v_sub_u32_e32 v20, v19, v20
	v_cmp_eq_u32_e64 s[2:3], v21, v20
	s_and_saveexec_b64 s[4:5], s[2:3]
	s_cbranch_execz .LBB18_8
; %bb.30:                               ;   in Loop: Header=BB18_10 Depth=1
	v_add_u32_sdwa v18, v16, v18 dst_sel:DWORD dst_unused:UNUSED_PAD src0_sel:DWORD src1_sel:BYTE_3
	v_lshlrev_b32_e32 v19, 2, v19
	v_ashrrev_i32_e32 v18, 8, v18
	v_sub_u32_e32 v16, v16, v19
	v_lshl_add_u32 v16, v18, 2, v16
	v_cmp_ne_u32_e64 s[2:3], 7, v16
	v_cndmask_b32_e64 v15, v36, v15, s[2:3]
	v_cmp_ne_u32_e64 s[2:3], 6, v16
	v_cndmask_b32_e64 v14, v36, v14, s[2:3]
	;; [unrolled: 2-line block ×8, first 2 shown]
	s_branch .LBB18_8
.LBB18_31:
                                        ; implicit-def: $vgpr8_vgpr9_vgpr10_vgpr11_vgpr12_vgpr13_vgpr14_vgpr15
	s_andn2_b64 vcc, exec, s[6:7]
	s_cbranch_vccz .LBB18_5
	s_branch .LBB18_6
.LBB18_32:
	v_mov_b32_e32 v29, 0
.LBB18_33:
	v_cmp_eq_u32_e64 s[0:1], 0, v21
	s_and_b64 s[0:1], s[0:1], vcc
	s_and_b64 exec, exec, s[0:1]
	s_cbranch_execz .LBB18_42
; %bb.34:
	s_andn2_b64 vcc, exec, s[20:21]
	s_cbranch_vccnz .LBB18_42
; %bb.35:
	v_cmp_lt_f32_e32 vcc, 0, v29
	s_mov_b32 s2, 0
	v_cndmask_b32_e32 v0, 1.0, v29, vcc
	v_mul_lo_u32 v4, v17, s8
	s_cmp_eq_u32 s8, 1
	s_mov_b64 s[0:1], -1
	s_cbranch_scc1 .LBB18_39
; %bb.36:
	s_and_b32 s2, s8, 0x7ffffffe
	v_mov_b32_e32 v1, v0
	v_mov_b32_e32 v5, s17
	s_mov_b32 s3, s2
	v_mov_b32_e32 v2, v4
.LBB18_37:                              ; =>This Inner Loop Header: Depth=1
	v_ashrrev_i32_e32 v3, 31, v2
	v_lshlrev_b64 v[6:7], 2, v[2:3]
	v_add_co_u32_e32 v6, vcc, s16, v6
	v_addc_co_u32_e32 v7, vcc, v5, v7, vcc
	global_load_dwordx2 v[8:9], v[6:7], off
	s_add_i32 s3, s3, -2
	s_cmp_lg_u32 s3, 0
	v_add_u32_e32 v2, 2, v2
	s_waitcnt vmcnt(0)
	v_div_scale_f32 v3, s[0:1], v1, v1, v9
	v_div_scale_f32 v11, s[0:1], v0, v0, v8
	v_rcp_f32_e32 v12, v3
	v_rcp_f32_e32 v13, v11
	v_div_scale_f32 v10, vcc, v9, v1, v9
	v_fma_f32 v15, -v3, v12, 1.0
	v_fma_f32 v16, -v11, v13, 1.0
	v_fmac_f32_e32 v12, v15, v12
	v_div_scale_f32 v14, s[0:1], v8, v0, v8
	v_fmac_f32_e32 v13, v16, v13
	v_mul_f32_e32 v15, v10, v12
	v_mul_f32_e32 v16, v14, v13
	v_fma_f32 v17, -v3, v15, v10
	v_fma_f32 v18, -v11, v16, v14
	v_fmac_f32_e32 v15, v17, v12
	v_fmac_f32_e32 v16, v18, v13
	v_fma_f32 v3, -v3, v15, v10
	v_fma_f32 v10, -v11, v16, v14
	v_div_fmas_f32 v3, v3, v12, v15
	s_mov_b64 vcc, s[0:1]
	v_div_fixup_f32 v9, v3, v1, v9
	v_div_fmas_f32 v3, v10, v13, v16
	v_div_fixup_f32 v8, v3, v0, v8
	global_store_dwordx2 v[6:7], v[8:9], off
	s_cbranch_scc1 .LBB18_37
; %bb.38:
	s_cmp_lg_u32 s2, s8
	s_cselect_b64 s[0:1], -1, 0
.LBB18_39:
	s_and_b64 vcc, exec, s[0:1]
	s_cbranch_vccz .LBB18_42
; %bb.40:
	v_ashrrev_i32_e32 v1, 31, v4
	v_add_co_u32_e32 v2, vcc, s2, v4
	v_addc_co_u32_e32 v3, vcc, 0, v1, vcc
	v_lshlrev_b64 v[2:3], 2, v[2:3]
	v_mov_b32_e32 v1, s17
	v_add_co_u32_e32 v2, vcc, s16, v2
	s_sub_i32 s0, s8, s2
	v_addc_co_u32_e32 v3, vcc, v1, v3, vcc
.LBB18_41:                              ; =>This Inner Loop Header: Depth=1
	global_load_dword v1, v[2:3], off
	s_add_i32 s0, s0, -1
	s_cmp_lg_u32 s0, 0
	s_waitcnt vmcnt(0)
	v_div_scale_f32 v4, s[2:3], v0, v0, v1
	v_rcp_f32_e32 v5, v4
	v_div_scale_f32 v6, vcc, v1, v0, v1
	v_fma_f32 v7, -v4, v5, 1.0
	v_fmac_f32_e32 v5, v7, v5
	v_mul_f32_e32 v7, v6, v5
	v_fma_f32 v8, -v4, v7, v6
	v_fmac_f32_e32 v7, v8, v5
	v_fma_f32 v4, -v4, v7, v6
	v_div_fmas_f32 v4, v4, v5, v7
	v_div_fixup_f32 v1, v4, v0, v1
	global_store_dword v[2:3], v1, off
	v_add_co_u32_e32 v2, vcc, 4, v2
	v_addc_co_u32_e32 v3, vcc, 0, v3, vcc
	s_cbranch_scc1 .LBB18_41
.LBB18_42:
	s_endpgm
	.section	.rodata,"a",@progbits
	.p2align	6, 0x0
	.amdhsa_kernel _ZN4vllm3moe10topkGatingILi8ELi512ELi4ELi16ELi64EifLNS0_11ScoringFuncE0EEEvPKT5_PKbPfiPT4_PiiiibPKf
		.amdhsa_group_segment_fixed_size 0
		.amdhsa_private_segment_fixed_size 0
		.amdhsa_kernarg_size 72
		.amdhsa_user_sgpr_count 6
		.amdhsa_user_sgpr_private_segment_buffer 1
		.amdhsa_user_sgpr_dispatch_ptr 0
		.amdhsa_user_sgpr_queue_ptr 0
		.amdhsa_user_sgpr_kernarg_segment_ptr 1
		.amdhsa_user_sgpr_dispatch_id 0
		.amdhsa_user_sgpr_flat_scratch_init 0
		.amdhsa_user_sgpr_kernarg_preload_length 0
		.amdhsa_user_sgpr_kernarg_preload_offset 0
		.amdhsa_user_sgpr_private_segment_size 0
		.amdhsa_uses_dynamic_stack 0
		.amdhsa_system_sgpr_private_segment_wavefront_offset 0
		.amdhsa_system_sgpr_workgroup_id_x 1
		.amdhsa_system_sgpr_workgroup_id_y 0
		.amdhsa_system_sgpr_workgroup_id_z 0
		.amdhsa_system_sgpr_workgroup_info 0
		.amdhsa_system_vgpr_workitem_id 1
		.amdhsa_next_free_vgpr 42
		.amdhsa_next_free_sgpr 26
		.amdhsa_accum_offset 44
		.amdhsa_reserve_vcc 1
		.amdhsa_reserve_flat_scratch 0
		.amdhsa_float_round_mode_32 0
		.amdhsa_float_round_mode_16_64 0
		.amdhsa_float_denorm_mode_32 3
		.amdhsa_float_denorm_mode_16_64 3
		.amdhsa_dx10_clamp 1
		.amdhsa_ieee_mode 1
		.amdhsa_fp16_overflow 0
		.amdhsa_tg_split 0
		.amdhsa_exception_fp_ieee_invalid_op 0
		.amdhsa_exception_fp_denorm_src 0
		.amdhsa_exception_fp_ieee_div_zero 0
		.amdhsa_exception_fp_ieee_overflow 0
		.amdhsa_exception_fp_ieee_underflow 0
		.amdhsa_exception_fp_ieee_inexact 0
		.amdhsa_exception_int_div_zero 0
	.end_amdhsa_kernel
	.section	.text._ZN4vllm3moe10topkGatingILi8ELi512ELi4ELi16ELi64EifLNS0_11ScoringFuncE0EEEvPKT5_PKbPfiPT4_PiiiibPKf,"axG",@progbits,_ZN4vllm3moe10topkGatingILi8ELi512ELi4ELi16ELi64EifLNS0_11ScoringFuncE0EEEvPKT5_PKbPfiPT4_PiiiibPKf,comdat
.Lfunc_end18:
	.size	_ZN4vllm3moe10topkGatingILi8ELi512ELi4ELi16ELi64EifLNS0_11ScoringFuncE0EEEvPKT5_PKbPfiPT4_PiiiibPKf, .Lfunc_end18-_ZN4vllm3moe10topkGatingILi8ELi512ELi4ELi16ELi64EifLNS0_11ScoringFuncE0EEEvPKT5_PKbPfiPT4_PiiiibPKf
                                        ; -- End function
	.section	.AMDGPU.csdata,"",@progbits
; Kernel info:
; codeLenInByte = 3536
; NumSgprs: 30
; NumVgprs: 42
; NumAgprs: 0
; TotalNumVgprs: 42
; ScratchSize: 0
; MemoryBound: 0
; FloatMode: 240
; IeeeMode: 1
; LDSByteSize: 0 bytes/workgroup (compile time only)
; SGPRBlocks: 3
; VGPRBlocks: 5
; NumSGPRsForWavesPerEU: 30
; NumVGPRsForWavesPerEU: 42
; AccumOffset: 44
; Occupancy: 8
; WaveLimiterHint : 1
; COMPUTE_PGM_RSRC2:SCRATCH_EN: 0
; COMPUTE_PGM_RSRC2:USER_SGPR: 6
; COMPUTE_PGM_RSRC2:TRAP_HANDLER: 0
; COMPUTE_PGM_RSRC2:TGID_X_EN: 1
; COMPUTE_PGM_RSRC2:TGID_Y_EN: 0
; COMPUTE_PGM_RSRC2:TGID_Z_EN: 0
; COMPUTE_PGM_RSRC2:TIDIG_COMP_CNT: 1
; COMPUTE_PGM_RSRC3_GFX90A:ACCUM_OFFSET: 10
; COMPUTE_PGM_RSRC3_GFX90A:TG_SPLIT: 0
	.section	.text._ZN4vllm3moe10topkGatingILi16ELi512ELi4ELi16ELi32EifLNS0_11ScoringFuncE0EEEvPKT5_PKbPfiPT4_PiiiibPKf,"axG",@progbits,_ZN4vllm3moe10topkGatingILi16ELi512ELi4ELi16ELi32EifLNS0_11ScoringFuncE0EEEvPKT5_PKbPfiPT4_PiiiibPKf,comdat
	.protected	_ZN4vllm3moe10topkGatingILi16ELi512ELi4ELi16ELi32EifLNS0_11ScoringFuncE0EEEvPKT5_PKbPfiPT4_PiiiibPKf ; -- Begin function _ZN4vllm3moe10topkGatingILi16ELi512ELi4ELi16ELi32EifLNS0_11ScoringFuncE0EEEvPKT5_PKbPfiPT4_PiiiibPKf
	.globl	_ZN4vllm3moe10topkGatingILi16ELi512ELi4ELi16ELi32EifLNS0_11ScoringFuncE0EEEvPKT5_PKbPfiPT4_PiiiibPKf
	.p2align	8
	.type	_ZN4vllm3moe10topkGatingILi16ELi512ELi4ELi16ELi32EifLNS0_11ScoringFuncE0EEEvPKT5_PKbPfiPT4_PiiiibPKf,@function
_ZN4vllm3moe10topkGatingILi16ELi512ELi4ELi16ELi32EifLNS0_11ScoringFuncE0EEEvPKT5_PKbPfiPT4_PiiiibPKf: ; @_ZN4vllm3moe10topkGatingILi16ELi512ELi4ELi16ELi32EifLNS0_11ScoringFuncE0EEEvPKT5_PKbPfiPT4_PiiiibPKf
; %bb.0:
	s_load_dword s24, s[4:5], 0x18
	v_and_b32_e32 v1, 0x3ff, v0
	s_lshl_b32 s0, s6, 2
	v_lshrrev_b32_e32 v2, 5, v1
	v_bfe_u32 v0, v0, 10, 10
	v_add3_u32 v33, s0, v0, v2
	s_waitcnt lgkmcnt(0)
	v_cmp_gt_i32_e32 vcc, s24, v33
	s_and_saveexec_b64 s[0:1], vcc
	s_cbranch_execz .LBB19_38
; %bb.1:
	s_load_dwordx4 s[0:3], s[4:5], 0x0
	s_load_dwordx2 s[16:17], s[4:5], 0x10
	s_mov_b64 s[6:7], -1
	s_mov_b64 s[18:19], -1
	s_waitcnt lgkmcnt(0)
	s_cmp_eq_u64 s[2:3], 0
	s_cbranch_scc1 .LBB19_3
; %bb.2:
	v_ashrrev_i32_e32 v0, 31, v33
	v_mov_b32_e32 v3, s3
	v_add_co_u32_e32 v2, vcc, s2, v33
	v_addc_co_u32_e32 v3, vcc, v3, v0, vcc
	global_load_ubyte v0, v[2:3], off
	s_waitcnt vmcnt(0)
	v_and_b32_e32 v0, 1, v0
	v_cmp_eq_u32_e32 vcc, 1, v0
	s_xor_b64 s[2:3], vcc, -1
	s_orn2_b64 s[18:19], s[2:3], exec
.LBB19_3:
	v_lshlrev_b32_e32 v2, 9, v33
	v_ashrrev_i32_e32 v3, 31, v2
	v_lshlrev_b64 v[2:3], 2, v[2:3]
	v_mov_b32_e32 v0, s1
	v_add_co_u32_e32 v2, vcc, s0, v2
	v_and_b32_e32 v37, 31, v1
	v_addc_co_u32_e32 v0, vcc, v0, v3, vcc
	v_lshlrev_b32_e32 v1, 4, v37
	v_add_co_u32_e32 v12, vcc, v2, v1
	v_addc_co_u32_e32 v13, vcc, 0, v0, vcc
	global_load_dwordx4 v[14:17], v[12:13], off
	global_load_dwordx4 v[8:11], v[12:13], off offset:512
	global_load_dwordx4 v[4:7], v[12:13], off offset:1024
	;; [unrolled: 1-line block ×3, first 2 shown]
	v_mbcnt_lo_u32_b32 v12, -1, 0
	v_mbcnt_hi_u32_b32 v12, -1, v12
	v_and_b32_e32 v13, 0x60, v12
	v_xor_b32_e32 v18, 16, v12
	v_add_u32_e32 v13, 32, v13
	v_cmp_lt_i32_e32 vcc, v18, v13
	v_cndmask_b32_e32 v18, v12, v18, vcc
	v_lshlrev_b32_e32 v38, 2, v18
	v_xor_b32_e32 v19, 8, v12
	v_cmp_lt_i32_e32 vcc, v19, v13
	v_cndmask_b32_e32 v19, v12, v19, vcc
	v_lshlrev_b32_e32 v39, 2, v19
	v_xor_b32_e32 v22, 4, v12
	;; [unrolled: 4-line block ×3, first 2 shown]
	s_mov_b32 s2, 0x3fb8aa3b
	s_mov_b32 s0, 0xc2ce8ed0
	;; [unrolled: 1-line block ×3, first 2 shown]
	v_mov_b32_e32 v20, 0x7f800000
	v_lshlrev_b32_e32 v43, 2, v37
	s_waitcnt vmcnt(3)
	v_max_f32_e32 v18, v15, v15
	v_max_f32_e32 v21, v14, v14
	v_max_f32_e32 v18, v21, v18
	v_max3_f32 v18, v18, v16, v17
	s_waitcnt vmcnt(2)
	v_max3_f32 v18, v18, v8, v9
	v_max3_f32 v18, v18, v10, v11
	s_waitcnt vmcnt(1)
	v_max3_f32 v18, v18, v4, v5
	;; [unrolled: 3-line block ×3, first 2 shown]
	v_max3_f32 v18, v18, v2, v3
	ds_bpermute_b32 v21, v38, v18
	s_waitcnt lgkmcnt(0)
	v_max_f32_e32 v19, v21, v21
	v_max_f32_e32 v18, v18, v19
	ds_bpermute_b32 v19, v39, v18
	v_xor_b32_e32 v21, 2, v12
	v_cmp_lt_i32_e32 vcc, v21, v13
	v_cndmask_b32_e32 v21, v12, v21, vcc
	v_lshlrev_b32_e32 v41, 2, v21
	s_waitcnt lgkmcnt(0)
	v_max_f32_e32 v19, v19, v19
	v_max_f32_e32 v18, v18, v19
	ds_bpermute_b32 v19, v40, v18
	v_cmp_lt_i32_e32 vcc, v22, v13
	v_cndmask_b32_e32 v12, v12, v22, vcc
	v_lshlrev_b32_e32 v42, 2, v12
	v_mov_b32_e32 v12, v17
	s_waitcnt lgkmcnt(0)
	v_max_f32_e32 v19, v19, v19
	v_max_f32_e32 v21, v18, v19
	ds_bpermute_b32 v23, v41, v21
	v_mov_b32_e32 v18, v9
	v_mov_b32_e32 v19, v10
	;; [unrolled: 1-line block ×4, first 2 shown]
	s_waitcnt lgkmcnt(0)
	v_max_f32_e32 v9, v23, v23
	v_max_f32_e32 v10, v21, v9
	ds_bpermute_b32 v21, v42, v10
	v_mov_b32_e32 v9, v4
	s_waitcnt lgkmcnt(0)
	v_max_f32_e32 v4, v21, v21
	v_max_f32_e32 v4, v10, v4
	v_sub_f32_e32 v14, v14, v4
	v_sub_f32_e32 v15, v15, v4
	v_mul_f32_e32 v17, 0x3fb8aa3b, v14
	v_sub_f32_e32 v16, v16, v4
	v_pk_add_f32 v[10:11], v[18:19], v[4:5] op_sel_hi:[1,0] neg_lo:[0,1] neg_hi:[0,1]
	v_mul_f32_e32 v18, 0x3fb8aa3b, v15
	v_fma_f32 v23, v14, s2, -v17
	v_rndne_f32_e32 v24, v17
	v_mul_f32_e32 v19, 0x3fb8aa3b, v16
	v_fma_f32 v25, v15, s2, -v18
	v_rndne_f32_e32 v26, v18
	v_fmac_f32_e32 v23, 0x32a5705f, v14
	v_sub_f32_e32 v17, v17, v24
	v_mul_f32_e32 v21, 0x3fb8aa3b, v11
	v_fma_f32 v27, v16, s2, -v19
	v_rndne_f32_e32 v28, v19
	v_fmac_f32_e32 v25, 0x32a5705f, v15
	v_sub_f32_e32 v18, v18, v26
	v_add_f32_e32 v17, v17, v23
	v_fma_f32 v29, v11, s2, -v21
	v_rndne_f32_e32 v30, v21
	v_cvt_i32_f32_e32 v24, v24
	v_fmac_f32_e32 v27, 0x32a5705f, v16
	v_sub_f32_e32 v19, v19, v28
	v_add_f32_e32 v18, v18, v25
	v_exp_f32_e32 v17, v17
	v_cvt_i32_f32_e32 v26, v26
	v_fmac_f32_e32 v29, 0x32a5705f, v11
	v_sub_f32_e32 v21, v21, v30
	v_add_f32_e32 v19, v19, v27
	v_exp_f32_e32 v18, v18
	v_cvt_i32_f32_e32 v28, v28
	v_add_f32_e32 v21, v21, v29
	v_exp_f32_e32 v19, v19
	v_cvt_i32_f32_e32 v30, v30
	v_exp_f32_e32 v21, v21
	v_mul_f32_e32 v22, 0x3fb8aa3b, v10
	v_ldexp_f32 v17, v17, v24
	v_cmp_ngt_f32_e32 vcc, s0, v14
	v_fma_f32 v31, v10, s2, -v22
	v_rndne_f32_e32 v32, v22
	v_ldexp_f32 v18, v18, v26
	v_cndmask_b32_e32 v17, 0, v17, vcc
	v_cmp_ngt_f32_e32 vcc, s0, v15
	v_fmac_f32_e32 v31, 0x32a5705f, v10
	v_sub_f32_e32 v22, v22, v32
	v_ldexp_f32 v19, v19, v28
	v_cndmask_b32_e32 v18, 0, v18, vcc
	v_cmp_ngt_f32_e32 vcc, s0, v16
	v_add_f32_e32 v22, v22, v31
	v_ldexp_f32 v21, v21, v30
	v_cndmask_b32_e32 v19, 0, v19, vcc
	v_cmp_ngt_f32_e32 vcc, s0, v11
	v_cvt_i32_f32_e32 v32, v32
	v_exp_f32_e32 v22, v22
	v_cndmask_b32_e32 v21, 0, v21, vcc
	v_cmp_nlt_f32_e32 vcc, s1, v14
	v_cndmask_b32_e32 v14, v20, v17, vcc
	v_cmp_nlt_f32_e32 vcc, s1, v15
	;; [unrolled: 2-line block ×3, first 2 shown]
	v_sub_f32_e32 v5, v5, v4
	v_cndmask_b32_e32 v16, v20, v19, vcc
	v_cmp_nlt_f32_e32 vcc, s1, v11
	v_mul_f32_e32 v19, 0x3fb8aa3b, v5
	v_cndmask_b32_e32 v11, v20, v21, vcc
	v_ldexp_f32 v18, v22, v32
	v_fma_f32 v21, v5, s2, -v19
	v_rndne_f32_e32 v22, v19
	v_fmac_f32_e32 v21, 0x32a5705f, v5
	v_sub_f32_e32 v19, v19, v22
	v_add_f32_e32 v19, v19, v21
	v_exp_f32_e32 v19, v19
	v_cvt_i32_f32_e32 v21, v22
	v_cmp_ngt_f32_e32 vcc, s0, v10
	v_cndmask_b32_e32 v18, 0, v18, vcc
	v_cmp_nlt_f32_e32 vcc, s1, v10
	v_sub_f32_e32 v6, v6, v4
	v_cndmask_b32_e32 v10, v20, v18, vcc
	v_ldexp_f32 v18, v19, v21
	v_mul_f32_e32 v19, 0x3fb8aa3b, v6
	v_fma_f32 v21, v6, s2, -v19
	v_rndne_f32_e32 v22, v19
	v_fmac_f32_e32 v21, 0x32a5705f, v6
	v_sub_f32_e32 v19, v19, v22
	v_add_f32_e32 v19, v19, v21
	v_exp_f32_e32 v19, v19
	v_cvt_i32_f32_e32 v21, v22
	v_cmp_ngt_f32_e32 vcc, s0, v5
	v_sub_f32_e32 v7, v7, v4
	v_cndmask_b32_e32 v18, 0, v18, vcc
	v_cmp_nlt_f32_e32 vcc, s1, v5
	v_ldexp_f32 v5, v19, v21
	v_mul_f32_e32 v19, 0x3fb8aa3b, v7
	v_fma_f32 v21, v7, s2, -v19
	v_rndne_f32_e32 v22, v19
	v_fmac_f32_e32 v21, 0x32a5705f, v7
	v_sub_f32_e32 v19, v19, v22
	v_add_f32_e32 v19, v19, v21
	v_exp_f32_e32 v19, v19
	v_cvt_i32_f32_e32 v21, v22
	v_cndmask_b32_e32 v18, v20, v18, vcc
	v_cmp_ngt_f32_e32 vcc, s0, v6
	v_cndmask_b32_e32 v5, 0, v5, vcc
	v_cmp_nlt_f32_e32 vcc, s1, v6
	v_cndmask_b32_e32 v22, v20, v5, vcc
	v_ldexp_f32 v5, v19, v21
	v_pk_add_f32 v[0:1], v[0:1], v[4:5] op_sel_hi:[1,0] neg_lo:[0,1] neg_hi:[0,1]
	v_mul_f32_e32 v6, 0x3fb8aa3b, v1
	v_fma_f32 v19, v1, s2, -v6
	v_rndne_f32_e32 v21, v6
	v_fmac_f32_e32 v19, 0x32a5705f, v1
	v_sub_f32_e32 v6, v6, v21
	v_add_f32_e32 v6, v6, v19
	v_exp_f32_e32 v6, v6
	v_cvt_i32_f32_e32 v19, v21
	v_cmp_ngt_f32_e32 vcc, s0, v7
	v_cndmask_b32_e32 v5, 0, v5, vcc
	v_cmp_nlt_f32_e32 vcc, s1, v7
	v_cndmask_b32_e32 v21, v20, v5, vcc
	v_ldexp_f32 v5, v6, v19
	v_mul_f32_e32 v6, 0x3fb8aa3b, v0
	v_fma_f32 v7, v0, s2, -v6
	v_rndne_f32_e32 v19, v6
	v_fmac_f32_e32 v7, 0x32a5705f, v0
	v_sub_f32_e32 v6, v6, v19
	v_add_f32_e32 v6, v6, v7
	v_exp_f32_e32 v6, v6
	v_cvt_i32_f32_e32 v7, v19
	v_cmp_ngt_f32_e32 vcc, s0, v1
	v_cndmask_b32_e32 v5, 0, v5, vcc
	v_cmp_nlt_f32_e32 vcc, s1, v1
	v_cndmask_b32_e32 v1, v20, v5, vcc
	v_ldexp_f32 v5, v6, v7
	v_pk_add_f32 v[2:3], v[2:3], v[4:5] op_sel_hi:[1,0] neg_lo:[0,1] neg_hi:[0,1]
	v_mul_f32_e32 v6, 0x3fb8aa3b, v3
	v_fma_f32 v7, v3, s2, -v6
	v_rndne_f32_e32 v19, v6
	v_fmac_f32_e32 v7, 0x32a5705f, v3
	v_sub_f32_e32 v6, v6, v19
	v_add_f32_e32 v6, v6, v7
	v_exp_f32_e32 v6, v6
	v_cvt_i32_f32_e32 v7, v19
	v_cmp_ngt_f32_e32 vcc, s0, v0
	v_cndmask_b32_e32 v5, 0, v5, vcc
	v_cmp_nlt_f32_e32 vcc, s1, v0
	v_cndmask_b32_e32 v0, v20, v5, vcc
	v_ldexp_f32 v5, v6, v7
	v_mul_f32_e32 v6, 0x3fb8aa3b, v2
	v_fma_f32 v7, v2, s2, -v6
	v_rndne_f32_e32 v19, v6
	v_fmac_f32_e32 v7, 0x32a5705f, v2
	v_sub_f32_e32 v6, v6, v19
	v_add_f32_e32 v6, v6, v7
	v_exp_f32_e32 v6, v6
	v_cvt_i32_f32_e32 v7, v19
	;; [unrolled: 27-line block ×3, first 2 shown]
	v_cmp_ngt_f32_e32 vcc, s0, v7
	v_cndmask_b32_e32 v5, 0, v5, vcc
	v_cmp_nlt_f32_e32 vcc, s1, v7
	v_cndmask_b32_e32 v7, v20, v5, vcc
	v_ldexp_f32 v5, v12, v13
	v_cmp_ngt_f32_e32 vcc, s0, v6
	v_cndmask_b32_e32 v5, 0, v5, vcc
	v_cmp_nlt_f32_e32 vcc, s1, v6
	v_cndmask_b32_e32 v6, v20, v5, vcc
	v_pk_add_f32 v[4:5], v[8:9], v[4:5] op_sel_hi:[1,0] neg_lo:[0,1] neg_hi:[0,1]
	v_mul_f32_e32 v8, 0x3fb8aa3b, v5
	v_fma_f32 v9, v5, s2, -v8
	v_rndne_f32_e32 v13, v8
	v_fmac_f32_e32 v9, 0x32a5705f, v5
	v_sub_f32_e32 v8, v8, v13
	v_add_f32_e32 v8, v8, v9
	v_exp_f32_e32 v8, v8
	v_cvt_i32_f32_e32 v9, v13
	v_add_f32_e32 v17, v14, v15
	v_add_f32_e32 v17, v17, v16
	;; [unrolled: 1-line block ×3, first 2 shown]
	v_ldexp_f32 v8, v8, v9
	v_mul_f32_e32 v9, 0x3fb8aa3b, v4
	v_fma_f32 v13, v4, s2, -v9
	v_rndne_f32_e32 v17, v9
	v_fmac_f32_e32 v13, 0x32a5705f, v4
	v_sub_f32_e32 v9, v9, v17
	v_add_f32_e32 v9, v9, v13
	v_exp_f32_e32 v9, v9
	v_cvt_i32_f32_e32 v13, v17
	v_cmp_ngt_f32_e32 vcc, s0, v5
	v_cndmask_b32_e32 v8, 0, v8, vcc
	v_cmp_nlt_f32_e32 vcc, s1, v5
	v_add_f32_e32 v12, v12, v7
	v_cndmask_b32_e32 v5, v20, v8, vcc
	v_ldexp_f32 v8, v9, v13
	v_cmp_ngt_f32_e32 vcc, s0, v4
	v_add_f32_e32 v12, v12, v10
	v_cndmask_b32_e32 v8, 0, v8, vcc
	v_cmp_nlt_f32_e32 vcc, s1, v4
	v_add_f32_e32 v12, v12, v11
	v_cndmask_b32_e32 v4, v20, v8, vcc
	v_add_f32_e32 v8, v12, v4
	v_add_f32_e32 v8, v8, v5
	;; [unrolled: 1-line block ×9, first 2 shown]
	ds_bpermute_b32 v9, v38, v8
	s_movk_i32 s2, 0x1f8
	s_waitcnt lgkmcnt(0)
	v_add_f32_e32 v8, v8, v9
	ds_bpermute_b32 v9, v39, v8
	s_waitcnt lgkmcnt(0)
	v_add_f32_e32 v8, v8, v9
	ds_bpermute_b32 v9, v40, v8
	;; [unrolled: 3-line block ×4, first 2 shown]
	s_waitcnt lgkmcnt(0)
	v_add_f32_e32 v8, v8, v9
	v_div_scale_f32 v9, s[0:1], v8, v8, 1.0
	v_rcp_f32_e32 v12, v9
	s_load_dwordx2 s[0:1], s[4:5], 0x40
	v_fma_f32 v13, -v9, v12, 1.0
	v_fmac_f32_e32 v12, v13, v12
	v_div_scale_f32 v13, vcc, 1.0, v8, 1.0
	v_mul_f32_e32 v17, v13, v12
	v_fma_f32 v19, -v9, v17, v13
	v_fmac_f32_e32 v17, v19, v12
	v_fma_f32 v9, -v9, v17, v13
	v_div_fmas_f32 v9, v9, v12, v17
	v_div_fixup_f32 v8, v9, v8, 1.0
	v_mul_f32_e32 v9, v8, v14
	v_mul_f32_e32 v19, v8, v15
	v_cmp_class_f32_e64 vcc, v9, s2
	v_mul_f32_e32 v20, v8, v16
	v_pk_mul_f32 v[14:15], v[8:9], v[0:1] op_sel_hi:[0,1]
	v_cndmask_b32_e32 v0, 0, v9, vcc
	v_cmp_class_f32_e64 vcc, v19, s2
	v_pk_mul_f32 v[6:7], v[8:9], v[6:7] op_sel_hi:[0,1]
	v_cndmask_b32_e32 v1, 0, v19, vcc
	v_cmp_class_f32_e64 vcc, v20, s2
	v_mov_b32_e32 v19, 0x207
	v_pk_mul_f32 v[16:17], v[8:9], v[2:3] op_sel_hi:[0,1]
	v_cndmask_b32_e32 v2, 0, v20, vcc
	v_cmp_class_f32_e32 vcc, v7, v19
	v_pk_mul_f32 v[10:11], v[8:9], v[10:11] op_sel_hi:[0,1]
	v_pk_mul_f32 v[12:13], v[8:9], v[4:5] op_sel_hi:[0,1]
	v_cndmask_b32_e64 v4, v7, 0, vcc
	v_cmp_class_f32_e32 vcc, v6, v19
	v_cndmask_b32_e64 v3, v6, 0, vcc
	v_cmp_class_f32_e32 vcc, v11, v19
	;; [unrolled: 2-line block ×4, first 2 shown]
	v_mul_f32_e32 v18, v8, v18
	v_mul_f32_e32 v22, v8, v22
	;; [unrolled: 1-line block ×3, first 2 shown]
	v_cndmask_b32_e64 v8, v13, 0, vcc
	v_cmp_class_f32_e32 vcc, v12, v19
	v_cndmask_b32_e64 v7, v12, 0, vcc
	v_cmp_class_f32_e64 vcc, v18, s2
	v_cndmask_b32_e32 v9, 0, v18, vcc
	v_cmp_class_f32_e64 vcc, v22, s2
	v_cndmask_b32_e32 v10, 0, v22, vcc
	;; [unrolled: 2-line block ×3, first 2 shown]
	v_cmp_class_f32_e32 vcc, v15, v19
	v_cndmask_b32_e64 v13, v15, 0, vcc
	v_cmp_class_f32_e32 vcc, v14, v19
	v_cndmask_b32_e64 v12, v14, 0, vcc
	;; [unrolled: 2-line block ×3, first 2 shown]
	v_cmp_class_f32_e32 vcc, v16, v19
	s_waitcnt lgkmcnt(0)
	s_cmp_eq_u64 s[0:1], 0
	v_cndmask_b32_e64 v14, v16, 0, vcc
	s_cbranch_scc1 .LBB19_27
; %bb.4:
	v_lshlrev_b32_e32 v32, 2, v43
	global_load_dwordx4 v[16:19], v32, s[0:1]
	global_load_dwordx4 v[20:23], v32, s[0:1] offset:512
	global_load_dwordx4 v[24:27], v32, s[0:1] offset:1024
	;; [unrolled: 1-line block ×3, first 2 shown]
	s_waitcnt vmcnt(3)
	v_pk_add_f32 v[16:17], v[16:17], v[0:1]
	v_pk_add_f32 v[18:19], v[18:19], v[2:3]
	s_waitcnt vmcnt(2)
	v_pk_add_f32 v[20:21], v[20:21], v[4:5]
	v_pk_add_f32 v[22:23], v[22:23], v[6:7]
	s_waitcnt vmcnt(1)
	v_pk_add_f32 v[24:25], v[24:25], v[8:9]
	v_pk_add_f32 v[26:27], v[26:27], v[10:11]
	s_waitcnt vmcnt(0)
	v_pk_add_f32 v[28:29], v[28:29], v[12:13]
	v_pk_add_f32 v[30:31], v[30:31], v[14:15]
	s_cbranch_execnz .LBB19_6
.LBB19_5:
	v_pk_mov_b32 v[30:31], v[14:15], v[14:15] op_sel:[0,1]
	v_pk_mov_b32 v[28:29], v[12:13], v[12:13] op_sel:[0,1]
	;; [unrolled: 1-line block ×8, first 2 shown]
.LBB19_6:
	s_load_dwordx4 s[8:11], s[4:5], 0x30
	s_mov_b32 s25, 0
	v_cmp_eq_u32_e64 s[0:1], 0, v37
	s_waitcnt lgkmcnt(0)
	s_bitcmp1_b32 s11, 0
	s_cselect_b64 vcc, -1, 0
	s_cmp_gt_i32 s8, 0
	s_cselect_b64 s[20:21], -1, 0
	s_cmp_lt_i32 s8, 1
	s_cbranch_scc1 .LBB19_28
; %bb.7:
	s_load_dwordx4 s[12:15], s[4:5], 0x20
	v_mul_lo_u32 v45, v33, s8
	v_mov_b32_e32 v44, 0
	v_mov_b32_e32 v46, 0x81
	;; [unrolled: 1-line block ×6, first 2 shown]
	v_bfrev_b32_e32 v51, 4.0
	v_bfrev_b32_e32 v52, -4.0
	v_mov_b32_e32 v53, 0x180
	v_mov_b32_e32 v54, 0x181
	;; [unrolled: 1-line block ×7, first 2 shown]
	s_branch .LBB19_10
.LBB19_8:                               ;   in Loop: Header=BB19_10 Depth=1
	s_or_b64 exec, exec, s[4:5]
.LBB19_9:                               ;   in Loop: Header=BB19_10 Depth=1
	s_cmp_eq_u32 s8, s25
	v_add_u32_e32 v59, s24, v59
	s_cbranch_scc1 .LBB19_29
.LBB19_10:                              ; =>This Inner Loop Header: Depth=1
	v_cmp_gt_f32_e64 s[2:3], v17, v16
	v_cndmask_b32_e64 v32, v16, v17, s[2:3]
	v_cndmask_b32_e64 v34, v0, v1, s[2:3]
	s_waitcnt lgkmcnt(0)
	v_cndmask_b32_e64 v35, 0, 1, s[2:3]
	v_cmp_gt_f32_e64 s[2:3], v18, v32
	v_cndmask_b32_e64 v32, v32, v18, s[2:3]
	v_cndmask_b32_e64 v34, v34, v2, s[2:3]
	;; [unrolled: 1-line block ×3, first 2 shown]
	v_cmp_gt_f32_e64 s[2:3], v19, v32
	v_cndmask_b32_e64 v32, v32, v19, s[2:3]
	v_cndmask_b32_e64 v34, v34, v3, s[2:3]
	;; [unrolled: 1-line block ×3, first 2 shown]
	v_cmp_gt_f32_e64 s[2:3], v20, v32
	v_cndmask_b32_e64 v32, v32, v20, s[2:3]
	v_mov_b32_e32 v36, 0x80
	v_cndmask_b32_e64 v34, v34, v4, s[2:3]
	v_cndmask_b32_e64 v35, v35, v36, s[2:3]
	v_cmp_gt_f32_e64 s[2:3], v21, v32
	v_cndmask_b32_e64 v32, v32, v21, s[2:3]
	v_cndmask_b32_e64 v34, v34, v5, s[2:3]
	v_cndmask_b32_e64 v35, v35, v46, s[2:3]
	v_cmp_gt_f32_e64 s[2:3], v22, v32
	v_cndmask_b32_e64 v32, v32, v22, s[2:3]
	;; [unrolled: 4-line block ×11, first 2 shown]
	v_cndmask_b32_e64 v32, v32, v31, s[2:3]
	v_or_b32_e32 v35, v43, v35
	ds_bpermute_b32 v36, v38, v32
	ds_bpermute_b32 v60, v38, v35
	v_cndmask_b32_e64 v34, v34, v15, s[2:3]
	ds_bpermute_b32 v62, v38, v34
	s_waitcnt lgkmcnt(0)
	v_cmp_eq_f32_e64 s[4:5], v32, v36
	v_cmp_lt_i32_e64 s[6:7], v60, v35
	v_cmp_lt_f32_e64 s[2:3], v32, v36
	s_and_b64 s[4:5], s[4:5], s[6:7]
	s_or_b64 s[2:3], s[2:3], s[4:5]
	v_cndmask_b32_e64 v61, v35, v60, s[2:3]
	v_cndmask_b32_e64 v60, v32, v36, s[2:3]
	;; [unrolled: 1-line block ×3, first 2 shown]
	ds_bpermute_b32 v63, v39, v60
	ds_bpermute_b32 v36, v39, v32
	;; [unrolled: 1-line block ×3, first 2 shown]
                                        ; implicit-def: $vgpr34_vgpr35
	s_waitcnt lgkmcnt(2)
	v_cmp_lt_f32_e64 s[6:7], v60, v63
	v_cmp_nlt_f32_e64 s[2:3], v60, v63
	s_and_saveexec_b64 s[22:23], s[2:3]
	s_cbranch_execz .LBB19_12
; %bb.11:                               ;   in Loop: Header=BB19_10 Depth=1
	v_cmp_eq_f32_e64 s[2:3], v60, v63
	s_waitcnt lgkmcnt(0)
	v_cmp_lt_i32_e64 s[4:5], v62, v61
	s_and_b64 s[2:3], s[2:3], s[4:5]
	s_andn2_b64 s[4:5], s[6:7], exec
	s_and_b64 s[2:3], s[2:3], exec
	s_or_b64 s[6:7], s[4:5], s[2:3]
	v_pk_mov_b32 v[34:35], v[32:33], v[32:33] op_sel:[0,1]
.LBB19_12:                              ;   in Loop: Header=BB19_10 Depth=1
	s_or_b64 exec, exec, s[22:23]
	s_and_saveexec_b64 s[2:3], s[6:7]
	s_cbranch_execz .LBB19_14
; %bb.13:                               ;   in Loop: Header=BB19_10 Depth=1
	v_mov_b32_e32 v60, v63
	s_waitcnt lgkmcnt(1)
	v_mov_b32_e32 v32, v36
	s_waitcnt lgkmcnt(0)
	v_mov_b32_e32 v61, v62
	v_pk_mov_b32 v[34:35], v[36:37], v[36:37] op_sel:[0,1]
.LBB19_14:                              ;   in Loop: Header=BB19_10 Depth=1
	s_or_b64 exec, exec, s[2:3]
	s_waitcnt lgkmcnt(0)
	ds_bpermute_b32 v62, v40, v60
	ds_bpermute_b32 v36, v40, v32
	ds_bpermute_b32 v35, v40, v61
	s_waitcnt lgkmcnt(2)
	v_cmp_lt_f32_e64 s[6:7], v60, v62
	v_cmp_nlt_f32_e64 s[2:3], v60, v62
	s_and_saveexec_b64 s[22:23], s[2:3]
	s_cbranch_execz .LBB19_16
; %bb.15:                               ;   in Loop: Header=BB19_10 Depth=1
	v_cmp_eq_f32_e64 s[2:3], v60, v62
	s_waitcnt lgkmcnt(0)
	v_cmp_lt_i32_e64 s[4:5], v35, v61
	s_and_b64 s[2:3], s[2:3], s[4:5]
	s_andn2_b64 s[4:5], s[6:7], exec
	s_and_b64 s[2:3], s[2:3], exec
	s_or_b64 s[6:7], s[4:5], s[2:3]
.LBB19_16:                              ;   in Loop: Header=BB19_10 Depth=1
	s_or_b64 exec, exec, s[22:23]
	s_and_saveexec_b64 s[2:3], s[6:7]
	s_cbranch_execz .LBB19_18
; %bb.17:                               ;   in Loop: Header=BB19_10 Depth=1
	v_mov_b32_e32 v60, v62
	s_waitcnt lgkmcnt(1)
	v_mov_b32_e32 v32, v36
	s_waitcnt lgkmcnt(0)
	v_mov_b32_e32 v61, v35
	v_pk_mov_b32 v[34:35], v[36:37], v[36:37] op_sel:[0,1]
.LBB19_18:                              ;   in Loop: Header=BB19_10 Depth=1
	s_or_b64 exec, exec, s[2:3]
	ds_bpermute_b32 v62, v41, v60
	s_waitcnt lgkmcnt(2)
	ds_bpermute_b32 v36, v41, v32
	s_waitcnt lgkmcnt(2)
	;; [unrolled: 2-line block ×3, first 2 shown]
	v_cmp_lt_f32_e64 s[6:7], v60, v62
	v_cmp_nlt_f32_e64 s[2:3], v60, v62
	s_and_saveexec_b64 s[22:23], s[2:3]
	s_cbranch_execz .LBB19_20
; %bb.19:                               ;   in Loop: Header=BB19_10 Depth=1
	v_cmp_eq_f32_e64 s[2:3], v60, v62
	s_waitcnt lgkmcnt(0)
	v_cmp_lt_i32_e64 s[4:5], v35, v61
	s_and_b64 s[2:3], s[2:3], s[4:5]
	s_andn2_b64 s[4:5], s[6:7], exec
	s_and_b64 s[2:3], s[2:3], exec
	s_or_b64 s[6:7], s[4:5], s[2:3]
.LBB19_20:                              ;   in Loop: Header=BB19_10 Depth=1
	s_or_b64 exec, exec, s[22:23]
	s_and_saveexec_b64 s[2:3], s[6:7]
	s_cbranch_execz .LBB19_22
; %bb.21:                               ;   in Loop: Header=BB19_10 Depth=1
	v_mov_b32_e32 v60, v62
	s_waitcnt lgkmcnt(1)
	v_mov_b32_e32 v32, v36
	s_waitcnt lgkmcnt(0)
	v_mov_b32_e32 v61, v35
	v_pk_mov_b32 v[34:35], v[36:37], v[36:37] op_sel:[0,1]
.LBB19_22:                              ;   in Loop: Header=BB19_10 Depth=1
	s_or_b64 exec, exec, s[2:3]
	s_waitcnt lgkmcnt(1)
	ds_bpermute_b32 v36, v42, v60
	ds_bpermute_b32 v62, v42, v61
	s_waitcnt lgkmcnt(2)
	ds_bpermute_b32 v35, v42, v32
	s_waitcnt lgkmcnt(2)
	v_cmp_eq_f32_e64 s[4:5], v60, v36
	s_waitcnt lgkmcnt(1)
	v_cmp_lt_i32_e64 s[6:7], v62, v61
	v_cmp_lt_f32_e64 s[2:3], v60, v36
	s_and_b64 s[4:5], s[4:5], s[6:7]
	s_or_b64 s[2:3], s[2:3], s[4:5]
	v_cndmask_b32_e64 v32, v61, v62, s[2:3]
	s_and_saveexec_b64 s[6:7], s[0:1]
	s_cbranch_execnz .LBB19_24
; %bb.23:                               ;   in Loop: Header=BB19_10 Depth=1
	s_or_b64 exec, exec, s[6:7]
	s_add_i32 s25, s25, 1
	s_cmp_ge_i32 s25, s8
	s_cbranch_scc1 .LBB19_9
	s_branch .LBB19_25
.LBB19_24:                              ;   in Loop: Header=BB19_10 Depth=1
	s_waitcnt lgkmcnt(0)
	v_cndmask_b32_e64 v36, v34, v35, s[2:3]
	v_add_u32_e32 v34, s25, v45
	v_ashrrev_i32_e32 v35, 31, v34
	v_cmp_le_i32_e64 s[2:3], s9, v32
	v_cmp_gt_i32_e64 s[4:5], s10, v32
	v_lshlrev_b64 v[34:35], 2, v[34:35]
	s_and_b64 s[4:5], s[2:3], s[4:5]
	v_mov_b32_e32 v61, s17
	v_add_co_u32_e64 v60, s[2:3], s16, v34
	v_addc_co_u32_e64 v61, s[2:3], v61, v35, s[2:3]
	global_store_dword v[60:61], v36, off
	v_subrev_u32_e32 v60, s9, v32
	s_and_b64 s[2:3], s[18:19], s[4:5]
	v_cndmask_b32_e64 v62, v57, v60, s[2:3]
	v_mov_b32_e32 v61, s13
	v_add_co_u32_e64 v60, s[2:3], s12, v34
	v_addc_co_u32_e64 v61, s[2:3], v61, v35, s[2:3]
	global_store_dword v[60:61], v62, off
	v_mov_b32_e32 v60, s15
	v_add_co_u32_e64 v34, s[2:3], s14, v34
	v_addc_co_u32_e64 v35, s[2:3], v60, v35, s[2:3]
	global_store_dword v[34:35], v59, off
	v_add_f32_e32 v34, v44, v36
	v_cndmask_b32_e32 v44, v44, v34, vcc
	s_or_b64 exec, exec, s[6:7]
	s_add_i32 s25, s25, 1
	s_cmp_ge_i32 s25, s8
	s_cbranch_scc1 .LBB19_9
.LBB19_25:                              ;   in Loop: Header=BB19_10 Depth=1
	s_waitcnt lgkmcnt(0)
	v_ashrrev_i32_e32 v35, 31, v32
	v_lshrrev_b32_e32 v34, 30, v35
	v_add_u32_e32 v36, v32, v34
	v_ashrrev_i32_e32 v34, 2, v36
	v_ashrrev_i32_e32 v36, 31, v36
	v_lshrrev_b32_e32 v36, 27, v36
	v_add_u32_e32 v36, v34, v36
	v_and_b32_e32 v36, 0xffffffe0, v36
	v_sub_u32_e32 v36, v34, v36
	v_cmp_eq_u32_e64 s[2:3], v37, v36
	s_and_saveexec_b64 s[4:5], s[2:3]
	s_cbranch_execz .LBB19_8
; %bb.26:                               ;   in Loop: Header=BB19_10 Depth=1
	v_lshrrev_b32_e32 v35, 25, v35
	v_add_u32_e32 v35, v32, v35
	v_lshlrev_b32_e32 v34, 2, v34
	v_ashrrev_i32_e32 v35, 7, v35
	v_sub_u32_e32 v32, v32, v34
	v_lshl_add_u32 v32, v35, 2, v32
	v_cmp_ne_u32_e64 s[2:3], 15, v32
	v_cndmask_b32_e64 v31, v58, v31, s[2:3]
	v_cmp_ne_u32_e64 s[2:3], 14, v32
	v_cndmask_b32_e64 v30, v58, v30, s[2:3]
	;; [unrolled: 2-line block ×16, first 2 shown]
	s_branch .LBB19_8
.LBB19_27:
                                        ; implicit-def: $vgpr16_vgpr17_vgpr18_vgpr19_vgpr20_vgpr21_vgpr22_vgpr23_vgpr24_vgpr25_vgpr26_vgpr27_vgpr28_vgpr29_vgpr30_vgpr31
	s_andn2_b64 vcc, exec, s[6:7]
	s_cbranch_vccz .LBB19_5
	s_branch .LBB19_6
.LBB19_28:
	v_mov_b32_e32 v44, 0
.LBB19_29:
	v_cmp_eq_u32_e64 s[0:1], 0, v37
	s_and_b64 s[0:1], s[0:1], vcc
	s_and_b64 exec, exec, s[0:1]
	s_cbranch_execz .LBB19_38
; %bb.30:
	s_andn2_b64 vcc, exec, s[20:21]
	s_cbranch_vccnz .LBB19_38
; %bb.31:
	v_cmp_lt_f32_e32 vcc, 0, v44
	s_mov_b32 s2, 0
	v_cndmask_b32_e32 v0, 1.0, v44, vcc
	v_mul_lo_u32 v4, v33, s8
	s_cmp_eq_u32 s8, 1
	s_mov_b64 s[0:1], -1
	s_cbranch_scc1 .LBB19_35
; %bb.32:
	s_and_b32 s2, s8, 0x7ffffffe
	v_mov_b32_e32 v1, v0
	v_mov_b32_e32 v5, s17
	s_mov_b32 s3, s2
	v_mov_b32_e32 v2, v4
.LBB19_33:                              ; =>This Inner Loop Header: Depth=1
	v_ashrrev_i32_e32 v3, 31, v2
	v_lshlrev_b64 v[6:7], 2, v[2:3]
	v_add_co_u32_e32 v6, vcc, s16, v6
	v_addc_co_u32_e32 v7, vcc, v5, v7, vcc
	global_load_dwordx2 v[8:9], v[6:7], off
	s_add_i32 s3, s3, -2
	s_cmp_lg_u32 s3, 0
	v_add_u32_e32 v2, 2, v2
	s_waitcnt vmcnt(0)
	v_div_scale_f32 v3, s[0:1], v1, v1, v9
	v_div_scale_f32 v11, s[0:1], v0, v0, v8
	v_rcp_f32_e32 v12, v3
	v_rcp_f32_e32 v13, v11
	v_div_scale_f32 v10, vcc, v9, v1, v9
	v_fma_f32 v15, -v3, v12, 1.0
	v_fma_f32 v16, -v11, v13, 1.0
	v_fmac_f32_e32 v12, v15, v12
	v_div_scale_f32 v14, s[0:1], v8, v0, v8
	v_fmac_f32_e32 v13, v16, v13
	v_mul_f32_e32 v15, v10, v12
	v_mul_f32_e32 v16, v14, v13
	v_fma_f32 v17, -v3, v15, v10
	v_fma_f32 v18, -v11, v16, v14
	v_fmac_f32_e32 v15, v17, v12
	v_fmac_f32_e32 v16, v18, v13
	v_fma_f32 v3, -v3, v15, v10
	v_fma_f32 v10, -v11, v16, v14
	v_div_fmas_f32 v3, v3, v12, v15
	s_mov_b64 vcc, s[0:1]
	v_div_fixup_f32 v9, v3, v1, v9
	v_div_fmas_f32 v3, v10, v13, v16
	v_div_fixup_f32 v8, v3, v0, v8
	global_store_dwordx2 v[6:7], v[8:9], off
	s_cbranch_scc1 .LBB19_33
; %bb.34:
	s_cmp_lg_u32 s2, s8
	s_cselect_b64 s[0:1], -1, 0
.LBB19_35:
	s_and_b64 vcc, exec, s[0:1]
	s_cbranch_vccz .LBB19_38
; %bb.36:
	v_ashrrev_i32_e32 v1, 31, v4
	v_add_co_u32_e32 v2, vcc, s2, v4
	v_addc_co_u32_e32 v3, vcc, 0, v1, vcc
	v_lshlrev_b64 v[2:3], 2, v[2:3]
	v_mov_b32_e32 v1, s17
	v_add_co_u32_e32 v2, vcc, s16, v2
	s_sub_i32 s0, s8, s2
	v_addc_co_u32_e32 v3, vcc, v1, v3, vcc
.LBB19_37:                              ; =>This Inner Loop Header: Depth=1
	global_load_dword v1, v[2:3], off
	s_add_i32 s0, s0, -1
	s_cmp_lg_u32 s0, 0
	s_waitcnt vmcnt(0)
	v_div_scale_f32 v4, s[2:3], v0, v0, v1
	v_rcp_f32_e32 v5, v4
	v_div_scale_f32 v6, vcc, v1, v0, v1
	v_fma_f32 v7, -v4, v5, 1.0
	v_fmac_f32_e32 v5, v7, v5
	v_mul_f32_e32 v7, v6, v5
	v_fma_f32 v8, -v4, v7, v6
	v_fmac_f32_e32 v7, v8, v5
	v_fma_f32 v4, -v4, v7, v6
	v_div_fmas_f32 v4, v4, v5, v7
	v_div_fixup_f32 v1, v4, v0, v1
	global_store_dword v[2:3], v1, off
	v_add_co_u32_e32 v2, vcc, 4, v2
	v_addc_co_u32_e32 v3, vcc, 0, v3, vcc
	s_cbranch_scc1 .LBB19_37
.LBB19_38:
	s_endpgm
	.section	.rodata,"a",@progbits
	.p2align	6, 0x0
	.amdhsa_kernel _ZN4vllm3moe10topkGatingILi16ELi512ELi4ELi16ELi32EifLNS0_11ScoringFuncE0EEEvPKT5_PKbPfiPT4_PiiiibPKf
		.amdhsa_group_segment_fixed_size 0
		.amdhsa_private_segment_fixed_size 0
		.amdhsa_kernarg_size 72
		.amdhsa_user_sgpr_count 6
		.amdhsa_user_sgpr_private_segment_buffer 1
		.amdhsa_user_sgpr_dispatch_ptr 0
		.amdhsa_user_sgpr_queue_ptr 0
		.amdhsa_user_sgpr_kernarg_segment_ptr 1
		.amdhsa_user_sgpr_dispatch_id 0
		.amdhsa_user_sgpr_flat_scratch_init 0
		.amdhsa_user_sgpr_kernarg_preload_length 0
		.amdhsa_user_sgpr_kernarg_preload_offset 0
		.amdhsa_user_sgpr_private_segment_size 0
		.amdhsa_uses_dynamic_stack 0
		.amdhsa_system_sgpr_private_segment_wavefront_offset 0
		.amdhsa_system_sgpr_workgroup_id_x 1
		.amdhsa_system_sgpr_workgroup_id_y 0
		.amdhsa_system_sgpr_workgroup_id_z 0
		.amdhsa_system_sgpr_workgroup_info 0
		.amdhsa_system_vgpr_workitem_id 1
		.amdhsa_next_free_vgpr 64
		.amdhsa_next_free_sgpr 26
		.amdhsa_accum_offset 64
		.amdhsa_reserve_vcc 1
		.amdhsa_reserve_flat_scratch 0
		.amdhsa_float_round_mode_32 0
		.amdhsa_float_round_mode_16_64 0
		.amdhsa_float_denorm_mode_32 3
		.amdhsa_float_denorm_mode_16_64 3
		.amdhsa_dx10_clamp 1
		.amdhsa_ieee_mode 1
		.amdhsa_fp16_overflow 0
		.amdhsa_tg_split 0
		.amdhsa_exception_fp_ieee_invalid_op 0
		.amdhsa_exception_fp_denorm_src 0
		.amdhsa_exception_fp_ieee_div_zero 0
		.amdhsa_exception_fp_ieee_overflow 0
		.amdhsa_exception_fp_ieee_underflow 0
		.amdhsa_exception_fp_ieee_inexact 0
		.amdhsa_exception_int_div_zero 0
	.end_amdhsa_kernel
	.section	.text._ZN4vllm3moe10topkGatingILi16ELi512ELi4ELi16ELi32EifLNS0_11ScoringFuncE0EEEvPKT5_PKbPfiPT4_PiiiibPKf,"axG",@progbits,_ZN4vllm3moe10topkGatingILi16ELi512ELi4ELi16ELi32EifLNS0_11ScoringFuncE0EEEvPKT5_PKbPfiPT4_PiiiibPKf,comdat
.Lfunc_end19:
	.size	_ZN4vllm3moe10topkGatingILi16ELi512ELi4ELi16ELi32EifLNS0_11ScoringFuncE0EEEvPKT5_PKbPfiPT4_PiiiibPKf, .Lfunc_end19-_ZN4vllm3moe10topkGatingILi16ELi512ELi4ELi16ELi32EifLNS0_11ScoringFuncE0EEEvPKT5_PKbPfiPT4_PiiiibPKf
                                        ; -- End function
	.section	.AMDGPU.csdata,"",@progbits
; Kernel info:
; codeLenInByte = 4684
; NumSgprs: 30
; NumVgprs: 64
; NumAgprs: 0
; TotalNumVgprs: 64
; ScratchSize: 0
; MemoryBound: 0
; FloatMode: 240
; IeeeMode: 1
; LDSByteSize: 0 bytes/workgroup (compile time only)
; SGPRBlocks: 3
; VGPRBlocks: 7
; NumSGPRsForWavesPerEU: 30
; NumVGPRsForWavesPerEU: 64
; AccumOffset: 64
; Occupancy: 8
; WaveLimiterHint : 1
; COMPUTE_PGM_RSRC2:SCRATCH_EN: 0
; COMPUTE_PGM_RSRC2:USER_SGPR: 6
; COMPUTE_PGM_RSRC2:TRAP_HANDLER: 0
; COMPUTE_PGM_RSRC2:TGID_X_EN: 1
; COMPUTE_PGM_RSRC2:TGID_Y_EN: 0
; COMPUTE_PGM_RSRC2:TGID_Z_EN: 0
; COMPUTE_PGM_RSRC2:TIDIG_COMP_CNT: 1
; COMPUTE_PGM_RSRC3_GFX90A:ACCUM_OFFSET: 15
; COMPUTE_PGM_RSRC3_GFX90A:TG_SPLIT: 0
	.section	.text._ZN4vllm3moe10moeSoftmaxILi256EfEEvPKT0_PKbPfi,"axG",@progbits,_ZN4vllm3moe10moeSoftmaxILi256EfEEvPKT0_PKbPfi,comdat
	.protected	_ZN4vllm3moe10moeSoftmaxILi256EfEEvPKT0_PKbPfi ; -- Begin function _ZN4vllm3moe10moeSoftmaxILi256EfEEvPKT0_PKbPfi
	.globl	_ZN4vllm3moe10moeSoftmaxILi256EfEEvPKT0_PKbPfi
	.p2align	8
	.type	_ZN4vllm3moe10moeSoftmaxILi256EfEEvPKT0_PKbPfi,@function
_ZN4vllm3moe10moeSoftmaxILi256EfEEvPKT0_PKbPfi: ; @_ZN4vllm3moe10moeSoftmaxILi256EfEEvPKT0_PKbPfi
; %bb.0:
	s_load_dwordx4 s[8:11], s[4:5], 0x0
	s_waitcnt lgkmcnt(0)
	s_cmp_eq_u64 s[10:11], 0
	s_cselect_b64 s[0:1], -1, 0
	s_and_b64 vcc, exec, s[0:1]
	s_cbranch_vccnz .LBB20_2
; %bb.1:
	v_mov_b32_e32 v1, s6
	global_load_ubyte v1, v1, s[10:11]
	s_waitcnt vmcnt(0)
	v_and_b32_e32 v1, 1, v1
	v_cmp_eq_u32_e32 vcc, 1, v1
	s_xor_b64 s[0:1], vcc, -1
.LBB20_2:
	s_andn2_b64 vcc, exec, s[0:1]
	s_cbranch_vccnz .LBB20_26
; %bb.3:
	s_load_dword s16, s[4:5], 0x18
	s_load_dwordx2 s[10:11], s[4:5], 0x10
	v_mov_b32_e32 v6, 0xff7fffff
	s_waitcnt lgkmcnt(0)
	s_mul_i32 s6, s6, s16
	v_add_u32_e32 v2, s6, v0
	v_cmp_gt_i32_e64 s[0:1], s16, v0
	v_ashrrev_i32_e32 v3, 31, v2
	s_and_saveexec_b64 s[2:3], s[0:1]
	s_cbranch_execz .LBB20_7
; %bb.4:
	v_lshlrev_b64 v[4:5], 2, v[2:3]
	v_mov_b32_e32 v1, s9
	v_add_co_u32_e32 v4, vcc, s8, v4
	v_addc_co_u32_e32 v5, vcc, v1, v5, vcc
	s_mov_b64 s[4:5], 0
	v_mov_b32_e32 v6, 0xff7fffff
	v_mov_b32_e32 v1, v0
.LBB20_5:                               ; =>This Inner Loop Header: Depth=1
	global_load_dword v7, v[4:5], off
	v_add_co_u32_e32 v4, vcc, 0x400, v4
	v_add_u32_e32 v1, 0x100, v1
	v_addc_co_u32_e32 v5, vcc, 0, v5, vcc
	v_max_f32_e32 v6, v6, v6
	v_cmp_le_i32_e32 vcc, s16, v1
	s_or_b64 s[4:5], vcc, s[4:5]
	s_waitcnt vmcnt(0)
	v_max_f32_e32 v7, v7, v7
	v_max_f32_e32 v6, v7, v6
	s_andn2_b64 exec, exec, s[4:5]
	s_cbranch_execnz .LBB20_5
; %bb.6:
	s_or_b64 exec, exec, s[4:5]
.LBB20_7:
	s_or_b64 exec, exec, s[2:3]
	v_mov_b32_dpp v4, v6 quad_perm:[1,0,3,2] row_mask:0xf bank_mask:0xf
	v_cmp_gt_f32_e32 vcc, v6, v4
	v_cndmask_b32_e32 v4, v4, v6, vcc
	v_mbcnt_lo_u32_b32 v1, -1, 0
	v_mbcnt_hi_u32_b32 v1, -1, v1
	v_mov_b32_dpp v5, v4 quad_perm:[2,3,0,1] row_mask:0xf bank_mask:0xf
	v_cmp_gt_f32_e32 vcc, v4, v5
	v_cndmask_b32_e32 v4, v5, v4, vcc
	v_cmp_eq_u32_e64 s[2:3], 0, v1
	v_lshrrev_b32_e32 v7, 4, v0
	v_mov_b32_dpp v5, v4 row_ror:4 row_mask:0xf bank_mask:0xf
	v_cmp_gt_f32_e32 vcc, v4, v5
	v_cndmask_b32_e32 v4, v5, v4, vcc
	s_nop 1
	v_mov_b32_dpp v5, v4 row_ror:8 row_mask:0xf bank_mask:0xf
	v_cmp_gt_f32_e32 vcc, v4, v5
	v_cndmask_b32_e32 v4, v5, v4, vcc
	s_nop 1
	v_mov_b32_dpp v5, v4 row_bcast:15 row_mask:0xf bank_mask:0xf
	v_cmp_gt_f32_e32 vcc, v4, v5
	v_cndmask_b32_e32 v4, v5, v4, vcc
	s_nop 1
	v_mov_b32_dpp v5, v4 row_bcast:31 row_mask:0xf bank_mask:0xf
	v_cmp_gt_f32_e32 vcc, v4, v5
	v_cndmask_b32_e32 v4, v5, v4, vcc
	v_bfrev_b32_e32 v5, 0.5
	v_lshl_or_b32 v8, v1, 2, v5
	ds_bpermute_b32 v4, v8, v4
	s_and_saveexec_b64 s[4:5], s[2:3]
	s_cbranch_execz .LBB20_9
; %bb.8:
	v_and_b32_e32 v5, 12, v7
	s_waitcnt lgkmcnt(0)
	ds_write_b32 v5, v4
.LBB20_9:
	s_or_b64 exec, exec, s[4:5]
	v_cmp_gt_u32_e64 s[4:5], 64, v0
	v_and_b32_e32 v6, 3, v1
	s_waitcnt lgkmcnt(0)
	s_barrier
	s_and_saveexec_b64 s[6:7], s[4:5]
	s_cbranch_execz .LBB20_11
; %bb.10:
	v_lshlrev_b32_e32 v4, 2, v6
	ds_read_b32 v4, v4
	v_cmp_ne_u32_e32 vcc, 3, v6
	v_addc_co_u32_e32 v5, vcc, 0, v1, vcc
	v_lshlrev_b32_e32 v5, 2, v5
	s_waitcnt lgkmcnt(0)
	ds_bpermute_b32 v5, v5, v4
	v_cmp_gt_u32_e32 vcc, 2, v6
	v_cndmask_b32_e64 v9, 0, 1, vcc
	v_lshlrev_b32_e32 v9, 1, v9
	s_waitcnt lgkmcnt(0)
	v_cmp_lt_f32_e32 vcc, v4, v5
	v_cndmask_b32_e32 v4, v4, v5, vcc
	v_add_lshl_u32 v5, v9, v1, 2
	ds_bpermute_b32 v5, v5, v4
	s_waitcnt lgkmcnt(0)
	v_cmp_lt_f32_e32 vcc, v4, v5
	v_cndmask_b32_e32 v4, v4, v5, vcc
.LBB20_11:
	s_or_b64 exec, exec, s[6:7]
	v_cmp_eq_u32_e64 s[6:7], 0, v0
	s_and_saveexec_b64 s[12:13], s[6:7]
	s_cbranch_execz .LBB20_13
; %bb.12:
	v_mov_b32_e32 v5, 0
	ds_write_b32 v5, v4 offset:20
.LBB20_13:
	s_or_b64 exec, exec, s[12:13]
	v_mov_b32_e32 v9, 0
	s_waitcnt lgkmcnt(0)
	s_barrier
	s_and_saveexec_b64 s[12:13], s[0:1]
	s_cbranch_execz .LBB20_17
; %bb.14:
	v_mov_b32_e32 v9, 0
	ds_read_b32 v10, v9 offset:20
	v_lshlrev_b64 v[4:5], 2, v[2:3]
	v_mov_b32_e32 v11, s9
	v_add_co_u32_e32 v4, vcc, s8, v4
	v_addc_co_u32_e32 v5, vcc, v11, v5, vcc
	s_mov_b64 s[14:15], 0
	s_mov_b32 s17, 0x3fb8aa3b
	s_mov_b32 s18, 0xc2ce8ed0
	;; [unrolled: 1-line block ×3, first 2 shown]
	v_mov_b32_e32 v11, 0x7f800000
	v_mov_b32_e32 v12, v0
.LBB20_15:                              ; =>This Inner Loop Header: Depth=1
	global_load_dword v13, v[4:5], off
	v_add_co_u32_e32 v4, vcc, 0x400, v4
	v_add_u32_e32 v12, 0x100, v12
	v_addc_co_u32_e32 v5, vcc, 0, v5, vcc
	v_cmp_le_i32_e32 vcc, s16, v12
	s_or_b64 s[14:15], vcc, s[14:15]
	s_waitcnt vmcnt(0) lgkmcnt(0)
	v_sub_f32_e32 v13, v13, v10
	v_mul_f32_e32 v14, 0x3fb8aa3b, v13
	v_fma_f32 v15, v13, s17, -v14
	v_rndne_f32_e32 v16, v14
	v_fmac_f32_e32 v15, 0x32a5705f, v13
	v_sub_f32_e32 v14, v14, v16
	v_add_f32_e32 v14, v14, v15
	v_cvt_i32_f32_e32 v16, v16
	v_exp_f32_e32 v14, v14
	v_cmp_ngt_f32_e32 vcc, s18, v13
	v_ldexp_f32 v14, v14, v16
	v_cndmask_b32_e32 v14, 0, v14, vcc
	v_cmp_nlt_f32_e32 vcc, s19, v13
	v_cndmask_b32_e32 v13, v11, v14, vcc
	v_add_f32_e32 v9, v9, v13
	s_andn2_b64 exec, exec, s[14:15]
	s_cbranch_execnz .LBB20_15
; %bb.16:
	s_or_b64 exec, exec, s[14:15]
.LBB20_17:
	s_or_b64 exec, exec, s[12:13]
	v_mov_b32_dpp v4, v9 quad_perm:[1,0,3,2] row_mask:0xf bank_mask:0xf
	v_add_f32_e32 v4, v9, v4
	s_nop 1
	v_mov_b32_dpp v5, v4 quad_perm:[2,3,0,1] row_mask:0xf bank_mask:0xf
	v_add_f32_e32 v4, v4, v5
	s_nop 1
	v_mov_b32_dpp v5, v4 row_ror:4 row_mask:0xf bank_mask:0xf
	v_add_f32_e32 v4, v4, v5
	s_nop 1
	v_mov_b32_dpp v5, v4 row_ror:8 row_mask:0xf bank_mask:0xf
	v_add_f32_e32 v4, v4, v5
	s_nop 1
	v_mov_b32_dpp v5, v4 row_bcast:15 row_mask:0xf bank_mask:0xf
	v_add_f32_e32 v4, v4, v5
	s_nop 1
	v_mov_b32_dpp v5, v4 row_bcast:31 row_mask:0xf bank_mask:0xf
	v_add_f32_e32 v4, v4, v5
	ds_bpermute_b32 v4, v8, v4
	s_and_saveexec_b64 s[12:13], s[2:3]
	s_cbranch_execz .LBB20_19
; %bb.18:
	v_and_b32_e32 v5, 12, v7
	s_waitcnt lgkmcnt(0)
	ds_write_b32 v5, v4
.LBB20_19:
	s_or_b64 exec, exec, s[12:13]
	s_waitcnt lgkmcnt(0)
	s_barrier
	s_and_saveexec_b64 s[2:3], s[4:5]
	s_cbranch_execz .LBB20_21
; %bb.20:
	v_lshlrev_b32_e32 v4, 2, v6
	ds_read_b32 v4, v4
	v_cmp_ne_u32_e32 vcc, 3, v6
	v_addc_co_u32_e32 v5, vcc, 0, v1, vcc
	v_lshlrev_b32_e32 v5, 2, v5
	s_waitcnt lgkmcnt(0)
	ds_bpermute_b32 v5, v5, v4
	v_cmp_gt_u32_e32 vcc, 2, v6
	v_cndmask_b32_e64 v6, 0, 1, vcc
	v_lshlrev_b32_e32 v6, 1, v6
	v_add_lshl_u32 v1, v6, v1, 2
	s_waitcnt lgkmcnt(0)
	v_add_f32_e32 v4, v4, v5
	ds_bpermute_b32 v1, v1, v4
	s_waitcnt lgkmcnt(0)
	v_add_f32_e32 v4, v4, v1
.LBB20_21:
	s_or_b64 exec, exec, s[2:3]
	s_and_saveexec_b64 s[2:3], s[6:7]
	s_cbranch_execz .LBB20_23
; %bb.22:
	v_div_scale_f32 v1, s[4:5], v4, v4, 1.0
	v_rcp_f32_e32 v5, v1
	v_div_scale_f32 v6, vcc, 1.0, v4, 1.0
	v_fma_f32 v7, -v1, v5, 1.0
	v_fmac_f32_e32 v5, v7, v5
	v_mul_f32_e32 v7, v6, v5
	v_fma_f32 v8, -v1, v7, v6
	v_fmac_f32_e32 v7, v8, v5
	v_fma_f32 v1, -v1, v7, v6
	v_div_fmas_f32 v1, v1, v5, v7
	v_div_fixup_f32 v1, v1, v4, 1.0
	v_mov_b32_e32 v4, 0
	ds_write_b32 v4, v1 offset:16
.LBB20_23:
	s_or_b64 exec, exec, s[2:3]
	s_waitcnt lgkmcnt(0)
	s_barrier
	s_and_saveexec_b64 s[2:3], s[0:1]
	s_cbranch_execz .LBB20_26
; %bb.24:
	v_mov_b32_e32 v1, 0
	ds_read_b64 v[4:5], v1 offset:16
	v_lshlrev_b64 v[6:7], 2, v[2:3]
	v_mov_b32_e32 v1, s9
	v_add_co_u32_e32 v2, vcc, s8, v6
	v_addc_co_u32_e32 v3, vcc, v1, v7, vcc
	v_mov_b32_e32 v1, s11
	v_add_co_u32_e32 v6, vcc, s10, v6
	v_addc_co_u32_e32 v7, vcc, v1, v7, vcc
	s_mov_b64 s[0:1], 0
	s_mov_b32 s2, 0x3fb8aa3b
	s_mov_b32 s3, 0xc2ce8ed0
	;; [unrolled: 1-line block ×3, first 2 shown]
	v_mov_b32_e32 v1, 0x7f800000
	s_movk_i32 s5, 0x1f8
.LBB20_25:                              ; =>This Inner Loop Header: Depth=1
	global_load_dword v8, v[2:3], off
	v_add_co_u32_e32 v2, vcc, 0x400, v2
	v_add_u32_e32 v0, 0x100, v0
	v_addc_co_u32_e32 v3, vcc, 0, v3, vcc
	v_cmp_le_i32_e32 vcc, s16, v0
	s_or_b64 s[0:1], vcc, s[0:1]
	s_waitcnt vmcnt(0) lgkmcnt(0)
	v_sub_f32_e32 v8, v8, v5
	v_mul_f32_e32 v9, 0x3fb8aa3b, v8
	v_fma_f32 v10, v8, s2, -v9
	v_rndne_f32_e32 v11, v9
	v_fmac_f32_e32 v10, 0x32a5705f, v8
	v_sub_f32_e32 v9, v9, v11
	v_add_f32_e32 v9, v9, v10
	v_cvt_i32_f32_e32 v11, v11
	v_exp_f32_e32 v9, v9
	v_cmp_ngt_f32_e32 vcc, s3, v8
	v_ldexp_f32 v9, v9, v11
	v_cndmask_b32_e32 v9, 0, v9, vcc
	v_cmp_nlt_f32_e32 vcc, s4, v8
	v_cndmask_b32_e32 v8, v1, v9, vcc
	v_mul_f32_e32 v8, v4, v8
	v_cmp_class_f32_e64 vcc, v8, s5
	v_cndmask_b32_e32 v8, 0, v8, vcc
	global_store_dword v[6:7], v8, off
	v_add_co_u32_e32 v6, vcc, 0x400, v6
	v_addc_co_u32_e32 v7, vcc, 0, v7, vcc
	s_andn2_b64 exec, exec, s[0:1]
	s_cbranch_execnz .LBB20_25
.LBB20_26:
	s_endpgm
	.section	.rodata,"a",@progbits
	.p2align	6, 0x0
	.amdhsa_kernel _ZN4vllm3moe10moeSoftmaxILi256EfEEvPKT0_PKbPfi
		.amdhsa_group_segment_fixed_size 24
		.amdhsa_private_segment_fixed_size 0
		.amdhsa_kernarg_size 28
		.amdhsa_user_sgpr_count 6
		.amdhsa_user_sgpr_private_segment_buffer 1
		.amdhsa_user_sgpr_dispatch_ptr 0
		.amdhsa_user_sgpr_queue_ptr 0
		.amdhsa_user_sgpr_kernarg_segment_ptr 1
		.amdhsa_user_sgpr_dispatch_id 0
		.amdhsa_user_sgpr_flat_scratch_init 0
		.amdhsa_user_sgpr_kernarg_preload_length 0
		.amdhsa_user_sgpr_kernarg_preload_offset 0
		.amdhsa_user_sgpr_private_segment_size 0
		.amdhsa_uses_dynamic_stack 0
		.amdhsa_system_sgpr_private_segment_wavefront_offset 0
		.amdhsa_system_sgpr_workgroup_id_x 1
		.amdhsa_system_sgpr_workgroup_id_y 0
		.amdhsa_system_sgpr_workgroup_id_z 0
		.amdhsa_system_sgpr_workgroup_info 0
		.amdhsa_system_vgpr_workitem_id 0
		.amdhsa_next_free_vgpr 17
		.amdhsa_next_free_sgpr 20
		.amdhsa_accum_offset 20
		.amdhsa_reserve_vcc 1
		.amdhsa_reserve_flat_scratch 0
		.amdhsa_float_round_mode_32 0
		.amdhsa_float_round_mode_16_64 0
		.amdhsa_float_denorm_mode_32 3
		.amdhsa_float_denorm_mode_16_64 3
		.amdhsa_dx10_clamp 1
		.amdhsa_ieee_mode 1
		.amdhsa_fp16_overflow 0
		.amdhsa_tg_split 0
		.amdhsa_exception_fp_ieee_invalid_op 0
		.amdhsa_exception_fp_denorm_src 0
		.amdhsa_exception_fp_ieee_div_zero 0
		.amdhsa_exception_fp_ieee_overflow 0
		.amdhsa_exception_fp_ieee_underflow 0
		.amdhsa_exception_fp_ieee_inexact 0
		.amdhsa_exception_int_div_zero 0
	.end_amdhsa_kernel
	.section	.text._ZN4vllm3moe10moeSoftmaxILi256EfEEvPKT0_PKbPfi,"axG",@progbits,_ZN4vllm3moe10moeSoftmaxILi256EfEEvPKT0_PKbPfi,comdat
.Lfunc_end20:
	.size	_ZN4vllm3moe10moeSoftmaxILi256EfEEvPKT0_PKbPfi, .Lfunc_end20-_ZN4vllm3moe10moeSoftmaxILi256EfEEvPKT0_PKbPfi
                                        ; -- End function
	.section	.AMDGPU.csdata,"",@progbits
; Kernel info:
; codeLenInByte = 1376
; NumSgprs: 24
; NumVgprs: 17
; NumAgprs: 0
; TotalNumVgprs: 17
; ScratchSize: 0
; MemoryBound: 0
; FloatMode: 240
; IeeeMode: 1
; LDSByteSize: 24 bytes/workgroup (compile time only)
; SGPRBlocks: 2
; VGPRBlocks: 2
; NumSGPRsForWavesPerEU: 24
; NumVGPRsForWavesPerEU: 17
; AccumOffset: 20
; Occupancy: 8
; WaveLimiterHint : 0
; COMPUTE_PGM_RSRC2:SCRATCH_EN: 0
; COMPUTE_PGM_RSRC2:USER_SGPR: 6
; COMPUTE_PGM_RSRC2:TRAP_HANDLER: 0
; COMPUTE_PGM_RSRC2:TGID_X_EN: 1
; COMPUTE_PGM_RSRC2:TGID_Y_EN: 0
; COMPUTE_PGM_RSRC2:TGID_Z_EN: 0
; COMPUTE_PGM_RSRC2:TIDIG_COMP_CNT: 0
; COMPUTE_PGM_RSRC3_GFX90A:ACCUM_OFFSET: 4
; COMPUTE_PGM_RSRC3_GFX90A:TG_SPLIT: 0
	.text
	.p2align	2                               ; -- Begin function __ockl_fprintf_append_string_n
	.type	__ockl_fprintf_append_string_n,@function
__ockl_fprintf_append_string_n:         ; @__ockl_fprintf_append_string_n
; %bb.0:
	s_waitcnt vmcnt(0) expcnt(0) lgkmcnt(0)
	v_mov_b32_e32 v9, v3
	v_mov_b32_e32 v8, v2
	v_or_b32_e32 v2, 2, v0
	v_cmp_eq_u32_e32 vcc, 0, v6
	s_mov_b32 s22, 0
	v_cndmask_b32_e32 v0, v2, v0, vcc
	s_mov_b64 s[6:7], 0
	v_cmp_ne_u64_e32 vcc, 0, v[8:9]
	v_mbcnt_lo_u32_b32 v2, -1, 0
	s_and_saveexec_b64 s[4:5], vcc
	s_xor_b64 s[10:11], exec, s[4:5]
	s_cbranch_execz .LBB21_86
; %bb.1:
	s_load_dwordx2 s[12:13], s[8:9], 0x50
	v_and_b32_e32 v6, 2, v0
	v_mov_b32_e32 v31, 0
	v_and_b32_e32 v0, -3, v0
	v_mbcnt_hi_u32_b32 v32, -1, v2
	s_movk_i32 s23, 0xff1f
	v_mov_b32_e32 v12, 2
	v_mov_b32_e32 v13, 1
	s_branch .LBB21_3
.LBB21_2:                               ;   in Loop: Header=BB21_3 Depth=1
	s_or_b64 exec, exec, s[16:17]
	v_sub_co_u32_e32 v4, vcc, v4, v34
	v_subb_co_u32_e32 v5, vcc, v5, v35, vcc
	v_cmp_eq_u64_e32 vcc, 0, v[4:5]
	s_or_b64 s[6:7], vcc, s[6:7]
	v_add_co_u32_e32 v8, vcc, v8, v34
	v_addc_co_u32_e32 v9, vcc, v9, v35, vcc
	s_andn2_b64 exec, exec, s[6:7]
	s_cbranch_execz .LBB21_85
.LBB21_3:                               ; =>This Loop Header: Depth=1
                                        ;     Child Loop BB21_6 Depth 2
                                        ;     Child Loop BB21_14 Depth 2
	;; [unrolled: 1-line block ×11, first 2 shown]
	v_cmp_gt_u64_e32 vcc, 56, v[4:5]
	v_cndmask_b32_e32 v35, 0, v5, vcc
	v_cndmask_b32_e32 v34, 56, v4, vcc
	v_cmp_gt_u64_e32 vcc, 8, v[4:5]
                                        ; implicit-def: $vgpr2_vgpr3
                                        ; implicit-def: $sgpr14
	s_and_saveexec_b64 s[4:5], vcc
	s_xor_b64 s[4:5], exec, s[4:5]
	s_cbranch_execz .LBB21_9
; %bb.4:                                ;   in Loop: Header=BB21_3 Depth=1
	s_mov_b64 s[16:17], 0
	v_cmp_ne_u64_e32 vcc, 0, v[4:5]
	s_waitcnt vmcnt(0)
	v_pk_mov_b32 v[2:3], 0, 0
	s_and_saveexec_b64 s[14:15], vcc
	s_cbranch_execz .LBB21_8
; %bb.5:                                ;   in Loop: Header=BB21_3 Depth=1
	v_lshlrev_b64 v[10:11], 3, v[34:35]
	v_pk_mov_b32 v[2:3], 0, 0
	v_pk_mov_b32 v[14:15], v[8:9], v[8:9] op_sel:[0,1]
	s_mov_b64 s[18:19], 0
.LBB21_6:                               ;   Parent Loop BB21_3 Depth=1
                                        ; =>  This Inner Loop Header: Depth=2
	flat_load_ubyte v7, v[14:15]
	v_mov_b32_e32 v17, s22
	v_add_co_u32_e32 v14, vcc, 1, v14
	v_addc_co_u32_e32 v15, vcc, 0, v15, vcc
	s_waitcnt vmcnt(0) lgkmcnt(0)
	v_and_b32_e32 v16, 0xffff, v7
	v_lshlrev_b64 v[16:17], s18, v[16:17]
	s_add_u32 s18, s18, 8
	s_addc_u32 s19, s19, 0
	v_cmp_eq_u32_e32 vcc, s18, v10
	v_or_b32_e32 v3, v17, v3
	s_or_b64 s[16:17], vcc, s[16:17]
	v_or_b32_e32 v2, v16, v2
	s_andn2_b64 exec, exec, s[16:17]
	s_cbranch_execnz .LBB21_6
; %bb.7:                                ;   in Loop: Header=BB21_3 Depth=1
	s_or_b64 exec, exec, s[16:17]
.LBB21_8:                               ;   in Loop: Header=BB21_3 Depth=1
	s_or_b64 exec, exec, s[14:15]
	s_mov_b32 s14, 0
.LBB21_9:                               ;   in Loop: Header=BB21_3 Depth=1
	s_or_saveexec_b64 s[4:5], s[4:5]
	v_mov_b32_e32 v7, s14
	v_pk_mov_b32 v[10:11], v[8:9], v[8:9] op_sel:[0,1]
	s_xor_b64 exec, exec, s[4:5]
	s_cbranch_execz .LBB21_11
; %bb.10:                               ;   in Loop: Header=BB21_3 Depth=1
	s_waitcnt vmcnt(0)
	flat_load_dwordx2 v[2:3], v[8:9]
	v_add_u32_e32 v7, -8, v34
	s_waitcnt vmcnt(0) lgkmcnt(0)
	v_and_b32_e32 v10, 0xff, v3
	v_and_b32_e32 v11, 0xff00, v3
	v_and_b32_e32 v14, 0xff0000, v3
	v_and_b32_e32 v3, 0xff000000, v3
	v_or_b32_e32 v10, v10, v11
	v_or3_b32 v3, v10, v14, v3
	v_add_co_u32_e32 v10, vcc, 8, v8
	v_or3_b32 v2, v2, 0, 0
	v_addc_co_u32_e32 v11, vcc, 0, v9, vcc
.LBB21_11:                              ;   in Loop: Header=BB21_3 Depth=1
	s_or_b64 exec, exec, s[4:5]
	v_cmp_gt_u32_e32 vcc, 8, v7
                                        ; implicit-def: $vgpr14_vgpr15
                                        ; implicit-def: $sgpr14
	s_and_saveexec_b64 s[4:5], vcc
	s_xor_b64 s[4:5], exec, s[4:5]
	s_cbranch_execz .LBB21_17
; %bb.12:                               ;   in Loop: Header=BB21_3 Depth=1
	v_cmp_ne_u32_e32 vcc, 0, v7
	v_pk_mov_b32 v[14:15], 0, 0
	s_and_saveexec_b64 s[14:15], vcc
	s_cbranch_execz .LBB21_16
; %bb.13:                               ;   in Loop: Header=BB21_3 Depth=1
	s_mov_b64 s[16:17], 0
	v_pk_mov_b32 v[14:15], 0, 0
	s_mov_b64 s[18:19], 0
	s_mov_b64 s[20:21], 0
.LBB21_14:                              ;   Parent Loop BB21_3 Depth=1
                                        ; =>  This Inner Loop Header: Depth=2
	v_mov_b32_e32 v17, s21
	v_add_co_u32_e32 v16, vcc, s20, v10
	v_addc_co_u32_e32 v17, vcc, v11, v17, vcc
	flat_load_ubyte v16, v[16:17]
	s_add_u32 s20, s20, 1
	v_mov_b32_e32 v17, s22
	s_addc_u32 s21, s21, 0
	v_cmp_eq_u32_e32 vcc, s20, v7
	s_waitcnt vmcnt(0) lgkmcnt(0)
	v_and_b32_e32 v16, 0xffff, v16
	v_lshlrev_b64 v[16:17], s18, v[16:17]
	s_add_u32 s18, s18, 8
	s_addc_u32 s19, s19, 0
	v_or_b32_e32 v15, v17, v15
	s_or_b64 s[16:17], vcc, s[16:17]
	v_or_b32_e32 v14, v16, v14
	s_andn2_b64 exec, exec, s[16:17]
	s_cbranch_execnz .LBB21_14
; %bb.15:                               ;   in Loop: Header=BB21_3 Depth=1
	s_or_b64 exec, exec, s[16:17]
.LBB21_16:                              ;   in Loop: Header=BB21_3 Depth=1
	s_or_b64 exec, exec, s[14:15]
	s_mov_b32 s14, 0
                                        ; implicit-def: $vgpr7
.LBB21_17:                              ;   in Loop: Header=BB21_3 Depth=1
	s_or_saveexec_b64 s[4:5], s[4:5]
	v_mov_b32_e32 v18, s14
	s_xor_b64 exec, exec, s[4:5]
	s_cbranch_execz .LBB21_19
; %bb.18:                               ;   in Loop: Header=BB21_3 Depth=1
	flat_load_dwordx2 v[14:15], v[10:11]
	v_add_u32_e32 v18, -8, v7
	v_add_co_u32_e32 v10, vcc, 8, v10
	v_addc_co_u32_e32 v11, vcc, 0, v11, vcc
	s_waitcnt vmcnt(0) lgkmcnt(0)
	v_and_b32_e32 v7, 0xff, v15
	v_and_b32_e32 v16, 0xff00, v15
	;; [unrolled: 1-line block ×4, first 2 shown]
	v_or_b32_e32 v7, v7, v16
	v_or3_b32 v14, v14, 0, 0
	v_or3_b32 v15, v7, v17, v15
.LBB21_19:                              ;   in Loop: Header=BB21_3 Depth=1
	s_or_b64 exec, exec, s[4:5]
	v_cmp_gt_u32_e32 vcc, 8, v18
                                        ; implicit-def: $sgpr14
	s_and_saveexec_b64 s[4:5], vcc
	s_xor_b64 s[4:5], exec, s[4:5]
	s_cbranch_execz .LBB21_25
; %bb.20:                               ;   in Loop: Header=BB21_3 Depth=1
	v_cmp_ne_u32_e32 vcc, 0, v18
	v_pk_mov_b32 v[16:17], 0, 0
	s_and_saveexec_b64 s[14:15], vcc
	s_cbranch_execz .LBB21_24
; %bb.21:                               ;   in Loop: Header=BB21_3 Depth=1
	s_mov_b64 s[16:17], 0
	v_pk_mov_b32 v[16:17], 0, 0
	s_mov_b64 s[18:19], 0
	s_mov_b64 s[20:21], 0
.LBB21_22:                              ;   Parent Loop BB21_3 Depth=1
                                        ; =>  This Inner Loop Header: Depth=2
	v_mov_b32_e32 v7, s21
	v_add_co_u32_e32 v20, vcc, s20, v10
	v_addc_co_u32_e32 v21, vcc, v11, v7, vcc
	flat_load_ubyte v7, v[20:21]
	s_add_u32 s20, s20, 1
	v_mov_b32_e32 v21, s22
	s_addc_u32 s21, s21, 0
	v_cmp_eq_u32_e32 vcc, s20, v18
	s_waitcnt vmcnt(0) lgkmcnt(0)
	v_and_b32_e32 v20, 0xffff, v7
	v_lshlrev_b64 v[20:21], s18, v[20:21]
	s_add_u32 s18, s18, 8
	s_addc_u32 s19, s19, 0
	v_or_b32_e32 v17, v21, v17
	s_or_b64 s[16:17], vcc, s[16:17]
	v_or_b32_e32 v16, v20, v16
	s_andn2_b64 exec, exec, s[16:17]
	s_cbranch_execnz .LBB21_22
; %bb.23:                               ;   in Loop: Header=BB21_3 Depth=1
	s_or_b64 exec, exec, s[16:17]
.LBB21_24:                              ;   in Loop: Header=BB21_3 Depth=1
	s_or_b64 exec, exec, s[14:15]
	s_mov_b32 s14, 0
                                        ; implicit-def: $vgpr18
.LBB21_25:                              ;   in Loop: Header=BB21_3 Depth=1
	s_or_saveexec_b64 s[4:5], s[4:5]
	v_mov_b32_e32 v7, s14
	s_xor_b64 exec, exec, s[4:5]
	s_cbranch_execz .LBB21_27
; %bb.26:                               ;   in Loop: Header=BB21_3 Depth=1
	flat_load_dwordx2 v[16:17], v[10:11]
	v_add_u32_e32 v7, -8, v18
	v_add_co_u32_e32 v10, vcc, 8, v10
	v_addc_co_u32_e32 v11, vcc, 0, v11, vcc
	s_waitcnt vmcnt(0) lgkmcnt(0)
	v_and_b32_e32 v18, 0xff, v17
	v_and_b32_e32 v19, 0xff00, v17
	;; [unrolled: 1-line block ×4, first 2 shown]
	v_or_b32_e32 v18, v18, v19
	v_or3_b32 v16, v16, 0, 0
	v_or3_b32 v17, v18, v20, v17
.LBB21_27:                              ;   in Loop: Header=BB21_3 Depth=1
	s_or_b64 exec, exec, s[4:5]
	v_cmp_gt_u32_e32 vcc, 8, v7
                                        ; implicit-def: $vgpr18_vgpr19
                                        ; implicit-def: $sgpr14
	s_and_saveexec_b64 s[4:5], vcc
	s_xor_b64 s[4:5], exec, s[4:5]
	s_cbranch_execz .LBB21_33
; %bb.28:                               ;   in Loop: Header=BB21_3 Depth=1
	v_cmp_ne_u32_e32 vcc, 0, v7
	v_pk_mov_b32 v[18:19], 0, 0
	s_and_saveexec_b64 s[14:15], vcc
	s_cbranch_execz .LBB21_32
; %bb.29:                               ;   in Loop: Header=BB21_3 Depth=1
	s_mov_b64 s[16:17], 0
	v_pk_mov_b32 v[18:19], 0, 0
	s_mov_b64 s[18:19], 0
	s_mov_b64 s[20:21], 0
.LBB21_30:                              ;   Parent Loop BB21_3 Depth=1
                                        ; =>  This Inner Loop Header: Depth=2
	v_mov_b32_e32 v21, s21
	v_add_co_u32_e32 v20, vcc, s20, v10
	v_addc_co_u32_e32 v21, vcc, v11, v21, vcc
	flat_load_ubyte v20, v[20:21]
	s_add_u32 s20, s20, 1
	v_mov_b32_e32 v21, s22
	s_addc_u32 s21, s21, 0
	v_cmp_eq_u32_e32 vcc, s20, v7
	s_waitcnt vmcnt(0) lgkmcnt(0)
	v_and_b32_e32 v20, 0xffff, v20
	v_lshlrev_b64 v[20:21], s18, v[20:21]
	s_add_u32 s18, s18, 8
	s_addc_u32 s19, s19, 0
	v_or_b32_e32 v19, v21, v19
	s_or_b64 s[16:17], vcc, s[16:17]
	v_or_b32_e32 v18, v20, v18
	s_andn2_b64 exec, exec, s[16:17]
	s_cbranch_execnz .LBB21_30
; %bb.31:                               ;   in Loop: Header=BB21_3 Depth=1
	s_or_b64 exec, exec, s[16:17]
.LBB21_32:                              ;   in Loop: Header=BB21_3 Depth=1
	s_or_b64 exec, exec, s[14:15]
	s_mov_b32 s14, 0
                                        ; implicit-def: $vgpr7
.LBB21_33:                              ;   in Loop: Header=BB21_3 Depth=1
	s_or_saveexec_b64 s[4:5], s[4:5]
	v_mov_b32_e32 v22, s14
	s_xor_b64 exec, exec, s[4:5]
	s_cbranch_execz .LBB21_35
; %bb.34:                               ;   in Loop: Header=BB21_3 Depth=1
	flat_load_dwordx2 v[18:19], v[10:11]
	v_add_u32_e32 v22, -8, v7
	v_add_co_u32_e32 v10, vcc, 8, v10
	v_addc_co_u32_e32 v11, vcc, 0, v11, vcc
	s_waitcnt vmcnt(0) lgkmcnt(0)
	v_and_b32_e32 v7, 0xff, v19
	v_and_b32_e32 v20, 0xff00, v19
	;; [unrolled: 1-line block ×4, first 2 shown]
	v_or_b32_e32 v7, v7, v20
	v_or3_b32 v18, v18, 0, 0
	v_or3_b32 v19, v7, v21, v19
.LBB21_35:                              ;   in Loop: Header=BB21_3 Depth=1
	s_or_b64 exec, exec, s[4:5]
	v_cmp_gt_u32_e32 vcc, 8, v22
                                        ; implicit-def: $sgpr14
	s_and_saveexec_b64 s[4:5], vcc
	s_xor_b64 s[4:5], exec, s[4:5]
	s_cbranch_execz .LBB21_41
; %bb.36:                               ;   in Loop: Header=BB21_3 Depth=1
	v_cmp_ne_u32_e32 vcc, 0, v22
	v_pk_mov_b32 v[20:21], 0, 0
	s_and_saveexec_b64 s[14:15], vcc
	s_cbranch_execz .LBB21_40
; %bb.37:                               ;   in Loop: Header=BB21_3 Depth=1
	s_mov_b64 s[16:17], 0
	v_pk_mov_b32 v[20:21], 0, 0
	s_mov_b64 s[18:19], 0
	s_mov_b64 s[20:21], 0
.LBB21_38:                              ;   Parent Loop BB21_3 Depth=1
                                        ; =>  This Inner Loop Header: Depth=2
	v_mov_b32_e32 v7, s21
	v_add_co_u32_e32 v24, vcc, s20, v10
	v_addc_co_u32_e32 v25, vcc, v11, v7, vcc
	flat_load_ubyte v7, v[24:25]
	s_add_u32 s20, s20, 1
	v_mov_b32_e32 v25, s22
	s_addc_u32 s21, s21, 0
	v_cmp_eq_u32_e32 vcc, s20, v22
	s_waitcnt vmcnt(0) lgkmcnt(0)
	v_and_b32_e32 v24, 0xffff, v7
	v_lshlrev_b64 v[24:25], s18, v[24:25]
	s_add_u32 s18, s18, 8
	s_addc_u32 s19, s19, 0
	v_or_b32_e32 v21, v25, v21
	s_or_b64 s[16:17], vcc, s[16:17]
	v_or_b32_e32 v20, v24, v20
	s_andn2_b64 exec, exec, s[16:17]
	s_cbranch_execnz .LBB21_38
; %bb.39:                               ;   in Loop: Header=BB21_3 Depth=1
	s_or_b64 exec, exec, s[16:17]
.LBB21_40:                              ;   in Loop: Header=BB21_3 Depth=1
	s_or_b64 exec, exec, s[14:15]
	s_mov_b32 s14, 0
                                        ; implicit-def: $vgpr22
.LBB21_41:                              ;   in Loop: Header=BB21_3 Depth=1
	s_or_saveexec_b64 s[4:5], s[4:5]
	v_mov_b32_e32 v7, s14
	s_xor_b64 exec, exec, s[4:5]
	s_cbranch_execz .LBB21_43
; %bb.42:                               ;   in Loop: Header=BB21_3 Depth=1
	flat_load_dwordx2 v[20:21], v[10:11]
	v_add_u32_e32 v7, -8, v22
	v_add_co_u32_e32 v10, vcc, 8, v10
	v_addc_co_u32_e32 v11, vcc, 0, v11, vcc
	s_waitcnt vmcnt(0) lgkmcnt(0)
	v_and_b32_e32 v22, 0xff, v21
	v_and_b32_e32 v23, 0xff00, v21
	;; [unrolled: 1-line block ×4, first 2 shown]
	v_or_b32_e32 v22, v22, v23
	v_or3_b32 v20, v20, 0, 0
	v_or3_b32 v21, v22, v24, v21
.LBB21_43:                              ;   in Loop: Header=BB21_3 Depth=1
	s_or_b64 exec, exec, s[4:5]
	v_cmp_gt_u32_e32 vcc, 8, v7
                                        ; implicit-def: $vgpr22_vgpr23
                                        ; implicit-def: $sgpr14
	s_and_saveexec_b64 s[4:5], vcc
	s_xor_b64 s[4:5], exec, s[4:5]
	s_cbranch_execz .LBB21_49
; %bb.44:                               ;   in Loop: Header=BB21_3 Depth=1
	v_cmp_ne_u32_e32 vcc, 0, v7
	v_pk_mov_b32 v[22:23], 0, 0
	s_and_saveexec_b64 s[14:15], vcc
	s_cbranch_execz .LBB21_48
; %bb.45:                               ;   in Loop: Header=BB21_3 Depth=1
	s_mov_b64 s[16:17], 0
	v_pk_mov_b32 v[22:23], 0, 0
	s_mov_b64 s[18:19], 0
	s_mov_b64 s[20:21], 0
.LBB21_46:                              ;   Parent Loop BB21_3 Depth=1
                                        ; =>  This Inner Loop Header: Depth=2
	v_mov_b32_e32 v25, s21
	v_add_co_u32_e32 v24, vcc, s20, v10
	v_addc_co_u32_e32 v25, vcc, v11, v25, vcc
	flat_load_ubyte v24, v[24:25]
	s_add_u32 s20, s20, 1
	v_mov_b32_e32 v25, s22
	s_addc_u32 s21, s21, 0
	v_cmp_eq_u32_e32 vcc, s20, v7
	s_waitcnt vmcnt(0) lgkmcnt(0)
	v_and_b32_e32 v24, 0xffff, v24
	v_lshlrev_b64 v[24:25], s18, v[24:25]
	s_add_u32 s18, s18, 8
	s_addc_u32 s19, s19, 0
	v_or_b32_e32 v23, v25, v23
	s_or_b64 s[16:17], vcc, s[16:17]
	v_or_b32_e32 v22, v24, v22
	s_andn2_b64 exec, exec, s[16:17]
	s_cbranch_execnz .LBB21_46
; %bb.47:                               ;   in Loop: Header=BB21_3 Depth=1
	s_or_b64 exec, exec, s[16:17]
.LBB21_48:                              ;   in Loop: Header=BB21_3 Depth=1
	s_or_b64 exec, exec, s[14:15]
	s_mov_b32 s14, 0
                                        ; implicit-def: $vgpr7
.LBB21_49:                              ;   in Loop: Header=BB21_3 Depth=1
	s_or_saveexec_b64 s[4:5], s[4:5]
	v_mov_b32_e32 v26, s14
	s_xor_b64 exec, exec, s[4:5]
	s_cbranch_execz .LBB21_51
; %bb.50:                               ;   in Loop: Header=BB21_3 Depth=1
	flat_load_dwordx2 v[22:23], v[10:11]
	v_add_u32_e32 v26, -8, v7
	v_add_co_u32_e32 v10, vcc, 8, v10
	v_addc_co_u32_e32 v11, vcc, 0, v11, vcc
	s_waitcnt vmcnt(0) lgkmcnt(0)
	v_and_b32_e32 v7, 0xff, v23
	v_and_b32_e32 v24, 0xff00, v23
	;; [unrolled: 1-line block ×4, first 2 shown]
	v_or_b32_e32 v7, v7, v24
	v_or3_b32 v22, v22, 0, 0
	v_or3_b32 v23, v7, v25, v23
.LBB21_51:                              ;   in Loop: Header=BB21_3 Depth=1
	s_or_b64 exec, exec, s[4:5]
	v_cmp_gt_u32_e32 vcc, 8, v26
	s_and_saveexec_b64 s[4:5], vcc
	s_xor_b64 s[4:5], exec, s[4:5]
	s_cbranch_execz .LBB21_57
; %bb.52:                               ;   in Loop: Header=BB21_3 Depth=1
	v_cmp_ne_u32_e32 vcc, 0, v26
	v_pk_mov_b32 v[24:25], 0, 0
	s_and_saveexec_b64 s[14:15], vcc
	s_cbranch_execz .LBB21_56
; %bb.53:                               ;   in Loop: Header=BB21_3 Depth=1
	s_mov_b64 s[16:17], 0
	v_pk_mov_b32 v[24:25], 0, 0
	s_mov_b64 s[18:19], 0
.LBB21_54:                              ;   Parent Loop BB21_3 Depth=1
                                        ; =>  This Inner Loop Header: Depth=2
	flat_load_ubyte v7, v[10:11]
	v_mov_b32_e32 v29, s22
	v_add_co_u32_e32 v10, vcc, 1, v10
	v_add_u32_e32 v26, -1, v26
	v_addc_co_u32_e32 v11, vcc, 0, v11, vcc
	v_cmp_eq_u32_e32 vcc, 0, v26
	s_waitcnt vmcnt(0) lgkmcnt(0)
	v_and_b32_e32 v28, 0xffff, v7
	v_lshlrev_b64 v[28:29], s18, v[28:29]
	s_add_u32 s18, s18, 8
	s_addc_u32 s19, s19, 0
	v_or_b32_e32 v25, v29, v25
	s_or_b64 s[16:17], vcc, s[16:17]
	v_or_b32_e32 v24, v28, v24
	s_andn2_b64 exec, exec, s[16:17]
	s_cbranch_execnz .LBB21_54
; %bb.55:                               ;   in Loop: Header=BB21_3 Depth=1
	s_or_b64 exec, exec, s[16:17]
.LBB21_56:                              ;   in Loop: Header=BB21_3 Depth=1
	s_or_b64 exec, exec, s[14:15]
                                        ; implicit-def: $vgpr10_vgpr11
.LBB21_57:                              ;   in Loop: Header=BB21_3 Depth=1
	s_andn2_saveexec_b64 s[4:5], s[4:5]
	s_cbranch_execz .LBB21_59
; %bb.58:                               ;   in Loop: Header=BB21_3 Depth=1
	flat_load_dwordx2 v[10:11], v[10:11]
	s_waitcnt vmcnt(0) lgkmcnt(0)
	v_and_b32_e32 v7, 0xff, v11
	v_and_b32_e32 v24, 0xff00, v11
	;; [unrolled: 1-line block ×4, first 2 shown]
	v_or_b32_e32 v7, v7, v24
	v_or3_b32 v25, v7, v25, v11
	v_or3_b32 v24, v10, 0, 0
.LBB21_59:                              ;   in Loop: Header=BB21_3 Depth=1
	s_or_b64 exec, exec, s[4:5]
	v_readfirstlane_b32 s4, v32
	v_cmp_eq_u32_e64 s[4:5], s4, v32
	v_pk_mov_b32 v[10:11], 0, 0
	s_and_saveexec_b64 s[14:15], s[4:5]
	s_cbranch_execz .LBB21_65
; %bb.60:                               ;   in Loop: Header=BB21_3 Depth=1
	s_waitcnt lgkmcnt(0)
	global_load_dwordx2 v[28:29], v31, s[12:13] offset:24 glc
	s_waitcnt vmcnt(0)
	buffer_invl2
	buffer_wbinvl1_vol
	global_load_dwordx2 v[10:11], v31, s[12:13] offset:40
	global_load_dwordx2 v[26:27], v31, s[12:13]
	s_waitcnt vmcnt(1)
	v_and_b32_e32 v7, v10, v28
	v_and_b32_e32 v10, v11, v29
	v_mul_lo_u32 v10, v10, 24
	v_mul_hi_u32 v11, v7, 24
	v_mul_lo_u32 v7, v7, 24
	v_add_u32_e32 v11, v11, v10
	s_waitcnt vmcnt(0)
	v_add_co_u32_e32 v10, vcc, v26, v7
	v_addc_co_u32_e32 v11, vcc, v27, v11, vcc
	global_load_dwordx2 v[26:27], v[10:11], off glc
	s_waitcnt vmcnt(0)
	global_atomic_cmpswap_x2 v[10:11], v31, v[26:29], s[12:13] offset:24 glc
	s_waitcnt vmcnt(0)
	buffer_invl2
	buffer_wbinvl1_vol
	v_cmp_ne_u64_e32 vcc, v[10:11], v[28:29]
	s_and_saveexec_b64 s[16:17], vcc
	s_cbranch_execz .LBB21_64
; %bb.61:                               ;   in Loop: Header=BB21_3 Depth=1
	s_mov_b64 s[18:19], 0
.LBB21_62:                              ;   Parent Loop BB21_3 Depth=1
                                        ; =>  This Inner Loop Header: Depth=2
	s_sleep 1
	global_load_dwordx2 v[26:27], v31, s[12:13] offset:40
	global_load_dwordx2 v[36:37], v31, s[12:13]
	v_pk_mov_b32 v[28:29], v[10:11], v[10:11] op_sel:[0,1]
	s_waitcnt vmcnt(1)
	v_and_b32_e32 v10, v26, v28
	s_waitcnt vmcnt(0)
	v_mad_u64_u32 v[10:11], s[20:21], v10, 24, v[36:37]
	v_and_b32_e32 v7, v27, v29
	v_mov_b32_e32 v26, v11
	v_mad_u64_u32 v[26:27], s[20:21], v7, 24, v[26:27]
	v_mov_b32_e32 v11, v26
	global_load_dwordx2 v[26:27], v[10:11], off glc
	s_waitcnt vmcnt(0)
	global_atomic_cmpswap_x2 v[10:11], v31, v[26:29], s[12:13] offset:24 glc
	s_waitcnt vmcnt(0)
	buffer_invl2
	buffer_wbinvl1_vol
	v_cmp_eq_u64_e32 vcc, v[10:11], v[28:29]
	s_or_b64 s[18:19], vcc, s[18:19]
	s_andn2_b64 exec, exec, s[18:19]
	s_cbranch_execnz .LBB21_62
; %bb.63:                               ;   in Loop: Header=BB21_3 Depth=1
	s_or_b64 exec, exec, s[18:19]
.LBB21_64:                              ;   in Loop: Header=BB21_3 Depth=1
	s_or_b64 exec, exec, s[16:17]
.LBB21_65:                              ;   in Loop: Header=BB21_3 Depth=1
	s_or_b64 exec, exec, s[14:15]
	s_waitcnt lgkmcnt(0)
	global_load_dwordx2 v[36:37], v31, s[12:13] offset:40
	global_load_dwordx4 v[26:29], v31, s[12:13]
	v_readfirstlane_b32 s14, v10
	v_readfirstlane_b32 s15, v11
	s_mov_b64 s[16:17], exec
	s_waitcnt vmcnt(1)
	v_readfirstlane_b32 s18, v36
	v_readfirstlane_b32 s19, v37
	s_and_b64 s[18:19], s[14:15], s[18:19]
	s_mul_i32 s20, s19, 24
	s_mul_hi_u32 s21, s18, 24
	s_mul_i32 s24, s18, 24
	s_add_i32 s20, s21, s20
	v_mov_b32_e32 v7, s20
	s_waitcnt vmcnt(0)
	v_add_co_u32_e32 v36, vcc, s24, v26
	v_addc_co_u32_e32 v37, vcc, v27, v7, vcc
	s_and_saveexec_b64 s[20:21], s[4:5]
	s_cbranch_execz .LBB21_67
; %bb.66:                               ;   in Loop: Header=BB21_3 Depth=1
	v_pk_mov_b32 v[10:11], s[16:17], s[16:17] op_sel:[0,1]
	global_store_dwordx4 v[36:37], v[10:13], off offset:8
.LBB21_67:                              ;   in Loop: Header=BB21_3 Depth=1
	s_or_b64 exec, exec, s[20:21]
	s_lshl_b64 s[16:17], s[18:19], 12
	v_mov_b32_e32 v7, s17
	v_add_co_u32_e32 v10, vcc, s16, v28
	v_addc_co_u32_e32 v7, vcc, v29, v7, vcc
	v_or_b32_e32 v11, 0, v1
	v_cmp_lt_u64_e32 vcc, 56, v[4:5]
	v_or_b32_e32 v28, v0, v6
	v_cndmask_b32_e32 v1, v11, v1, vcc
	v_lshl_add_u32 v11, v34, 2, 28
	v_cndmask_b32_e32 v0, v28, v0, vcc
	v_and_b32_e32 v11, 0x1e0, v11
	v_and_or_b32 v0, v0, s23, v11
	v_lshlrev_b32_e32 v11, 6, v32
	v_readfirstlane_b32 s16, v10
	v_readfirstlane_b32 s17, v7
	s_nop 4
	global_store_dwordx4 v11, v[0:3], s[16:17]
	global_store_dwordx4 v11, v[14:17], s[16:17] offset:16
	global_store_dwordx4 v11, v[18:21], s[16:17] offset:32
	global_store_dwordx4 v11, v[22:25], s[16:17] offset:48
	s_and_saveexec_b64 s[16:17], s[4:5]
	s_cbranch_execz .LBB21_75
; %bb.68:                               ;   in Loop: Header=BB21_3 Depth=1
	global_load_dwordx2 v[18:19], v31, s[12:13] offset:32 glc
	global_load_dwordx2 v[0:1], v31, s[12:13] offset:40
	v_mov_b32_e32 v16, s14
	v_mov_b32_e32 v17, s15
	s_waitcnt vmcnt(0)
	v_readfirstlane_b32 s18, v0
	v_readfirstlane_b32 s19, v1
	s_and_b64 s[18:19], s[18:19], s[14:15]
	s_mul_i32 s19, s19, 24
	s_mul_hi_u32 s20, s18, 24
	s_mul_i32 s18, s18, 24
	s_add_i32 s19, s20, s19
	v_mov_b32_e32 v0, s19
	v_add_co_u32_e32 v14, vcc, s18, v26
	v_addc_co_u32_e32 v15, vcc, v27, v0, vcc
	global_store_dwordx2 v[14:15], v[18:19], off
	buffer_wbl2
	s_waitcnt vmcnt(0)
	global_atomic_cmpswap_x2 v[2:3], v31, v[16:19], s[12:13] offset:32 glc
	s_waitcnt vmcnt(0)
	v_cmp_ne_u64_e32 vcc, v[2:3], v[18:19]
	s_and_saveexec_b64 s[18:19], vcc
	s_cbranch_execz .LBB21_71
; %bb.69:                               ;   in Loop: Header=BB21_3 Depth=1
	s_mov_b64 s[20:21], 0
.LBB21_70:                              ;   Parent Loop BB21_3 Depth=1
                                        ; =>  This Inner Loop Header: Depth=2
	s_sleep 1
	global_store_dwordx2 v[14:15], v[2:3], off
	v_mov_b32_e32 v0, s14
	v_mov_b32_e32 v1, s15
	buffer_wbl2
	s_waitcnt vmcnt(0)
	global_atomic_cmpswap_x2 v[0:1], v31, v[0:3], s[12:13] offset:32 glc
	s_waitcnt vmcnt(0)
	v_cmp_eq_u64_e32 vcc, v[0:1], v[2:3]
	s_or_b64 s[20:21], vcc, s[20:21]
	v_pk_mov_b32 v[2:3], v[0:1], v[0:1] op_sel:[0,1]
	s_andn2_b64 exec, exec, s[20:21]
	s_cbranch_execnz .LBB21_70
.LBB21_71:                              ;   in Loop: Header=BB21_3 Depth=1
	s_or_b64 exec, exec, s[18:19]
	global_load_dwordx2 v[0:1], v31, s[12:13] offset:16
	s_mov_b64 s[20:21], exec
	v_mbcnt_lo_u32_b32 v2, s20, 0
	v_mbcnt_hi_u32_b32 v2, s21, v2
	v_cmp_eq_u32_e32 vcc, 0, v2
	s_and_saveexec_b64 s[18:19], vcc
	s_cbranch_execz .LBB21_73
; %bb.72:                               ;   in Loop: Header=BB21_3 Depth=1
	s_bcnt1_i32_b64 s20, s[20:21]
	v_mov_b32_e32 v30, s20
	buffer_wbl2
	s_waitcnt vmcnt(0)
	global_atomic_add_x2 v[0:1], v[30:31], off offset:8
.LBB21_73:                              ;   in Loop: Header=BB21_3 Depth=1
	s_or_b64 exec, exec, s[18:19]
	s_waitcnt vmcnt(0)
	global_load_dwordx2 v[2:3], v[0:1], off offset:16
	s_waitcnt vmcnt(0)
	v_cmp_eq_u64_e32 vcc, 0, v[2:3]
	s_cbranch_vccnz .LBB21_75
; %bb.74:                               ;   in Loop: Header=BB21_3 Depth=1
	global_load_dword v30, v[0:1], off offset:24
	s_waitcnt vmcnt(0)
	v_and_b32_e32 v0, 0xffffff, v30
	v_readfirstlane_b32 m0, v0
	buffer_wbl2
	global_store_dwordx2 v[2:3], v[30:31], off
	s_sendmsg sendmsg(MSG_INTERRUPT)
.LBB21_75:                              ;   in Loop: Header=BB21_3 Depth=1
	s_or_b64 exec, exec, s[16:17]
	v_add_co_u32_e32 v0, vcc, v10, v11
	v_addc_co_u32_e32 v1, vcc, 0, v7, vcc
	s_branch .LBB21_79
.LBB21_76:                              ;   in Loop: Header=BB21_79 Depth=2
	s_or_b64 exec, exec, s[16:17]
	v_readfirstlane_b32 s16, v2
	s_cmp_eq_u32 s16, 0
	s_cbranch_scc1 .LBB21_78
; %bb.77:                               ;   in Loop: Header=BB21_79 Depth=2
	s_sleep 1
	s_cbranch_execnz .LBB21_79
	s_branch .LBB21_81
.LBB21_78:                              ;   in Loop: Header=BB21_3 Depth=1
	s_branch .LBB21_81
.LBB21_79:                              ;   Parent Loop BB21_3 Depth=1
                                        ; =>  This Inner Loop Header: Depth=2
	v_mov_b32_e32 v2, 1
	s_and_saveexec_b64 s[16:17], s[4:5]
	s_cbranch_execz .LBB21_76
; %bb.80:                               ;   in Loop: Header=BB21_79 Depth=2
	global_load_dword v2, v[36:37], off offset:20 glc
	s_waitcnt vmcnt(0)
	buffer_invl2
	buffer_wbinvl1_vol
	v_and_b32_e32 v2, 1, v2
	s_branch .LBB21_76
.LBB21_81:                              ;   in Loop: Header=BB21_3 Depth=1
	global_load_dwordx4 v[0:3], v[0:1], off
	s_and_saveexec_b64 s[16:17], s[4:5]
	s_cbranch_execz .LBB21_2
; %bb.82:                               ;   in Loop: Header=BB21_3 Depth=1
	global_load_dwordx2 v[2:3], v31, s[12:13] offset:40
	global_load_dwordx2 v[10:11], v31, s[12:13] offset:24 glc
	global_load_dwordx2 v[18:19], v31, s[12:13]
	v_mov_b32_e32 v7, s15
	s_waitcnt vmcnt(2)
	v_add_co_u32_e32 v17, vcc, 1, v2
	v_addc_co_u32_e32 v20, vcc, 0, v3, vcc
	v_add_co_u32_e32 v14, vcc, s14, v17
	v_addc_co_u32_e32 v15, vcc, v20, v7, vcc
	v_cmp_eq_u64_e32 vcc, 0, v[14:15]
	v_cndmask_b32_e32 v15, v15, v20, vcc
	v_cndmask_b32_e32 v14, v14, v17, vcc
	v_and_b32_e32 v3, v15, v3
	v_and_b32_e32 v2, v14, v2
	v_mul_lo_u32 v3, v3, 24
	v_mul_hi_u32 v7, v2, 24
	v_mul_lo_u32 v2, v2, 24
	v_add_u32_e32 v3, v7, v3
	s_waitcnt vmcnt(0)
	v_add_co_u32_e32 v2, vcc, v18, v2
	v_addc_co_u32_e32 v3, vcc, v19, v3, vcc
	v_mov_b32_e32 v16, v10
	global_store_dwordx2 v[2:3], v[10:11], off
	v_mov_b32_e32 v17, v11
	buffer_wbl2
	s_waitcnt vmcnt(0)
	global_atomic_cmpswap_x2 v[16:17], v31, v[14:17], s[12:13] offset:24 glc
	s_waitcnt vmcnt(0)
	v_cmp_ne_u64_e32 vcc, v[16:17], v[10:11]
	s_and_b64 exec, exec, vcc
	s_cbranch_execz .LBB21_2
; %bb.83:                               ;   in Loop: Header=BB21_3 Depth=1
	s_mov_b64 s[4:5], 0
.LBB21_84:                              ;   Parent Loop BB21_3 Depth=1
                                        ; =>  This Inner Loop Header: Depth=2
	s_sleep 1
	global_store_dwordx2 v[2:3], v[16:17], off
	buffer_wbl2
	s_waitcnt vmcnt(0)
	global_atomic_cmpswap_x2 v[10:11], v31, v[14:17], s[12:13] offset:24 glc
	s_waitcnt vmcnt(0)
	v_cmp_eq_u64_e32 vcc, v[10:11], v[16:17]
	s_or_b64 s[4:5], vcc, s[4:5]
	v_pk_mov_b32 v[16:17], v[10:11], v[10:11] op_sel:[0,1]
	s_andn2_b64 exec, exec, s[4:5]
	s_cbranch_execnz .LBB21_84
	s_branch .LBB21_2
.LBB21_85:
	s_or_b64 exec, exec, s[6:7]
                                        ; implicit-def: $vgpr0
                                        ; implicit-def: $vgpr1
                                        ; implicit-def: $vgpr2
.LBB21_86:
	s_andn2_saveexec_b64 s[6:7], s[10:11]
	s_cbranch_execz .LBB21_109
; %bb.87:
	s_load_dwordx2 s[8:9], s[8:9], 0x50
	s_waitcnt vmcnt(0)
	v_mbcnt_hi_u32_b32 v3, -1, v2
	v_readfirstlane_b32 s4, v3
	v_cmp_eq_u32_e64 s[4:5], s4, v3
	v_pk_mov_b32 v[8:9], 0, 0
	s_and_saveexec_b64 s[10:11], s[4:5]
	s_cbranch_execz .LBB21_93
; %bb.88:
	v_mov_b32_e32 v2, 0
	s_waitcnt lgkmcnt(0)
	global_load_dwordx2 v[6:7], v2, s[8:9] offset:24 glc
	s_waitcnt vmcnt(0)
	buffer_invl2
	buffer_wbinvl1_vol
	global_load_dwordx2 v[4:5], v2, s[8:9] offset:40
	global_load_dwordx2 v[8:9], v2, s[8:9]
	s_waitcnt vmcnt(1)
	v_and_b32_e32 v4, v4, v6
	v_and_b32_e32 v5, v5, v7
	v_mul_lo_u32 v5, v5, 24
	v_mul_hi_u32 v10, v4, 24
	v_mul_lo_u32 v4, v4, 24
	v_add_u32_e32 v5, v10, v5
	s_waitcnt vmcnt(0)
	v_add_co_u32_e32 v4, vcc, v8, v4
	v_addc_co_u32_e32 v5, vcc, v9, v5, vcc
	global_load_dwordx2 v[4:5], v[4:5], off glc
	s_waitcnt vmcnt(0)
	global_atomic_cmpswap_x2 v[8:9], v2, v[4:7], s[8:9] offset:24 glc
	s_waitcnt vmcnt(0)
	buffer_invl2
	buffer_wbinvl1_vol
	v_cmp_ne_u64_e32 vcc, v[8:9], v[6:7]
	s_and_saveexec_b64 s[12:13], vcc
	s_cbranch_execz .LBB21_92
; %bb.89:
	s_mov_b64 s[14:15], 0
.LBB21_90:                              ; =>This Inner Loop Header: Depth=1
	s_sleep 1
	global_load_dwordx2 v[4:5], v2, s[8:9] offset:40
	global_load_dwordx2 v[10:11], v2, s[8:9]
	v_pk_mov_b32 v[6:7], v[8:9], v[8:9] op_sel:[0,1]
	s_waitcnt vmcnt(1)
	v_and_b32_e32 v4, v4, v6
	v_and_b32_e32 v9, v5, v7
	s_waitcnt vmcnt(0)
	v_mad_u64_u32 v[4:5], s[16:17], v4, 24, v[10:11]
	v_mov_b32_e32 v8, v5
	v_mad_u64_u32 v[8:9], s[16:17], v9, 24, v[8:9]
	v_mov_b32_e32 v5, v8
	global_load_dwordx2 v[4:5], v[4:5], off glc
	s_waitcnt vmcnt(0)
	global_atomic_cmpswap_x2 v[8:9], v2, v[4:7], s[8:9] offset:24 glc
	s_waitcnt vmcnt(0)
	buffer_invl2
	buffer_wbinvl1_vol
	v_cmp_eq_u64_e32 vcc, v[8:9], v[6:7]
	s_or_b64 s[14:15], vcc, s[14:15]
	s_andn2_b64 exec, exec, s[14:15]
	s_cbranch_execnz .LBB21_90
; %bb.91:
	s_or_b64 exec, exec, s[14:15]
.LBB21_92:
	s_or_b64 exec, exec, s[12:13]
.LBB21_93:
	s_or_b64 exec, exec, s[10:11]
	v_mov_b32_e32 v2, 0
	s_waitcnt lgkmcnt(0)
	global_load_dwordx2 v[10:11], v2, s[8:9] offset:40
	global_load_dwordx4 v[4:7], v2, s[8:9]
	v_readfirstlane_b32 s10, v8
	v_readfirstlane_b32 s11, v9
	s_mov_b64 s[12:13], exec
	s_waitcnt vmcnt(1)
	v_readfirstlane_b32 s14, v10
	v_readfirstlane_b32 s15, v11
	s_and_b64 s[14:15], s[10:11], s[14:15]
	s_mul_i32 s16, s15, 24
	s_mul_hi_u32 s17, s14, 24
	s_mul_i32 s18, s14, 24
	s_add_i32 s16, s17, s16
	v_mov_b32_e32 v9, s16
	s_waitcnt vmcnt(0)
	v_add_co_u32_e32 v8, vcc, s18, v4
	v_addc_co_u32_e32 v9, vcc, v5, v9, vcc
	s_and_saveexec_b64 s[16:17], s[4:5]
	s_cbranch_execz .LBB21_95
; %bb.94:
	v_pk_mov_b32 v[10:11], s[12:13], s[12:13] op_sel:[0,1]
	v_mov_b32_e32 v12, 2
	v_mov_b32_e32 v13, 1
	global_store_dwordx4 v[8:9], v[10:13], off offset:8
.LBB21_95:
	s_or_b64 exec, exec, s[16:17]
	s_lshl_b64 s[12:13], s[14:15], 12
	v_mov_b32_e32 v10, s13
	v_add_co_u32_e32 v6, vcc, s12, v6
	s_movk_i32 s12, 0xff1f
	v_addc_co_u32_e32 v7, vcc, v7, v10, vcc
	v_and_or_b32 v0, v0, s12, 32
	s_mov_b32 s12, 0
	v_lshlrev_b32_e32 v10, 6, v3
	v_mov_b32_e32 v3, v2
	v_readfirstlane_b32 s16, v6
	v_readfirstlane_b32 s17, v7
	s_mov_b32 s13, s12
	s_mov_b32 s14, s12
	;; [unrolled: 1-line block ×3, first 2 shown]
	s_nop 1
	global_store_dwordx4 v10, v[0:3], s[16:17]
	s_nop 0
	v_pk_mov_b32 v[0:1], s[12:13], s[12:13] op_sel:[0,1]
	v_pk_mov_b32 v[2:3], s[14:15], s[14:15] op_sel:[0,1]
	global_store_dwordx4 v10, v[0:3], s[16:17] offset:16
	global_store_dwordx4 v10, v[0:3], s[16:17] offset:32
	;; [unrolled: 1-line block ×3, first 2 shown]
	s_and_saveexec_b64 s[12:13], s[4:5]
	s_cbranch_execz .LBB21_103
; %bb.96:
	v_mov_b32_e32 v6, 0
	global_load_dwordx2 v[12:13], v6, s[8:9] offset:32 glc
	global_load_dwordx2 v[0:1], v6, s[8:9] offset:40
	v_mov_b32_e32 v10, s10
	v_mov_b32_e32 v11, s11
	s_waitcnt vmcnt(0)
	v_and_b32_e32 v0, s10, v0
	v_and_b32_e32 v1, s11, v1
	v_mul_lo_u32 v1, v1, 24
	v_mul_hi_u32 v2, v0, 24
	v_mul_lo_u32 v0, v0, 24
	v_add_u32_e32 v1, v2, v1
	v_add_co_u32_e32 v4, vcc, v4, v0
	v_addc_co_u32_e32 v5, vcc, v5, v1, vcc
	global_store_dwordx2 v[4:5], v[12:13], off
	buffer_wbl2
	s_waitcnt vmcnt(0)
	global_atomic_cmpswap_x2 v[2:3], v6, v[10:13], s[8:9] offset:32 glc
	s_waitcnt vmcnt(0)
	v_cmp_ne_u64_e32 vcc, v[2:3], v[12:13]
	s_and_saveexec_b64 s[14:15], vcc
	s_cbranch_execz .LBB21_99
; %bb.97:
	s_mov_b64 s[16:17], 0
.LBB21_98:                              ; =>This Inner Loop Header: Depth=1
	s_sleep 1
	global_store_dwordx2 v[4:5], v[2:3], off
	v_mov_b32_e32 v0, s10
	v_mov_b32_e32 v1, s11
	buffer_wbl2
	s_waitcnt vmcnt(0)
	global_atomic_cmpswap_x2 v[0:1], v6, v[0:3], s[8:9] offset:32 glc
	s_waitcnt vmcnt(0)
	v_cmp_eq_u64_e32 vcc, v[0:1], v[2:3]
	s_or_b64 s[16:17], vcc, s[16:17]
	v_pk_mov_b32 v[2:3], v[0:1], v[0:1] op_sel:[0,1]
	s_andn2_b64 exec, exec, s[16:17]
	s_cbranch_execnz .LBB21_98
.LBB21_99:
	s_or_b64 exec, exec, s[14:15]
	v_mov_b32_e32 v3, 0
	global_load_dwordx2 v[0:1], v3, s[8:9] offset:16
	s_mov_b64 s[14:15], exec
	v_mbcnt_lo_u32_b32 v2, s14, 0
	v_mbcnt_hi_u32_b32 v2, s15, v2
	v_cmp_eq_u32_e32 vcc, 0, v2
	s_and_saveexec_b64 s[16:17], vcc
	s_cbranch_execz .LBB21_101
; %bb.100:
	s_bcnt1_i32_b64 s14, s[14:15]
	v_mov_b32_e32 v2, s14
	buffer_wbl2
	s_waitcnt vmcnt(0)
	global_atomic_add_x2 v[0:1], v[2:3], off offset:8
.LBB21_101:
	s_or_b64 exec, exec, s[16:17]
	s_waitcnt vmcnt(0)
	global_load_dwordx2 v[2:3], v[0:1], off offset:16
	s_waitcnt vmcnt(0)
	v_cmp_eq_u64_e32 vcc, 0, v[2:3]
	s_cbranch_vccnz .LBB21_103
; %bb.102:
	global_load_dword v0, v[0:1], off offset:24
	v_mov_b32_e32 v1, 0
	buffer_wbl2
	s_waitcnt vmcnt(0)
	global_store_dwordx2 v[2:3], v[0:1], off
	v_and_b32_e32 v0, 0xffffff, v0
	v_readfirstlane_b32 m0, v0
	s_sendmsg sendmsg(MSG_INTERRUPT)
.LBB21_103:
	s_or_b64 exec, exec, s[12:13]
	s_branch .LBB21_107
.LBB21_104:                             ;   in Loop: Header=BB21_107 Depth=1
	s_or_b64 exec, exec, s[12:13]
	v_readfirstlane_b32 s12, v0
	s_cmp_eq_u32 s12, 0
	s_cbranch_scc1 .LBB21_106
; %bb.105:                              ;   in Loop: Header=BB21_107 Depth=1
	s_sleep 1
	s_cbranch_execnz .LBB21_107
	s_branch .LBB21_110
.LBB21_106:
	s_branch .LBB21_110
.LBB21_107:                             ; =>This Inner Loop Header: Depth=1
	v_mov_b32_e32 v0, 1
	s_and_saveexec_b64 s[12:13], s[4:5]
	s_cbranch_execz .LBB21_104
; %bb.108:                              ;   in Loop: Header=BB21_107 Depth=1
	global_load_dword v0, v[8:9], off offset:20 glc
	s_waitcnt vmcnt(0)
	buffer_invl2
	buffer_wbinvl1_vol
	v_and_b32_e32 v0, 1, v0
	s_branch .LBB21_104
.LBB21_109:
	s_or_b64 exec, exec, s[6:7]
	s_waitcnt vmcnt(0) lgkmcnt(0)
	s_setpc_b64 s[30:31]
.LBB21_110:
	s_and_saveexec_b64 s[12:13], s[4:5]
	s_cbranch_execz .LBB21_113
; %bb.111:
	v_mov_b32_e32 v6, 0
	global_load_dwordx2 v[4:5], v6, s[8:9] offset:40
	global_load_dwordx2 v[8:9], v6, s[8:9] offset:24 glc
	global_load_dwordx2 v[10:11], v6, s[8:9]
	v_mov_b32_e32 v1, s11
	s_mov_b64 s[4:5], 0
	s_waitcnt vmcnt(2)
	v_add_co_u32_e32 v3, vcc, 1, v4
	v_addc_co_u32_e32 v7, vcc, 0, v5, vcc
	v_add_co_u32_e32 v0, vcc, s10, v3
	v_addc_co_u32_e32 v1, vcc, v7, v1, vcc
	v_cmp_eq_u64_e32 vcc, 0, v[0:1]
	v_cndmask_b32_e32 v1, v1, v7, vcc
	v_cndmask_b32_e32 v0, v0, v3, vcc
	v_and_b32_e32 v3, v1, v5
	v_and_b32_e32 v4, v0, v4
	v_mul_lo_u32 v3, v3, 24
	v_mul_hi_u32 v5, v4, 24
	v_mul_lo_u32 v4, v4, 24
	v_add_u32_e32 v3, v5, v3
	s_waitcnt vmcnt(0)
	v_add_co_u32_e32 v4, vcc, v10, v4
	v_addc_co_u32_e32 v5, vcc, v11, v3, vcc
	v_mov_b32_e32 v2, v8
	global_store_dwordx2 v[4:5], v[8:9], off
	v_mov_b32_e32 v3, v9
	buffer_wbl2
	s_waitcnt vmcnt(0)
	global_atomic_cmpswap_x2 v[2:3], v6, v[0:3], s[8:9] offset:24 glc
	s_waitcnt vmcnt(0)
	v_cmp_ne_u64_e32 vcc, v[2:3], v[8:9]
	s_and_b64 exec, exec, vcc
	s_cbranch_execz .LBB21_113
.LBB21_112:                             ; =>This Inner Loop Header: Depth=1
	s_sleep 1
	global_store_dwordx2 v[4:5], v[2:3], off
	buffer_wbl2
	s_waitcnt vmcnt(0)
	global_atomic_cmpswap_x2 v[8:9], v6, v[0:3], s[8:9] offset:24 glc
	s_waitcnt vmcnt(0)
	v_cmp_eq_u64_e32 vcc, v[8:9], v[2:3]
	s_or_b64 s[4:5], vcc, s[4:5]
	v_pk_mov_b32 v[2:3], v[8:9], v[8:9] op_sel:[0,1]
	s_andn2_b64 exec, exec, s[4:5]
	s_cbranch_execnz .LBB21_112
.LBB21_113:
	s_or_b64 exec, exec, s[12:13]
	s_or_b64 exec, exec, s[6:7]
	s_waitcnt vmcnt(0) lgkmcnt(0)
	s_setpc_b64 s[30:31]
.Lfunc_end21:
	.size	__ockl_fprintf_append_string_n, .Lfunc_end21-__ockl_fprintf_append_string_n
                                        ; -- End function
	.section	.AMDGPU.csdata,"",@progbits
; Function info:
; codeLenInByte = 4372
; NumSgprs: 36
; NumVgprs: 38
; NumAgprs: 0
; TotalNumVgprs: 38
; ScratchSize: 0
; MemoryBound: 0
	.text
	.p2align	2                               ; -- Begin function __assert_fail
	.type	__assert_fail,@function
__assert_fail:                          ; @__assert_fail
; %bb.0:
	s_waitcnt vmcnt(0) expcnt(0) lgkmcnt(0)
	s_mov_b32 s25, s33
	s_mov_b32 s33, s32
	s_or_saveexec_b64 s[4:5], -1
	buffer_store_dword v40, off, s[0:3], s33 offset:48 ; 4-byte Folded Spill
	s_mov_b64 exec, s[4:5]
	v_writelane_b32 v40, s30, 0
	s_addk_i32 s32, 0x1000
	v_writelane_b32 v40, s31, 1
	s_getpc_b64 s[4:5]
	s_add_u32 s4, s4, __const.__assert_fail.fmt@rel32@lo+4
	s_addc_u32 s5, s5, __const.__assert_fail.fmt@rel32@hi+12
	s_load_dwordx4 s[4:7], s[4:5], 0x0
	v_mov_b32_e32 v4, v0
	v_mov_b32_e32 v0, 0xa2e
	buffer_store_short v0, off, s[0:3], s33 offset:44
	v_mov_b32_e32 v0, 0x64656c69
	buffer_store_dword v0, off, s[0:3], s33 offset:40
	v_mov_b32_e32 v0, 0x61662027
	s_getpc_b64 s[10:11]
	s_add_u32 s10, s10, __const.__assert_fail.fmt@rel32@lo+20
	s_addc_u32 s11, s11, __const.__assert_fail.fmt@rel32@hi+28
	buffer_store_dword v0, off, s[0:3], s33 offset:36
	v_mov_b32_e32 v0, 0x73256020
	s_load_dwordx4 s[12:15], s[10:11], 0x0
	buffer_store_dword v0, off, s[0:3], s33 offset:32
	s_waitcnt lgkmcnt(0)
	v_mov_b32_e32 v0, s7
	buffer_store_dword v0, off, s[0:3], s33 offset:12
	v_mov_b32_e32 v0, s6
	buffer_store_dword v0, off, s[0:3], s33 offset:8
	;; [unrolled: 2-line block ×3, first 2 shown]
	v_mov_b32_e32 v0, s4
	buffer_store_dword v0, off, s[0:3], s33
	v_mov_b32_e32 v0, s15
	buffer_store_dword v0, off, s[0:3], s33 offset:28
	v_mov_b32_e32 v0, s14
	buffer_store_dword v0, off, s[0:3], s33 offset:24
	;; [unrolled: 2-line block ×3, first 2 shown]
	v_mov_b32_e32 v0, s12
	s_load_dwordx2 s[10:11], s[8:9], 0x50
	buffer_store_dword v0, off, s[0:3], s33 offset:16
	v_mbcnt_lo_u32_b32 v0, -1, 0
	v_mbcnt_hi_u32_b32 v37, -1, v0
	v_readfirstlane_b32 s4, v37
	v_mov_b32_e32 v5, v1
	v_mov_b32_e32 v8, 0
	v_cmp_eq_u32_e64 s[4:5], s4, v37
	v_pk_mov_b32 v[6:7], 0, 0
	buffer_store_byte v8, off, s[0:3], s33 offset:46
	s_and_saveexec_b64 s[6:7], s[4:5]
	s_cbranch_execz .LBB22_6
; %bb.1:
	s_waitcnt lgkmcnt(0)
	global_load_dwordx2 v[2:3], v8, s[10:11] offset:24 glc
	s_waitcnt vmcnt(0)
	buffer_invl2
	buffer_wbinvl1_vol
	global_load_dwordx2 v[0:1], v8, s[10:11] offset:40
	global_load_dwordx2 v[6:7], v8, s[10:11]
	s_waitcnt vmcnt(1)
	v_and_b32_e32 v0, v0, v2
	v_and_b32_e32 v1, v1, v3
	v_mul_lo_u32 v1, v1, 24
	v_mul_hi_u32 v9, v0, 24
	v_mul_lo_u32 v0, v0, 24
	v_add_u32_e32 v1, v9, v1
	s_waitcnt vmcnt(0)
	v_add_co_u32_e32 v0, vcc, v6, v0
	v_addc_co_u32_e32 v1, vcc, v7, v1, vcc
	global_load_dwordx2 v[0:1], v[0:1], off glc
	s_waitcnt vmcnt(0)
	global_atomic_cmpswap_x2 v[6:7], v8, v[0:3], s[10:11] offset:24 glc
	s_waitcnt vmcnt(0)
	buffer_invl2
	buffer_wbinvl1_vol
	v_cmp_ne_u64_e32 vcc, v[6:7], v[2:3]
	s_and_saveexec_b64 s[12:13], vcc
	s_cbranch_execz .LBB22_5
; %bb.2:
	s_mov_b64 s[14:15], 0
.LBB22_3:                               ; =>This Inner Loop Header: Depth=1
	s_sleep 1
	global_load_dwordx2 v[0:1], v8, s[10:11] offset:40
	global_load_dwordx2 v[10:11], v8, s[10:11]
	v_pk_mov_b32 v[2:3], v[6:7], v[6:7] op_sel:[0,1]
	s_waitcnt vmcnt(1)
	v_and_b32_e32 v0, v0, v2
	v_and_b32_e32 v7, v1, v3
	s_waitcnt vmcnt(0)
	v_mad_u64_u32 v[0:1], s[16:17], v0, 24, v[10:11]
	v_mov_b32_e32 v6, v1
	v_mad_u64_u32 v[6:7], s[16:17], v7, 24, v[6:7]
	v_mov_b32_e32 v1, v6
	global_load_dwordx2 v[0:1], v[0:1], off glc
	s_waitcnt vmcnt(0)
	global_atomic_cmpswap_x2 v[6:7], v8, v[0:3], s[10:11] offset:24 glc
	s_waitcnt vmcnt(0)
	buffer_invl2
	buffer_wbinvl1_vol
	v_cmp_eq_u64_e32 vcc, v[6:7], v[2:3]
	s_or_b64 s[14:15], vcc, s[14:15]
	s_andn2_b64 exec, exec, s[14:15]
	s_cbranch_execnz .LBB22_3
; %bb.4:
	s_or_b64 exec, exec, s[14:15]
.LBB22_5:
	s_or_b64 exec, exec, s[12:13]
.LBB22_6:
	s_or_b64 exec, exec, s[6:7]
	s_waitcnt lgkmcnt(0)
	global_load_dwordx2 v[10:11], v8, s[10:11] offset:40
	global_load_dwordx4 v[0:3], v8, s[10:11]
	v_readfirstlane_b32 s6, v6
	v_readfirstlane_b32 s7, v7
	s_mov_b64 s[12:13], exec
	s_waitcnt vmcnt(1)
	v_readfirstlane_b32 s14, v10
	v_readfirstlane_b32 s15, v11
	s_and_b64 s[14:15], s[6:7], s[14:15]
	s_mul_i32 s16, s15, 24
	s_mul_hi_u32 s17, s14, 24
	s_mul_i32 s18, s14, 24
	s_add_i32 s16, s17, s16
	v_mov_b32_e32 v6, s16
	s_waitcnt vmcnt(0)
	v_add_co_u32_e32 v10, vcc, s18, v0
	v_addc_co_u32_e32 v11, vcc, v1, v6, vcc
	s_and_saveexec_b64 s[16:17], s[4:5]
	s_cbranch_execz .LBB22_8
; %bb.7:
	v_pk_mov_b32 v[6:7], s[12:13], s[12:13] op_sel:[0,1]
	v_mov_b32_e32 v8, 2
	v_mov_b32_e32 v9, 1
	global_store_dwordx4 v[10:11], v[6:9], off offset:8
.LBB22_8:
	s_or_b64 exec, exec, s[16:17]
	s_lshl_b64 s[12:13], s[14:15], 12
	v_mov_b32_e32 v6, s13
	v_add_co_u32_e32 v2, vcc, s12, v2
	s_mov_b32 s12, 0
	v_addc_co_u32_e32 v3, vcc, v3, v6, vcc
	v_lshlrev_b32_e32 v36, 6, v37
	s_mov_b32 s14, s12
	s_mov_b32 s15, s12
	v_mov_b32_e32 v7, 0
	v_add_co_u32_e32 v12, vcc, v2, v36
	s_mov_b32 s13, s12
	v_pk_mov_b32 v[16:17], s[14:15], s[14:15] op_sel:[0,1]
	v_addc_co_u32_e32 v13, vcc, 0, v3, vcc
	v_mov_b32_e32 v6, 33
	v_mov_b32_e32 v8, 1
	v_mov_b32_e32 v9, v7
	v_readfirstlane_b32 s16, v2
	v_readfirstlane_b32 s17, v3
	v_pk_mov_b32 v[14:15], s[12:13], s[12:13] op_sel:[0,1]
	s_nop 3
	global_store_dwordx4 v36, v[6:9], s[16:17]
	global_store_dwordx4 v36, v[14:17], s[16:17] offset:16
	global_store_dwordx4 v36, v[14:17], s[16:17] offset:32
	;; [unrolled: 1-line block ×3, first 2 shown]
	s_and_saveexec_b64 s[12:13], s[4:5]
	s_cbranch_execz .LBB22_16
; %bb.9:
	global_load_dwordx2 v[16:17], v7, s[10:11] offset:32 glc
	global_load_dwordx2 v[2:3], v7, s[10:11] offset:40
	v_mov_b32_e32 v14, s6
	v_mov_b32_e32 v15, s7
	s_waitcnt vmcnt(0)
	v_and_b32_e32 v2, s6, v2
	v_and_b32_e32 v3, s7, v3
	v_mul_lo_u32 v3, v3, 24
	v_mul_hi_u32 v6, v2, 24
	v_mul_lo_u32 v2, v2, 24
	v_add_u32_e32 v3, v6, v3
	v_add_co_u32_e32 v8, vcc, v0, v2
	v_addc_co_u32_e32 v9, vcc, v1, v3, vcc
	global_store_dwordx2 v[8:9], v[16:17], off
	buffer_wbl2
	s_waitcnt vmcnt(0)
	global_atomic_cmpswap_x2 v[2:3], v7, v[14:17], s[10:11] offset:32 glc
	s_waitcnt vmcnt(0)
	v_cmp_ne_u64_e32 vcc, v[2:3], v[16:17]
	s_and_saveexec_b64 s[14:15], vcc
	s_cbranch_execz .LBB22_12
; %bb.10:
	s_mov_b64 s[16:17], 0
.LBB22_11:                              ; =>This Inner Loop Header: Depth=1
	s_sleep 1
	global_store_dwordx2 v[8:9], v[2:3], off
	v_mov_b32_e32 v0, s6
	v_mov_b32_e32 v1, s7
	buffer_wbl2
	s_waitcnt vmcnt(0)
	global_atomic_cmpswap_x2 v[0:1], v7, v[0:3], s[10:11] offset:32 glc
	s_waitcnt vmcnt(0)
	v_cmp_eq_u64_e32 vcc, v[0:1], v[2:3]
	s_or_b64 s[16:17], vcc, s[16:17]
	v_pk_mov_b32 v[2:3], v[0:1], v[0:1] op_sel:[0,1]
	s_andn2_b64 exec, exec, s[16:17]
	s_cbranch_execnz .LBB22_11
.LBB22_12:
	s_or_b64 exec, exec, s[14:15]
	v_mov_b32_e32 v3, 0
	global_load_dwordx2 v[0:1], v3, s[10:11] offset:16
	s_mov_b64 s[14:15], exec
	v_mbcnt_lo_u32_b32 v2, s14, 0
	v_mbcnt_hi_u32_b32 v2, s15, v2
	v_cmp_eq_u32_e32 vcc, 0, v2
	s_and_saveexec_b64 s[16:17], vcc
	s_cbranch_execz .LBB22_14
; %bb.13:
	s_bcnt1_i32_b64 s14, s[14:15]
	v_mov_b32_e32 v2, s14
	buffer_wbl2
	s_waitcnt vmcnt(0)
	global_atomic_add_x2 v[0:1], v[2:3], off offset:8
.LBB22_14:
	s_or_b64 exec, exec, s[16:17]
	s_waitcnt vmcnt(0)
	global_load_dwordx2 v[2:3], v[0:1], off offset:16
	s_waitcnt vmcnt(0)
	v_cmp_eq_u64_e32 vcc, 0, v[2:3]
	s_cbranch_vccnz .LBB22_16
; %bb.15:
	global_load_dword v0, v[0:1], off offset:24
	v_mov_b32_e32 v1, 0
	buffer_wbl2
	s_waitcnt vmcnt(0)
	global_store_dwordx2 v[2:3], v[0:1], off
	v_and_b32_e32 v0, 0xffffff, v0
	v_readfirstlane_b32 m0, v0
	s_sendmsg sendmsg(MSG_INTERRUPT)
.LBB22_16:
	s_or_b64 exec, exec, s[12:13]
	s_branch .LBB22_20
.LBB22_17:                              ;   in Loop: Header=BB22_20 Depth=1
	s_or_b64 exec, exec, s[12:13]
	v_readfirstlane_b32 s12, v0
	s_cmp_eq_u32 s12, 0
	s_cbranch_scc1 .LBB22_19
; %bb.18:                               ;   in Loop: Header=BB22_20 Depth=1
	s_sleep 1
	s_cbranch_execnz .LBB22_20
	s_branch .LBB22_22
.LBB22_19:
	s_branch .LBB22_22
.LBB22_20:                              ; =>This Inner Loop Header: Depth=1
	v_mov_b32_e32 v0, 1
	s_and_saveexec_b64 s[12:13], s[4:5]
	s_cbranch_execz .LBB22_17
; %bb.21:                               ;   in Loop: Header=BB22_20 Depth=1
	global_load_dword v0, v[10:11], off offset:20 glc
	s_waitcnt vmcnt(0)
	buffer_invl2
	buffer_wbinvl1_vol
	v_and_b32_e32 v0, 1, v0
	s_branch .LBB22_17
.LBB22_22:
	global_load_dwordx2 v[6:7], v[12:13], off
	s_and_saveexec_b64 s[12:13], s[4:5]
	s_cbranch_execz .LBB22_25
; %bb.23:
	v_mov_b32_e32 v10, 0
	global_load_dwordx2 v[8:9], v10, s[10:11] offset:40
	global_load_dwordx2 v[12:13], v10, s[10:11] offset:24 glc
	global_load_dwordx2 v[14:15], v10, s[10:11]
	v_mov_b32_e32 v1, s7
	s_mov_b64 s[4:5], 0
	s_waitcnt vmcnt(2)
	v_add_co_u32_e32 v3, vcc, 1, v8
	v_addc_co_u32_e32 v11, vcc, 0, v9, vcc
	v_add_co_u32_e32 v0, vcc, s6, v3
	v_addc_co_u32_e32 v1, vcc, v11, v1, vcc
	v_cmp_eq_u64_e32 vcc, 0, v[0:1]
	v_cndmask_b32_e32 v1, v1, v11, vcc
	v_cndmask_b32_e32 v0, v0, v3, vcc
	v_and_b32_e32 v3, v1, v9
	v_and_b32_e32 v8, v0, v8
	v_mul_lo_u32 v3, v3, 24
	v_mul_hi_u32 v9, v8, 24
	v_mul_lo_u32 v8, v8, 24
	v_add_u32_e32 v3, v9, v3
	s_waitcnt vmcnt(0)
	v_add_co_u32_e32 v8, vcc, v14, v8
	v_addc_co_u32_e32 v9, vcc, v15, v3, vcc
	v_mov_b32_e32 v2, v12
	global_store_dwordx2 v[8:9], v[12:13], off
	v_mov_b32_e32 v3, v13
	buffer_wbl2
	s_waitcnt vmcnt(0)
	global_atomic_cmpswap_x2 v[2:3], v10, v[0:3], s[10:11] offset:24 glc
	s_waitcnt vmcnt(0)
	v_cmp_ne_u64_e32 vcc, v[2:3], v[12:13]
	s_and_b64 exec, exec, vcc
	s_cbranch_execz .LBB22_25
.LBB22_24:                              ; =>This Inner Loop Header: Depth=1
	s_sleep 1
	global_store_dwordx2 v[8:9], v[2:3], off
	buffer_wbl2
	s_waitcnt vmcnt(0)
	global_atomic_cmpswap_x2 v[12:13], v10, v[0:3], s[10:11] offset:24 glc
	s_waitcnt vmcnt(0)
	v_cmp_eq_u64_e32 vcc, v[12:13], v[2:3]
	s_or_b64 s[4:5], vcc, s[4:5]
	v_pk_mov_b32 v[2:3], v[12:13], v[12:13] op_sel:[0,1]
	s_andn2_b64 exec, exec, s[4:5]
	s_cbranch_execnz .LBB22_24
.LBB22_25:
	s_or_b64 exec, exec, s[12:13]
	v_lshrrev_b32_e64 v1, 6, s33
	s_mov_b64 s[4:5], 0
.LBB22_26:                              ; =>This Inner Loop Header: Depth=1
	buffer_load_ubyte v2, v1, s[0:3], 0 offen
	v_add_u32_e32 v0, 1, v1
	v_mov_b32_e32 v1, v0
	s_waitcnt vmcnt(0)
	v_cmp_eq_u16_e32 vcc, 0, v2
	s_or_b64 s[4:5], vcc, s[4:5]
	s_andn2_b64 exec, exec, s[4:5]
	s_cbranch_execnz .LBB22_26
; %bb.27:
	s_or_b64 exec, exec, s[4:5]
	v_lshrrev_b32_e64 v31, 6, s33
	v_cmp_ne_u32_e32 vcc, -1, v31
	s_cbranch_vccz .LBB22_112
; %bb.28:
	v_lshrrev_b32_e64 v1, 6, s33
	v_subrev_u32_e32 v28, v1, v0
	v_ashrrev_i32_e32 v29, 31, v28
	v_and_b32_e32 v30, 2, v6
	v_mov_b32_e32 v33, 0
	v_and_b32_e32 v0, -3, v6
	v_mov_b32_e32 v1, v7
	s_mov_b64 s[12:13], 0
	s_mov_b32 s20, 0
	s_movk_i32 s21, 0xff1f
	v_mov_b32_e32 v10, 2
	v_mov_b32_e32 v11, 1
	s_branch .LBB22_30
.LBB22_29:                              ;   in Loop: Header=BB22_30 Depth=1
	s_or_b64 exec, exec, s[6:7]
	v_sub_co_u32_e32 v28, vcc, v28, v38
	v_subb_co_u32_e32 v29, vcc, v29, v39, vcc
	v_cmp_eq_u64_e32 vcc, 0, v[28:29]
	s_or_b64 s[12:13], vcc, s[12:13]
	v_add_u32_e32 v31, v31, v38
	s_andn2_b64 exec, exec, s[12:13]
	s_cbranch_execz .LBB22_113
.LBB22_30:                              ; =>This Loop Header: Depth=1
                                        ;     Child Loop BB22_33 Depth 2
                                        ;     Child Loop BB22_41 Depth 2
	;; [unrolled: 1-line block ×11, first 2 shown]
	v_cmp_gt_u64_e32 vcc, 56, v[28:29]
	v_cndmask_b32_e32 v38, 56, v28, vcc
	v_cmp_gt_u64_e64 s[4:5], 8, v[28:29]
                                        ; implicit-def: $vgpr2_vgpr3
                                        ; implicit-def: $sgpr14
	s_and_saveexec_b64 s[6:7], s[4:5]
	s_xor_b64 s[6:7], exec, s[6:7]
	s_cbranch_execz .LBB22_36
; %bb.31:                               ;   in Loop: Header=BB22_30 Depth=1
	s_mov_b64 s[16:17], 0
	v_cmp_ne_u64_e64 s[4:5], 0, v[28:29]
	s_waitcnt vmcnt(0)
	v_pk_mov_b32 v[2:3], 0, 0
	s_and_saveexec_b64 s[14:15], s[4:5]
	s_cbranch_execz .LBB22_35
; %bb.32:                               ;   in Loop: Header=BB22_30 Depth=1
	s_mov_b32 s22, 0
	v_pk_mov_b32 v[2:3], 0, 0
	s_mov_b64 s[18:19], 0
.LBB22_33:                              ;   Parent Loop BB22_30 Depth=1
                                        ; =>  This Inner Loop Header: Depth=2
	v_add_u32_e32 v8, s22, v31
	buffer_load_ubyte v8, v8, s[0:3], 0 offen
	v_mov_b32_e32 v9, s20
	s_add_i32 s22, s22, 1
	v_cmp_eq_u32_e64 s[4:5], s22, v38
	s_waitcnt vmcnt(0)
	v_and_b32_e32 v8, 0xffff, v8
	v_lshlrev_b64 v[8:9], s18, v[8:9]
	s_add_u32 s18, s18, 8
	s_addc_u32 s19, s19, 0
	v_or_b32_e32 v3, v9, v3
	s_or_b64 s[16:17], s[4:5], s[16:17]
	v_or_b32_e32 v2, v8, v2
	s_andn2_b64 exec, exec, s[16:17]
	s_cbranch_execnz .LBB22_33
; %bb.34:                               ;   in Loop: Header=BB22_30 Depth=1
	s_or_b64 exec, exec, s[16:17]
.LBB22_35:                              ;   in Loop: Header=BB22_30 Depth=1
	s_or_b64 exec, exec, s[14:15]
	s_mov_b32 s14, 0
.LBB22_36:                              ;   in Loop: Header=BB22_30 Depth=1
	s_or_saveexec_b64 s[4:5], s[6:7]
	v_mov_b32_e32 v9, s14
	v_mov_b32_e32 v8, v31
	s_xor_b64 exec, exec, s[4:5]
	s_cbranch_execz .LBB22_38
; %bb.37:                               ;   in Loop: Header=BB22_30 Depth=1
	buffer_load_dword v2, v31, s[0:3], 0 offen offset:4
	buffer_load_dword v3, v31, s[0:3], 0 offen
	v_add_u32_e32 v9, -8, v38
	s_waitcnt vmcnt(1)
	v_and_b32_e32 v8, 0xff, v2
	v_and_b32_e32 v12, 0xff00, v2
	s_waitcnt vmcnt(0)
	v_or3_b32 v3, v3, 0, 0
	v_and_b32_e32 v13, 0xff0000, v2
	v_and_b32_e32 v14, 0xff000000, v2
	v_or3_b32 v8, 0, v8, v12
	v_or3_b32 v2, v3, 0, 0
	;; [unrolled: 1-line block ×3, first 2 shown]
	v_add_u32_e32 v8, 8, v31
.LBB22_38:                              ;   in Loop: Header=BB22_30 Depth=1
	s_or_b64 exec, exec, s[4:5]
	v_cmp_gt_u32_e64 s[4:5], 8, v9
                                        ; implicit-def: $vgpr12_vgpr13
                                        ; implicit-def: $sgpr14
	s_and_saveexec_b64 s[6:7], s[4:5]
	s_xor_b64 s[6:7], exec, s[6:7]
	s_cbranch_execz .LBB22_44
; %bb.39:                               ;   in Loop: Header=BB22_30 Depth=1
	v_cmp_ne_u32_e64 s[4:5], 0, v9
	v_pk_mov_b32 v[12:13], 0, 0
	s_and_saveexec_b64 s[14:15], s[4:5]
	s_cbranch_execz .LBB22_43
; %bb.40:                               ;   in Loop: Header=BB22_30 Depth=1
	s_mov_b32 s22, 0
	s_mov_b64 s[16:17], 0
	v_pk_mov_b32 v[12:13], 0, 0
	s_mov_b64 s[18:19], 0
.LBB22_41:                              ;   Parent Loop BB22_30 Depth=1
                                        ; =>  This Inner Loop Header: Depth=2
	v_add_u32_e32 v14, s22, v8
	buffer_load_ubyte v14, v14, s[0:3], 0 offen
	v_mov_b32_e32 v15, s20
	s_add_i32 s22, s22, 1
	v_cmp_eq_u32_e64 s[4:5], s22, v9
	s_waitcnt vmcnt(0)
	v_and_b32_e32 v14, 0xffff, v14
	v_lshlrev_b64 v[14:15], s18, v[14:15]
	s_add_u32 s18, s18, 8
	s_addc_u32 s19, s19, 0
	v_or_b32_e32 v13, v15, v13
	s_or_b64 s[16:17], s[4:5], s[16:17]
	v_or_b32_e32 v12, v14, v12
	s_andn2_b64 exec, exec, s[16:17]
	s_cbranch_execnz .LBB22_41
; %bb.42:                               ;   in Loop: Header=BB22_30 Depth=1
	s_or_b64 exec, exec, s[16:17]
.LBB22_43:                              ;   in Loop: Header=BB22_30 Depth=1
	s_or_b64 exec, exec, s[14:15]
	s_mov_b32 s14, 0
                                        ; implicit-def: $vgpr9
.LBB22_44:                              ;   in Loop: Header=BB22_30 Depth=1
	s_or_saveexec_b64 s[4:5], s[6:7]
	v_mov_b32_e32 v16, s14
	s_xor_b64 exec, exec, s[4:5]
	s_cbranch_execz .LBB22_46
; %bb.45:                               ;   in Loop: Header=BB22_30 Depth=1
	buffer_load_dword v12, v8, s[0:3], 0 offen offset:4
	buffer_load_dword v13, v8, s[0:3], 0 offen
	v_add_u32_e32 v16, -8, v9
	v_add_u32_e32 v8, 8, v8
	s_waitcnt vmcnt(1)
	v_and_b32_e32 v9, 0xff, v12
	v_and_b32_e32 v14, 0xff00, v12
	s_waitcnt vmcnt(0)
	v_or3_b32 v13, v13, 0, 0
	v_and_b32_e32 v15, 0xff0000, v12
	v_and_b32_e32 v17, 0xff000000, v12
	v_or3_b32 v9, 0, v9, v14
	v_or3_b32 v12, v13, 0, 0
	;; [unrolled: 1-line block ×3, first 2 shown]
.LBB22_46:                              ;   in Loop: Header=BB22_30 Depth=1
	s_or_b64 exec, exec, s[4:5]
	v_cmp_gt_u32_e64 s[4:5], 8, v16
                                        ; implicit-def: $sgpr14
	s_and_saveexec_b64 s[6:7], s[4:5]
	s_xor_b64 s[6:7], exec, s[6:7]
	s_cbranch_execz .LBB22_52
; %bb.47:                               ;   in Loop: Header=BB22_30 Depth=1
	v_cmp_ne_u32_e64 s[4:5], 0, v16
	v_pk_mov_b32 v[14:15], 0, 0
	s_and_saveexec_b64 s[14:15], s[4:5]
	s_cbranch_execz .LBB22_51
; %bb.48:                               ;   in Loop: Header=BB22_30 Depth=1
	s_mov_b32 s22, 0
	s_mov_b64 s[16:17], 0
	v_pk_mov_b32 v[14:15], 0, 0
	s_mov_b64 s[18:19], 0
.LBB22_49:                              ;   Parent Loop BB22_30 Depth=1
                                        ; =>  This Inner Loop Header: Depth=2
	v_add_u32_e32 v9, s22, v8
	buffer_load_ubyte v9, v9, s[0:3], 0 offen
	v_mov_b32_e32 v19, s20
	s_add_i32 s22, s22, 1
	v_cmp_eq_u32_e64 s[4:5], s22, v16
	s_waitcnt vmcnt(0)
	v_and_b32_e32 v18, 0xffff, v9
	v_lshlrev_b64 v[18:19], s18, v[18:19]
	s_add_u32 s18, s18, 8
	s_addc_u32 s19, s19, 0
	v_or_b32_e32 v15, v19, v15
	s_or_b64 s[16:17], s[4:5], s[16:17]
	v_or_b32_e32 v14, v18, v14
	s_andn2_b64 exec, exec, s[16:17]
	s_cbranch_execnz .LBB22_49
; %bb.50:                               ;   in Loop: Header=BB22_30 Depth=1
	s_or_b64 exec, exec, s[16:17]
.LBB22_51:                              ;   in Loop: Header=BB22_30 Depth=1
	s_or_b64 exec, exec, s[14:15]
	s_mov_b32 s14, 0
                                        ; implicit-def: $vgpr16
.LBB22_52:                              ;   in Loop: Header=BB22_30 Depth=1
	s_or_saveexec_b64 s[4:5], s[6:7]
	v_mov_b32_e32 v9, s14
	s_xor_b64 exec, exec, s[4:5]
	s_cbranch_execz .LBB22_54
; %bb.53:                               ;   in Loop: Header=BB22_30 Depth=1
	buffer_load_dword v14, v8, s[0:3], 0 offen offset:4
	buffer_load_dword v15, v8, s[0:3], 0 offen
	v_add_u32_e32 v9, -8, v16
	v_add_u32_e32 v8, 8, v8
	s_waitcnt vmcnt(1)
	v_and_b32_e32 v16, 0xff, v14
	v_and_b32_e32 v17, 0xff00, v14
	s_waitcnt vmcnt(0)
	v_or3_b32 v15, v15, 0, 0
	v_and_b32_e32 v18, 0xff0000, v14
	v_and_b32_e32 v19, 0xff000000, v14
	v_or3_b32 v16, 0, v16, v17
	v_or3_b32 v14, v15, 0, 0
	;; [unrolled: 1-line block ×3, first 2 shown]
.LBB22_54:                              ;   in Loop: Header=BB22_30 Depth=1
	s_or_b64 exec, exec, s[4:5]
	v_cmp_gt_u32_e64 s[4:5], 8, v9
                                        ; implicit-def: $vgpr16_vgpr17
                                        ; implicit-def: $sgpr14
	s_and_saveexec_b64 s[6:7], s[4:5]
	s_xor_b64 s[6:7], exec, s[6:7]
	s_cbranch_execz .LBB22_60
; %bb.55:                               ;   in Loop: Header=BB22_30 Depth=1
	v_cmp_ne_u32_e64 s[4:5], 0, v9
	v_pk_mov_b32 v[16:17], 0, 0
	s_and_saveexec_b64 s[14:15], s[4:5]
	s_cbranch_execz .LBB22_59
; %bb.56:                               ;   in Loop: Header=BB22_30 Depth=1
	s_mov_b32 s22, 0
	s_mov_b64 s[16:17], 0
	v_pk_mov_b32 v[16:17], 0, 0
	s_mov_b64 s[18:19], 0
.LBB22_57:                              ;   Parent Loop BB22_30 Depth=1
                                        ; =>  This Inner Loop Header: Depth=2
	v_add_u32_e32 v18, s22, v8
	buffer_load_ubyte v18, v18, s[0:3], 0 offen
	v_mov_b32_e32 v19, s20
	s_add_i32 s22, s22, 1
	v_cmp_eq_u32_e64 s[4:5], s22, v9
	s_waitcnt vmcnt(0)
	v_and_b32_e32 v18, 0xffff, v18
	v_lshlrev_b64 v[18:19], s18, v[18:19]
	s_add_u32 s18, s18, 8
	s_addc_u32 s19, s19, 0
	v_or_b32_e32 v17, v19, v17
	s_or_b64 s[16:17], s[4:5], s[16:17]
	v_or_b32_e32 v16, v18, v16
	s_andn2_b64 exec, exec, s[16:17]
	s_cbranch_execnz .LBB22_57
; %bb.58:                               ;   in Loop: Header=BB22_30 Depth=1
	s_or_b64 exec, exec, s[16:17]
.LBB22_59:                              ;   in Loop: Header=BB22_30 Depth=1
	s_or_b64 exec, exec, s[14:15]
	s_mov_b32 s14, 0
                                        ; implicit-def: $vgpr9
.LBB22_60:                              ;   in Loop: Header=BB22_30 Depth=1
	s_or_saveexec_b64 s[4:5], s[6:7]
	v_mov_b32_e32 v20, s14
	s_xor_b64 exec, exec, s[4:5]
	s_cbranch_execz .LBB22_62
; %bb.61:                               ;   in Loop: Header=BB22_30 Depth=1
	buffer_load_dword v16, v8, s[0:3], 0 offen offset:4
	buffer_load_dword v17, v8, s[0:3], 0 offen
	v_add_u32_e32 v20, -8, v9
	v_add_u32_e32 v8, 8, v8
	s_waitcnt vmcnt(1)
	v_and_b32_e32 v9, 0xff, v16
	v_and_b32_e32 v18, 0xff00, v16
	s_waitcnt vmcnt(0)
	v_or3_b32 v17, v17, 0, 0
	v_and_b32_e32 v19, 0xff0000, v16
	v_and_b32_e32 v21, 0xff000000, v16
	v_or3_b32 v9, 0, v9, v18
	v_or3_b32 v16, v17, 0, 0
	v_or3_b32 v17, v9, v19, v21
.LBB22_62:                              ;   in Loop: Header=BB22_30 Depth=1
	s_or_b64 exec, exec, s[4:5]
	v_cmp_gt_u32_e64 s[4:5], 8, v20
                                        ; implicit-def: $sgpr14
	s_and_saveexec_b64 s[6:7], s[4:5]
	s_xor_b64 s[6:7], exec, s[6:7]
	s_cbranch_execz .LBB22_68
; %bb.63:                               ;   in Loop: Header=BB22_30 Depth=1
	v_cmp_ne_u32_e64 s[4:5], 0, v20
	v_pk_mov_b32 v[18:19], 0, 0
	s_and_saveexec_b64 s[14:15], s[4:5]
	s_cbranch_execz .LBB22_67
; %bb.64:                               ;   in Loop: Header=BB22_30 Depth=1
	s_mov_b32 s22, 0
	s_mov_b64 s[16:17], 0
	v_pk_mov_b32 v[18:19], 0, 0
	s_mov_b64 s[18:19], 0
.LBB22_65:                              ;   Parent Loop BB22_30 Depth=1
                                        ; =>  This Inner Loop Header: Depth=2
	v_add_u32_e32 v9, s22, v8
	buffer_load_ubyte v9, v9, s[0:3], 0 offen
	v_mov_b32_e32 v23, s20
	s_add_i32 s22, s22, 1
	v_cmp_eq_u32_e64 s[4:5], s22, v20
	s_waitcnt vmcnt(0)
	v_and_b32_e32 v22, 0xffff, v9
	v_lshlrev_b64 v[22:23], s18, v[22:23]
	s_add_u32 s18, s18, 8
	s_addc_u32 s19, s19, 0
	v_or_b32_e32 v19, v23, v19
	s_or_b64 s[16:17], s[4:5], s[16:17]
	v_or_b32_e32 v18, v22, v18
	s_andn2_b64 exec, exec, s[16:17]
	s_cbranch_execnz .LBB22_65
; %bb.66:                               ;   in Loop: Header=BB22_30 Depth=1
	s_or_b64 exec, exec, s[16:17]
.LBB22_67:                              ;   in Loop: Header=BB22_30 Depth=1
	s_or_b64 exec, exec, s[14:15]
	s_mov_b32 s14, 0
                                        ; implicit-def: $vgpr20
.LBB22_68:                              ;   in Loop: Header=BB22_30 Depth=1
	s_or_saveexec_b64 s[4:5], s[6:7]
	v_mov_b32_e32 v9, s14
	s_xor_b64 exec, exec, s[4:5]
	s_cbranch_execz .LBB22_70
; %bb.69:                               ;   in Loop: Header=BB22_30 Depth=1
	buffer_load_dword v18, v8, s[0:3], 0 offen offset:4
	buffer_load_dword v19, v8, s[0:3], 0 offen
	v_add_u32_e32 v9, -8, v20
	v_add_u32_e32 v8, 8, v8
	s_waitcnt vmcnt(1)
	v_and_b32_e32 v20, 0xff, v18
	v_and_b32_e32 v21, 0xff00, v18
	s_waitcnt vmcnt(0)
	v_or3_b32 v19, v19, 0, 0
	v_and_b32_e32 v22, 0xff0000, v18
	v_and_b32_e32 v23, 0xff000000, v18
	v_or3_b32 v20, 0, v20, v21
	v_or3_b32 v18, v19, 0, 0
	v_or3_b32 v19, v20, v22, v23
.LBB22_70:                              ;   in Loop: Header=BB22_30 Depth=1
	s_or_b64 exec, exec, s[4:5]
	v_cmp_gt_u32_e64 s[4:5], 8, v9
                                        ; implicit-def: $vgpr20_vgpr21
                                        ; implicit-def: $sgpr14
	s_and_saveexec_b64 s[6:7], s[4:5]
	s_xor_b64 s[6:7], exec, s[6:7]
	s_cbranch_execz .LBB22_76
; %bb.71:                               ;   in Loop: Header=BB22_30 Depth=1
	v_cmp_ne_u32_e64 s[4:5], 0, v9
	v_pk_mov_b32 v[20:21], 0, 0
	s_and_saveexec_b64 s[14:15], s[4:5]
	s_cbranch_execz .LBB22_75
; %bb.72:                               ;   in Loop: Header=BB22_30 Depth=1
	s_mov_b32 s22, 0
	s_mov_b64 s[16:17], 0
	v_pk_mov_b32 v[20:21], 0, 0
	s_mov_b64 s[18:19], 0
.LBB22_73:                              ;   Parent Loop BB22_30 Depth=1
                                        ; =>  This Inner Loop Header: Depth=2
	v_add_u32_e32 v22, s22, v8
	buffer_load_ubyte v22, v22, s[0:3], 0 offen
	v_mov_b32_e32 v23, s20
	s_add_i32 s22, s22, 1
	v_cmp_eq_u32_e64 s[4:5], s22, v9
	s_waitcnt vmcnt(0)
	v_and_b32_e32 v22, 0xffff, v22
	v_lshlrev_b64 v[22:23], s18, v[22:23]
	s_add_u32 s18, s18, 8
	s_addc_u32 s19, s19, 0
	v_or_b32_e32 v21, v23, v21
	s_or_b64 s[16:17], s[4:5], s[16:17]
	v_or_b32_e32 v20, v22, v20
	s_andn2_b64 exec, exec, s[16:17]
	s_cbranch_execnz .LBB22_73
; %bb.74:                               ;   in Loop: Header=BB22_30 Depth=1
	s_or_b64 exec, exec, s[16:17]
.LBB22_75:                              ;   in Loop: Header=BB22_30 Depth=1
	s_or_b64 exec, exec, s[14:15]
	s_mov_b32 s14, 0
                                        ; implicit-def: $vgpr9
.LBB22_76:                              ;   in Loop: Header=BB22_30 Depth=1
	s_or_saveexec_b64 s[4:5], s[6:7]
	v_mov_b32_e32 v24, s14
	s_xor_b64 exec, exec, s[4:5]
	s_cbranch_execz .LBB22_78
; %bb.77:                               ;   in Loop: Header=BB22_30 Depth=1
	buffer_load_dword v20, v8, s[0:3], 0 offen offset:4
	buffer_load_dword v21, v8, s[0:3], 0 offen
	v_add_u32_e32 v24, -8, v9
	v_add_u32_e32 v8, 8, v8
	s_waitcnt vmcnt(1)
	v_and_b32_e32 v9, 0xff, v20
	v_and_b32_e32 v22, 0xff00, v20
	s_waitcnt vmcnt(0)
	v_or3_b32 v21, v21, 0, 0
	v_and_b32_e32 v23, 0xff0000, v20
	v_and_b32_e32 v25, 0xff000000, v20
	v_or3_b32 v9, 0, v9, v22
	v_or3_b32 v20, v21, 0, 0
	;; [unrolled: 1-line block ×3, first 2 shown]
.LBB22_78:                              ;   in Loop: Header=BB22_30 Depth=1
	s_or_b64 exec, exec, s[4:5]
	v_cmp_gt_u32_e64 s[4:5], 8, v24
	s_and_saveexec_b64 s[6:7], s[4:5]
	s_xor_b64 s[6:7], exec, s[6:7]
	s_cbranch_execz .LBB22_84
; %bb.79:                               ;   in Loop: Header=BB22_30 Depth=1
	v_cmp_ne_u32_e64 s[4:5], 0, v24
	v_pk_mov_b32 v[22:23], 0, 0
	s_and_saveexec_b64 s[14:15], s[4:5]
	s_cbranch_execz .LBB22_83
; %bb.80:                               ;   in Loop: Header=BB22_30 Depth=1
	s_mov_b64 s[16:17], 0
	v_pk_mov_b32 v[22:23], 0, 0
	s_mov_b64 s[18:19], 0
.LBB22_81:                              ;   Parent Loop BB22_30 Depth=1
                                        ; =>  This Inner Loop Header: Depth=2
	buffer_load_ubyte v9, v8, s[0:3], 0 offen
	v_mov_b32_e32 v27, s20
	v_add_u32_e32 v24, -1, v24
	v_cmp_eq_u32_e64 s[4:5], 0, v24
	v_add_u32_e32 v8, 1, v8
	s_waitcnt vmcnt(0)
	v_and_b32_e32 v26, 0xffff, v9
	v_lshlrev_b64 v[26:27], s18, v[26:27]
	s_add_u32 s18, s18, 8
	s_addc_u32 s19, s19, 0
	v_or_b32_e32 v23, v27, v23
	s_or_b64 s[16:17], s[4:5], s[16:17]
	v_or_b32_e32 v22, v26, v22
	s_andn2_b64 exec, exec, s[16:17]
	s_cbranch_execnz .LBB22_81
; %bb.82:                               ;   in Loop: Header=BB22_30 Depth=1
	s_or_b64 exec, exec, s[16:17]
.LBB22_83:                              ;   in Loop: Header=BB22_30 Depth=1
	s_or_b64 exec, exec, s[14:15]
                                        ; implicit-def: $vgpr8
.LBB22_84:                              ;   in Loop: Header=BB22_30 Depth=1
	s_andn2_saveexec_b64 s[4:5], s[6:7]
	s_cbranch_execz .LBB22_86
; %bb.85:                               ;   in Loop: Header=BB22_30 Depth=1
	buffer_load_dword v9, v8, s[0:3], 0 offen offset:4
	buffer_load_dword v22, v8, s[0:3], 0 offen
	s_waitcnt vmcnt(1)
	v_and_b32_e32 v8, 0xff, v9
	v_and_b32_e32 v23, 0xff00, v9
	s_waitcnt vmcnt(0)
	v_or3_b32 v22, v22, 0, 0
	v_and_b32_e32 v24, 0xff0000, v9
	v_and_b32_e32 v9, 0xff000000, v9
	v_or3_b32 v8, 0, v8, v23
	v_or3_b32 v23, v8, v24, v9
	;; [unrolled: 1-line block ×3, first 2 shown]
.LBB22_86:                              ;   in Loop: Header=BB22_30 Depth=1
	s_or_b64 exec, exec, s[4:5]
	v_readfirstlane_b32 s4, v37
	v_cmp_eq_u32_e64 s[4:5], s4, v37
	v_pk_mov_b32 v[8:9], 0, 0
	s_and_saveexec_b64 s[14:15], s[4:5]
	s_cbranch_execz .LBB22_92
; %bb.87:                               ;   in Loop: Header=BB22_30 Depth=1
	global_load_dwordx2 v[26:27], v33, s[10:11] offset:24 glc
	s_waitcnt vmcnt(0)
	buffer_invl2
	buffer_wbinvl1_vol
	global_load_dwordx2 v[8:9], v33, s[10:11] offset:40
	global_load_dwordx2 v[24:25], v33, s[10:11]
	s_waitcnt vmcnt(1)
	v_and_b32_e32 v8, v8, v26
	v_and_b32_e32 v9, v9, v27
	v_mul_lo_u32 v9, v9, 24
	v_mul_hi_u32 v32, v8, 24
	v_mul_lo_u32 v8, v8, 24
	v_add_u32_e32 v9, v32, v9
	s_waitcnt vmcnt(0)
	v_add_co_u32_e64 v8, s[6:7], v24, v8
	v_addc_co_u32_e64 v9, s[6:7], v25, v9, s[6:7]
	global_load_dwordx2 v[24:25], v[8:9], off glc
	s_waitcnt vmcnt(0)
	global_atomic_cmpswap_x2 v[8:9], v33, v[24:27], s[10:11] offset:24 glc
	s_waitcnt vmcnt(0)
	buffer_invl2
	buffer_wbinvl1_vol
	v_cmp_ne_u64_e64 s[6:7], v[8:9], v[26:27]
	s_and_saveexec_b64 s[16:17], s[6:7]
	s_cbranch_execz .LBB22_91
; %bb.88:                               ;   in Loop: Header=BB22_30 Depth=1
	s_mov_b64 s[18:19], 0
.LBB22_89:                              ;   Parent Loop BB22_30 Depth=1
                                        ; =>  This Inner Loop Header: Depth=2
	s_sleep 1
	global_load_dwordx2 v[24:25], v33, s[10:11] offset:40
	global_load_dwordx2 v[34:35], v33, s[10:11]
	v_pk_mov_b32 v[26:27], v[8:9], v[8:9] op_sel:[0,1]
	s_waitcnt vmcnt(1)
	v_and_b32_e32 v8, v24, v26
	s_waitcnt vmcnt(0)
	v_mad_u64_u32 v[8:9], s[6:7], v8, 24, v[34:35]
	v_and_b32_e32 v25, v25, v27
	v_mov_b32_e32 v24, v9
	v_mad_u64_u32 v[24:25], s[6:7], v25, 24, v[24:25]
	v_mov_b32_e32 v9, v24
	global_load_dwordx2 v[24:25], v[8:9], off glc
	s_waitcnt vmcnt(0)
	global_atomic_cmpswap_x2 v[8:9], v33, v[24:27], s[10:11] offset:24 glc
	s_waitcnt vmcnt(0)
	buffer_invl2
	buffer_wbinvl1_vol
	v_cmp_eq_u64_e64 s[6:7], v[8:9], v[26:27]
	s_or_b64 s[18:19], s[6:7], s[18:19]
	s_andn2_b64 exec, exec, s[18:19]
	s_cbranch_execnz .LBB22_89
; %bb.90:                               ;   in Loop: Header=BB22_30 Depth=1
	s_or_b64 exec, exec, s[18:19]
.LBB22_91:                              ;   in Loop: Header=BB22_30 Depth=1
	s_or_b64 exec, exec, s[16:17]
.LBB22_92:                              ;   in Loop: Header=BB22_30 Depth=1
	s_or_b64 exec, exec, s[14:15]
	global_load_dwordx2 v[34:35], v33, s[10:11] offset:40
	global_load_dwordx4 v[24:27], v33, s[10:11]
	v_readfirstlane_b32 s14, v8
	v_readfirstlane_b32 s15, v9
	s_mov_b64 s[16:17], exec
	s_waitcnt vmcnt(1)
	v_readfirstlane_b32 s6, v34
	v_readfirstlane_b32 s7, v35
	s_and_b64 s[18:19], s[14:15], s[6:7]
	s_mul_i32 s6, s19, 24
	s_mul_hi_u32 s7, s18, 24
	s_mul_i32 s22, s18, 24
	s_add_i32 s6, s7, s6
	v_mov_b32_e32 v8, s6
	s_waitcnt vmcnt(0)
	v_add_co_u32_e64 v34, s[6:7], s22, v24
	v_addc_co_u32_e64 v35, s[6:7], v25, v8, s[6:7]
	s_and_saveexec_b64 s[6:7], s[4:5]
	s_cbranch_execz .LBB22_94
; %bb.93:                               ;   in Loop: Header=BB22_30 Depth=1
	v_pk_mov_b32 v[8:9], s[16:17], s[16:17] op_sel:[0,1]
	global_store_dwordx4 v[34:35], v[8:11], off offset:8
.LBB22_94:                              ;   in Loop: Header=BB22_30 Depth=1
	s_or_b64 exec, exec, s[6:7]
	s_lshl_b64 s[6:7], s[18:19], 12
	v_cndmask_b32_e32 v39, 0, v29, vcc
	v_mov_b32_e32 v9, s7
	v_add_co_u32_e32 v8, vcc, s6, v26
	v_addc_co_u32_e32 v9, vcc, v27, v9, vcc
	v_or_b32_e32 v26, 0, v1
	v_cmp_lt_u64_e32 vcc, 56, v[28:29]
	v_or_b32_e32 v27, v0, v30
	v_cndmask_b32_e32 v1, v26, v1, vcc
	v_lshl_add_u32 v26, v38, 2, 28
	v_cndmask_b32_e32 v0, v27, v0, vcc
	v_and_b32_e32 v26, 0x1e0, v26
	v_and_or_b32 v0, v0, s21, v26
	v_readfirstlane_b32 s6, v8
	v_readfirstlane_b32 s7, v9
	s_nop 4
	global_store_dwordx4 v36, v[0:3], s[6:7]
	global_store_dwordx4 v36, v[12:15], s[6:7] offset:16
	global_store_dwordx4 v36, v[16:19], s[6:7] offset:32
	;; [unrolled: 1-line block ×3, first 2 shown]
	s_and_saveexec_b64 s[6:7], s[4:5]
	s_cbranch_execz .LBB22_102
; %bb.95:                               ;   in Loop: Header=BB22_30 Depth=1
	global_load_dwordx2 v[16:17], v33, s[10:11] offset:32 glc
	global_load_dwordx2 v[0:1], v33, s[10:11] offset:40
	v_mov_b32_e32 v14, s14
	v_mov_b32_e32 v15, s15
	s_waitcnt vmcnt(0)
	v_readfirstlane_b32 s16, v0
	v_readfirstlane_b32 s17, v1
	s_and_b64 s[16:17], s[16:17], s[14:15]
	s_mul_i32 s17, s17, 24
	s_mul_hi_u32 s18, s16, 24
	s_mul_i32 s16, s16, 24
	s_add_i32 s17, s18, s17
	v_mov_b32_e32 v0, s17
	v_add_co_u32_e32 v12, vcc, s16, v24
	v_addc_co_u32_e32 v13, vcc, v25, v0, vcc
	global_store_dwordx2 v[12:13], v[16:17], off
	buffer_wbl2
	s_waitcnt vmcnt(0)
	global_atomic_cmpswap_x2 v[2:3], v33, v[14:17], s[10:11] offset:32 glc
	s_waitcnt vmcnt(0)
	v_cmp_ne_u64_e32 vcc, v[2:3], v[16:17]
	s_and_saveexec_b64 s[16:17], vcc
	s_cbranch_execz .LBB22_98
; %bb.96:                               ;   in Loop: Header=BB22_30 Depth=1
	s_mov_b64 s[18:19], 0
.LBB22_97:                              ;   Parent Loop BB22_30 Depth=1
                                        ; =>  This Inner Loop Header: Depth=2
	s_sleep 1
	global_store_dwordx2 v[12:13], v[2:3], off
	v_mov_b32_e32 v0, s14
	v_mov_b32_e32 v1, s15
	buffer_wbl2
	s_waitcnt vmcnt(0)
	global_atomic_cmpswap_x2 v[0:1], v33, v[0:3], s[10:11] offset:32 glc
	s_waitcnt vmcnt(0)
	v_cmp_eq_u64_e32 vcc, v[0:1], v[2:3]
	s_or_b64 s[18:19], vcc, s[18:19]
	v_pk_mov_b32 v[2:3], v[0:1], v[0:1] op_sel:[0,1]
	s_andn2_b64 exec, exec, s[18:19]
	s_cbranch_execnz .LBB22_97
.LBB22_98:                              ;   in Loop: Header=BB22_30 Depth=1
	s_or_b64 exec, exec, s[16:17]
	global_load_dwordx2 v[0:1], v33, s[10:11] offset:16
	s_mov_b64 s[18:19], exec
	v_mbcnt_lo_u32_b32 v2, s18, 0
	v_mbcnt_hi_u32_b32 v2, s19, v2
	v_cmp_eq_u32_e32 vcc, 0, v2
	s_and_saveexec_b64 s[16:17], vcc
	s_cbranch_execz .LBB22_100
; %bb.99:                               ;   in Loop: Header=BB22_30 Depth=1
	s_bcnt1_i32_b64 s18, s[18:19]
	v_mov_b32_e32 v32, s18
	buffer_wbl2
	s_waitcnt vmcnt(0)
	global_atomic_add_x2 v[0:1], v[32:33], off offset:8
.LBB22_100:                             ;   in Loop: Header=BB22_30 Depth=1
	s_or_b64 exec, exec, s[16:17]
	s_waitcnt vmcnt(0)
	global_load_dwordx2 v[2:3], v[0:1], off offset:16
	s_waitcnt vmcnt(0)
	v_cmp_eq_u64_e32 vcc, 0, v[2:3]
	s_cbranch_vccnz .LBB22_102
; %bb.101:                              ;   in Loop: Header=BB22_30 Depth=1
	global_load_dword v32, v[0:1], off offset:24
	s_waitcnt vmcnt(0)
	v_and_b32_e32 v0, 0xffffff, v32
	v_readfirstlane_b32 m0, v0
	buffer_wbl2
	global_store_dwordx2 v[2:3], v[32:33], off
	s_sendmsg sendmsg(MSG_INTERRUPT)
.LBB22_102:                             ;   in Loop: Header=BB22_30 Depth=1
	s_or_b64 exec, exec, s[6:7]
	v_add_co_u32_e32 v0, vcc, v8, v36
	v_addc_co_u32_e32 v1, vcc, 0, v9, vcc
	s_branch .LBB22_106
.LBB22_103:                             ;   in Loop: Header=BB22_106 Depth=2
	s_or_b64 exec, exec, s[6:7]
	v_readfirstlane_b32 s6, v2
	s_cmp_eq_u32 s6, 0
	s_cbranch_scc1 .LBB22_105
; %bb.104:                              ;   in Loop: Header=BB22_106 Depth=2
	s_sleep 1
	s_cbranch_execnz .LBB22_106
	s_branch .LBB22_108
.LBB22_105:                             ;   in Loop: Header=BB22_30 Depth=1
	s_branch .LBB22_108
.LBB22_106:                             ;   Parent Loop BB22_30 Depth=1
                                        ; =>  This Inner Loop Header: Depth=2
	v_mov_b32_e32 v2, 1
	s_and_saveexec_b64 s[6:7], s[4:5]
	s_cbranch_execz .LBB22_103
; %bb.107:                              ;   in Loop: Header=BB22_106 Depth=2
	global_load_dword v2, v[34:35], off offset:20 glc
	s_waitcnt vmcnt(0)
	buffer_invl2
	buffer_wbinvl1_vol
	v_and_b32_e32 v2, 1, v2
	s_branch .LBB22_103
.LBB22_108:                             ;   in Loop: Header=BB22_30 Depth=1
	global_load_dwordx4 v[0:3], v[0:1], off
	s_and_saveexec_b64 s[6:7], s[4:5]
	s_cbranch_execz .LBB22_29
; %bb.109:                              ;   in Loop: Header=BB22_30 Depth=1
	global_load_dwordx2 v[2:3], v33, s[10:11] offset:40
	global_load_dwordx2 v[8:9], v33, s[10:11] offset:24 glc
	global_load_dwordx2 v[16:17], v33, s[10:11]
	v_mov_b32_e32 v13, s15
	s_waitcnt vmcnt(2)
	v_add_co_u32_e32 v15, vcc, 1, v2
	v_addc_co_u32_e32 v18, vcc, 0, v3, vcc
	v_add_co_u32_e32 v12, vcc, s14, v15
	v_addc_co_u32_e32 v13, vcc, v18, v13, vcc
	v_cmp_eq_u64_e32 vcc, 0, v[12:13]
	v_cndmask_b32_e32 v13, v13, v18, vcc
	v_cndmask_b32_e32 v12, v12, v15, vcc
	v_and_b32_e32 v3, v13, v3
	v_and_b32_e32 v2, v12, v2
	v_mul_lo_u32 v3, v3, 24
	v_mul_hi_u32 v15, v2, 24
	v_mul_lo_u32 v2, v2, 24
	v_add_u32_e32 v3, v15, v3
	s_waitcnt vmcnt(0)
	v_add_co_u32_e32 v2, vcc, v16, v2
	v_addc_co_u32_e32 v3, vcc, v17, v3, vcc
	v_mov_b32_e32 v14, v8
	global_store_dwordx2 v[2:3], v[8:9], off
	v_mov_b32_e32 v15, v9
	buffer_wbl2
	s_waitcnt vmcnt(0)
	global_atomic_cmpswap_x2 v[14:15], v33, v[12:15], s[10:11] offset:24 glc
	s_waitcnt vmcnt(0)
	v_cmp_ne_u64_e32 vcc, v[14:15], v[8:9]
	s_and_b64 exec, exec, vcc
	s_cbranch_execz .LBB22_29
; %bb.110:                              ;   in Loop: Header=BB22_30 Depth=1
	s_mov_b64 s[4:5], 0
.LBB22_111:                             ;   Parent Loop BB22_30 Depth=1
                                        ; =>  This Inner Loop Header: Depth=2
	s_sleep 1
	global_store_dwordx2 v[2:3], v[14:15], off
	buffer_wbl2
	s_waitcnt vmcnt(0)
	global_atomic_cmpswap_x2 v[8:9], v33, v[12:15], s[10:11] offset:24 glc
	s_waitcnt vmcnt(0)
	v_cmp_eq_u64_e32 vcc, v[8:9], v[14:15]
	s_or_b64 s[4:5], vcc, s[4:5]
	v_pk_mov_b32 v[14:15], v[8:9], v[8:9] op_sel:[0,1]
	s_andn2_b64 exec, exec, s[4:5]
	s_cbranch_execnz .LBB22_111
	s_branch .LBB22_29
.LBB22_112:
                                        ; implicit-def: $vgpr0_vgpr1
	s_cbranch_execnz .LBB22_114
	s_branch .LBB22_140
.LBB22_113:
	s_or_b64 exec, exec, s[12:13]
	s_branch .LBB22_140
.LBB22_114:
	v_readfirstlane_b32 s4, v37
	v_cmp_eq_u32_e64 s[4:5], s4, v37
	v_pk_mov_b32 v[10:11], 0, 0
	s_and_saveexec_b64 s[6:7], s[4:5]
	s_cbranch_execz .LBB22_120
; %bb.115:
	s_waitcnt vmcnt(0)
	v_mov_b32_e32 v0, 0
	global_load_dwordx2 v[12:13], v0, s[10:11] offset:24 glc
	s_waitcnt vmcnt(0)
	buffer_invl2
	buffer_wbinvl1_vol
	global_load_dwordx2 v[2:3], v0, s[10:11] offset:40
	global_load_dwordx2 v[8:9], v0, s[10:11]
	s_waitcnt vmcnt(1)
	v_and_b32_e32 v1, v2, v12
	v_and_b32_e32 v2, v3, v13
	v_mul_lo_u32 v2, v2, 24
	v_mul_hi_u32 v3, v1, 24
	v_mul_lo_u32 v1, v1, 24
	v_add_u32_e32 v3, v3, v2
	s_waitcnt vmcnt(0)
	v_add_co_u32_e32 v2, vcc, v8, v1
	v_addc_co_u32_e32 v3, vcc, v9, v3, vcc
	global_load_dwordx2 v[10:11], v[2:3], off glc
	s_waitcnt vmcnt(0)
	global_atomic_cmpswap_x2 v[10:11], v0, v[10:13], s[10:11] offset:24 glc
	s_waitcnt vmcnt(0)
	buffer_invl2
	buffer_wbinvl1_vol
	v_cmp_ne_u64_e32 vcc, v[10:11], v[12:13]
	s_and_saveexec_b64 s[12:13], vcc
	s_cbranch_execz .LBB22_119
; %bb.116:
	s_mov_b64 s[14:15], 0
.LBB22_117:                             ; =>This Inner Loop Header: Depth=1
	s_sleep 1
	global_load_dwordx2 v[2:3], v0, s[10:11] offset:40
	global_load_dwordx2 v[8:9], v0, s[10:11]
	v_pk_mov_b32 v[12:13], v[10:11], v[10:11] op_sel:[0,1]
	s_waitcnt vmcnt(1)
	v_and_b32_e32 v2, v2, v12
	v_and_b32_e32 v1, v3, v13
	s_waitcnt vmcnt(0)
	v_mad_u64_u32 v[2:3], s[16:17], v2, 24, v[8:9]
	v_mov_b32_e32 v8, v3
	v_mad_u64_u32 v[8:9], s[16:17], v1, 24, v[8:9]
	v_mov_b32_e32 v3, v8
	global_load_dwordx2 v[10:11], v[2:3], off glc
	s_waitcnt vmcnt(0)
	global_atomic_cmpswap_x2 v[10:11], v0, v[10:13], s[10:11] offset:24 glc
	s_waitcnt vmcnt(0)
	buffer_invl2
	buffer_wbinvl1_vol
	v_cmp_eq_u64_e32 vcc, v[10:11], v[12:13]
	s_or_b64 s[14:15], vcc, s[14:15]
	s_andn2_b64 exec, exec, s[14:15]
	s_cbranch_execnz .LBB22_117
; %bb.118:
	s_or_b64 exec, exec, s[14:15]
.LBB22_119:
	s_or_b64 exec, exec, s[12:13]
.LBB22_120:
	s_or_b64 exec, exec, s[6:7]
	v_mov_b32_e32 v8, 0
	global_load_dwordx2 v[12:13], v8, s[10:11] offset:40
	global_load_dwordx4 v[0:3], v8, s[10:11]
	v_readfirstlane_b32 s6, v10
	v_readfirstlane_b32 s7, v11
	s_mov_b64 s[12:13], exec
	s_waitcnt vmcnt(1)
	v_readfirstlane_b32 s14, v12
	v_readfirstlane_b32 s15, v13
	s_and_b64 s[14:15], s[6:7], s[14:15]
	s_mul_i32 s16, s15, 24
	s_mul_hi_u32 s17, s14, 24
	s_mul_i32 s18, s14, 24
	s_add_i32 s16, s17, s16
	v_mov_b32_e32 v9, s16
	s_waitcnt vmcnt(0)
	v_add_co_u32_e32 v10, vcc, s18, v0
	v_addc_co_u32_e32 v11, vcc, v1, v9, vcc
	s_and_saveexec_b64 s[16:17], s[4:5]
	s_cbranch_execz .LBB22_122
; %bb.121:
	v_pk_mov_b32 v[12:13], s[12:13], s[12:13] op_sel:[0,1]
	v_mov_b32_e32 v14, 2
	v_mov_b32_e32 v15, 1
	global_store_dwordx4 v[10:11], v[12:15], off offset:8
.LBB22_122:
	s_or_b64 exec, exec, s[16:17]
	s_lshl_b64 s[12:13], s[14:15], 12
	v_mov_b32_e32 v9, s13
	v_add_co_u32_e32 v2, vcc, s12, v2
	s_movk_i32 s12, 0xff1f
	v_addc_co_u32_e32 v3, vcc, v3, v9, vcc
	v_and_or_b32 v6, v6, s12, 32
	s_mov_b32 s12, 0
	v_mov_b32_e32 v9, v8
	v_readfirstlane_b32 s16, v2
	v_readfirstlane_b32 s17, v3
	s_mov_b32 s13, s12
	v_add_co_u32_e32 v12, vcc, v2, v36
	s_mov_b32 s14, s12
	s_mov_b32 s15, s12
	s_nop 0
	global_store_dwordx4 v36, v[6:9], s[16:17]
	v_addc_co_u32_e32 v13, vcc, 0, v3, vcc
	v_pk_mov_b32 v[6:7], s[12:13], s[12:13] op_sel:[0,1]
	v_pk_mov_b32 v[8:9], s[14:15], s[14:15] op_sel:[0,1]
	global_store_dwordx4 v36, v[6:9], s[16:17] offset:16
	global_store_dwordx4 v36, v[6:9], s[16:17] offset:32
	;; [unrolled: 1-line block ×3, first 2 shown]
	s_and_saveexec_b64 s[12:13], s[4:5]
	s_cbranch_execz .LBB22_130
; %bb.123:
	v_mov_b32_e32 v8, 0
	global_load_dwordx2 v[16:17], v8, s[10:11] offset:32 glc
	global_load_dwordx2 v[2:3], v8, s[10:11] offset:40
	v_mov_b32_e32 v14, s6
	v_mov_b32_e32 v15, s7
	s_waitcnt vmcnt(0)
	v_readfirstlane_b32 s14, v2
	v_readfirstlane_b32 s15, v3
	s_and_b64 s[14:15], s[14:15], s[6:7]
	s_mul_i32 s15, s15, 24
	s_mul_hi_u32 s16, s14, 24
	s_mul_i32 s14, s14, 24
	s_add_i32 s15, s16, s15
	v_mov_b32_e32 v2, s15
	v_add_co_u32_e32 v6, vcc, s14, v0
	v_addc_co_u32_e32 v7, vcc, v1, v2, vcc
	global_store_dwordx2 v[6:7], v[16:17], off
	buffer_wbl2
	s_waitcnt vmcnt(0)
	global_atomic_cmpswap_x2 v[2:3], v8, v[14:17], s[10:11] offset:32 glc
	s_waitcnt vmcnt(0)
	v_cmp_ne_u64_e32 vcc, v[2:3], v[16:17]
	s_and_saveexec_b64 s[14:15], vcc
	s_cbranch_execz .LBB22_126
; %bb.124:
	s_mov_b64 s[16:17], 0
.LBB22_125:                             ; =>This Inner Loop Header: Depth=1
	s_sleep 1
	global_store_dwordx2 v[6:7], v[2:3], off
	v_mov_b32_e32 v0, s6
	v_mov_b32_e32 v1, s7
	buffer_wbl2
	s_waitcnt vmcnt(0)
	global_atomic_cmpswap_x2 v[0:1], v8, v[0:3], s[10:11] offset:32 glc
	s_waitcnt vmcnt(0)
	v_cmp_eq_u64_e32 vcc, v[0:1], v[2:3]
	s_or_b64 s[16:17], vcc, s[16:17]
	v_pk_mov_b32 v[2:3], v[0:1], v[0:1] op_sel:[0,1]
	s_andn2_b64 exec, exec, s[16:17]
	s_cbranch_execnz .LBB22_125
.LBB22_126:
	s_or_b64 exec, exec, s[14:15]
	v_mov_b32_e32 v3, 0
	global_load_dwordx2 v[0:1], v3, s[10:11] offset:16
	s_mov_b64 s[14:15], exec
	v_mbcnt_lo_u32_b32 v2, s14, 0
	v_mbcnt_hi_u32_b32 v2, s15, v2
	v_cmp_eq_u32_e32 vcc, 0, v2
	s_and_saveexec_b64 s[16:17], vcc
	s_cbranch_execz .LBB22_128
; %bb.127:
	s_bcnt1_i32_b64 s14, s[14:15]
	v_mov_b32_e32 v2, s14
	buffer_wbl2
	s_waitcnt vmcnt(0)
	global_atomic_add_x2 v[0:1], v[2:3], off offset:8
.LBB22_128:
	s_or_b64 exec, exec, s[16:17]
	s_waitcnt vmcnt(0)
	global_load_dwordx2 v[2:3], v[0:1], off offset:16
	s_waitcnt vmcnt(0)
	v_cmp_eq_u64_e32 vcc, 0, v[2:3]
	s_cbranch_vccnz .LBB22_130
; %bb.129:
	global_load_dword v0, v[0:1], off offset:24
	v_mov_b32_e32 v1, 0
	buffer_wbl2
	s_waitcnt vmcnt(0)
	global_store_dwordx2 v[2:3], v[0:1], off
	v_and_b32_e32 v0, 0xffffff, v0
	v_readfirstlane_b32 m0, v0
	s_sendmsg sendmsg(MSG_INTERRUPT)
.LBB22_130:
	s_or_b64 exec, exec, s[12:13]
	s_branch .LBB22_134
.LBB22_131:                             ;   in Loop: Header=BB22_134 Depth=1
	s_or_b64 exec, exec, s[12:13]
	v_readfirstlane_b32 s12, v0
	s_cmp_eq_u32 s12, 0
	s_cbranch_scc1 .LBB22_133
; %bb.132:                              ;   in Loop: Header=BB22_134 Depth=1
	s_sleep 1
	s_cbranch_execnz .LBB22_134
	s_branch .LBB22_136
.LBB22_133:
	s_branch .LBB22_136
.LBB22_134:                             ; =>This Inner Loop Header: Depth=1
	v_mov_b32_e32 v0, 1
	s_and_saveexec_b64 s[12:13], s[4:5]
	s_cbranch_execz .LBB22_131
; %bb.135:                              ;   in Loop: Header=BB22_134 Depth=1
	global_load_dword v0, v[10:11], off offset:20 glc
	s_waitcnt vmcnt(0)
	buffer_invl2
	buffer_wbinvl1_vol
	v_and_b32_e32 v0, 1, v0
	s_branch .LBB22_131
.LBB22_136:
	global_load_dwordx2 v[0:1], v[12:13], off
	s_and_saveexec_b64 s[12:13], s[4:5]
	s_cbranch_execz .LBB22_139
; %bb.137:
	v_mov_b32_e32 v10, 0
	global_load_dwordx2 v[2:3], v10, s[10:11] offset:40
	global_load_dwordx2 v[12:13], v10, s[10:11] offset:24 glc
	global_load_dwordx2 v[14:15], v10, s[10:11]
	v_mov_b32_e32 v7, s7
	s_mov_b64 s[4:5], 0
	s_waitcnt vmcnt(2)
	v_add_co_u32_e32 v9, vcc, 1, v2
	v_addc_co_u32_e32 v11, vcc, 0, v3, vcc
	v_add_co_u32_e32 v6, vcc, s6, v9
	v_addc_co_u32_e32 v7, vcc, v11, v7, vcc
	v_cmp_eq_u64_e32 vcc, 0, v[6:7]
	v_cndmask_b32_e32 v7, v7, v11, vcc
	v_cndmask_b32_e32 v6, v6, v9, vcc
	v_and_b32_e32 v3, v7, v3
	v_and_b32_e32 v2, v6, v2
	v_mul_lo_u32 v3, v3, 24
	v_mul_hi_u32 v9, v2, 24
	v_mul_lo_u32 v2, v2, 24
	v_add_u32_e32 v3, v9, v3
	s_waitcnt vmcnt(0)
	v_add_co_u32_e32 v2, vcc, v14, v2
	v_addc_co_u32_e32 v3, vcc, v15, v3, vcc
	v_mov_b32_e32 v8, v12
	global_store_dwordx2 v[2:3], v[12:13], off
	v_mov_b32_e32 v9, v13
	buffer_wbl2
	s_waitcnt vmcnt(0)
	global_atomic_cmpswap_x2 v[8:9], v10, v[6:9], s[10:11] offset:24 glc
	s_waitcnt vmcnt(0)
	v_cmp_ne_u64_e32 vcc, v[8:9], v[12:13]
	s_and_b64 exec, exec, vcc
	s_cbranch_execz .LBB22_139
.LBB22_138:                             ; =>This Inner Loop Header: Depth=1
	s_sleep 1
	global_store_dwordx2 v[2:3], v[8:9], off
	buffer_wbl2
	s_waitcnt vmcnt(0)
	global_atomic_cmpswap_x2 v[12:13], v10, v[6:9], s[10:11] offset:24 glc
	s_waitcnt vmcnt(0)
	v_cmp_eq_u64_e32 vcc, v[12:13], v[8:9]
	s_or_b64 s[4:5], vcc, s[4:5]
	v_pk_mov_b32 v[8:9], v[12:13], v[12:13] op_sel:[0,1]
	s_andn2_b64 exec, exec, s[4:5]
	s_cbranch_execnz .LBB22_138
.LBB22_139:
	s_or_b64 exec, exec, s[12:13]
.LBB22_140:
	s_waitcnt vmcnt(0)
	v_mov_b32_e32 v2, 0
	s_getpc_b64 s[4:5]
	s_add_u32 s4, s4, .str.2@rel32@lo+4
	s_addc_u32 s5, s5, .str.2@rel32@hi+12
.LBB22_141:                             ; =>This Inner Loop Header: Depth=1
	global_load_ubyte v3, v2, s[4:5]
	s_add_u32 s12, s4, 1
	s_addc_u32 s13, s5, 0
	s_mov_b64 s[4:5], s[12:13]
	s_waitcnt vmcnt(0)
	v_cmp_ne_u16_e32 vcc, 0, v3
	s_cbranch_vccnz .LBB22_141
; %bb.142:
	s_getpc_b64 s[6:7]
	s_add_u32 s6, s6, .str.2@rel32@lo+4
	s_addc_u32 s7, s7, .str.2@rel32@hi+12
	s_cmp_lg_u64 s[6:7], 0
	s_cbranch_scc0 .LBB22_226
; %bb.143:
	s_sub_i32 s12, s12, s6
	s_ashr_i32 s13, s12, 31
	v_and_b32_e32 v2, 2, v0
	v_mov_b32_e32 v33, 0
	v_and_b32_e32 v6, -3, v0
	v_mov_b32_e32 v7, v1
	v_mov_b32_e32 v10, 2
	;; [unrolled: 1-line block ×3, first 2 shown]
	s_branch .LBB22_145
.LBB22_144:                             ;   in Loop: Header=BB22_145 Depth=1
	s_or_b64 exec, exec, s[18:19]
	s_sub_u32 s12, s12, s14
	s_subb_u32 s13, s13, s15
	s_add_u32 s6, s6, s14
	s_addc_u32 s7, s7, s15
	s_cmp_lg_u64 s[12:13], 0
	s_cbranch_scc0 .LBB22_227
.LBB22_145:                             ; =>This Loop Header: Depth=1
                                        ;     Child Loop BB22_148 Depth 2
                                        ;     Child Loop BB22_155 Depth 2
	;; [unrolled: 1-line block ×11, first 2 shown]
	v_cmp_lt_u64_e64 s[4:5], s[12:13], 56
	s_and_b64 s[4:5], s[4:5], exec
	v_cmp_gt_u64_e64 s[4:5], s[12:13], 7
	s_cselect_b32 s15, s13, 0
	s_cselect_b32 s14, s12, 56
	s_and_b64 vcc, exec, s[4:5]
	s_cbranch_vccnz .LBB22_150
; %bb.146:                              ;   in Loop: Header=BB22_145 Depth=1
	s_mov_b64 s[4:5], 0
	s_cmp_eq_u64 s[12:13], 0
	v_pk_mov_b32 v[14:15], 0, 0
	s_cbranch_scc1 .LBB22_149
; %bb.147:                              ;   in Loop: Header=BB22_145 Depth=1
	s_lshl_b64 s[16:17], s[14:15], 3
	s_mov_b64 s[18:19], 0
	v_pk_mov_b32 v[14:15], 0, 0
	s_mov_b64 s[20:21], s[6:7]
.LBB22_148:                             ;   Parent Loop BB22_145 Depth=1
                                        ; =>  This Inner Loop Header: Depth=2
	global_load_ubyte v3, v33, s[20:21]
	s_waitcnt vmcnt(0)
	v_and_b32_e32 v32, 0xffff, v3
	v_lshlrev_b64 v[8:9], s18, v[32:33]
	s_add_u32 s18, s18, 8
	s_addc_u32 s19, s19, 0
	s_add_u32 s20, s20, 1
	s_addc_u32 s21, s21, 0
	v_or_b32_e32 v14, v8, v14
	s_cmp_lg_u32 s16, s18
	v_or_b32_e32 v15, v9, v15
	s_cbranch_scc1 .LBB22_148
.LBB22_149:                             ;   in Loop: Header=BB22_145 Depth=1
	s_mov_b32 s20, 0
	s_andn2_b64 vcc, exec, s[4:5]
	s_mov_b64 s[4:5], s[6:7]
	s_cbranch_vccz .LBB22_151
	s_branch .LBB22_152
.LBB22_150:                             ;   in Loop: Header=BB22_145 Depth=1
                                        ; implicit-def: $vgpr14_vgpr15
                                        ; implicit-def: $sgpr20
	s_mov_b64 s[4:5], s[6:7]
.LBB22_151:                             ;   in Loop: Header=BB22_145 Depth=1
	global_load_dwordx2 v[14:15], v33, s[6:7]
	s_add_i32 s20, s14, -8
	s_add_u32 s4, s6, 8
	s_addc_u32 s5, s7, 0
.LBB22_152:                             ;   in Loop: Header=BB22_145 Depth=1
	s_cmp_gt_u32 s20, 7
	s_cbranch_scc1 .LBB22_156
; %bb.153:                              ;   in Loop: Header=BB22_145 Depth=1
	s_cmp_eq_u32 s20, 0
	s_cbranch_scc1 .LBB22_157
; %bb.154:                              ;   in Loop: Header=BB22_145 Depth=1
	s_mov_b64 s[16:17], 0
	v_pk_mov_b32 v[16:17], 0, 0
	s_mov_b64 s[18:19], 0
.LBB22_155:                             ;   Parent Loop BB22_145 Depth=1
                                        ; =>  This Inner Loop Header: Depth=2
	s_add_u32 s22, s4, s18
	s_addc_u32 s23, s5, s19
	global_load_ubyte v3, v33, s[22:23]
	s_add_u32 s18, s18, 1
	s_addc_u32 s19, s19, 0
	s_waitcnt vmcnt(0)
	v_and_b32_e32 v32, 0xffff, v3
	v_lshlrev_b64 v[8:9], s16, v[32:33]
	s_add_u32 s16, s16, 8
	s_addc_u32 s17, s17, 0
	v_or_b32_e32 v16, v8, v16
	s_cmp_lg_u32 s20, s18
	v_or_b32_e32 v17, v9, v17
	s_cbranch_scc1 .LBB22_155
	s_branch .LBB22_158
.LBB22_156:                             ;   in Loop: Header=BB22_145 Depth=1
                                        ; implicit-def: $vgpr16_vgpr17
                                        ; implicit-def: $sgpr21
	s_branch .LBB22_159
.LBB22_157:                             ;   in Loop: Header=BB22_145 Depth=1
	v_pk_mov_b32 v[16:17], 0, 0
.LBB22_158:                             ;   in Loop: Header=BB22_145 Depth=1
	s_mov_b32 s21, 0
	s_cbranch_execnz .LBB22_160
.LBB22_159:                             ;   in Loop: Header=BB22_145 Depth=1
	global_load_dwordx2 v[16:17], v33, s[4:5]
	s_add_i32 s21, s20, -8
	s_add_u32 s4, s4, 8
	s_addc_u32 s5, s5, 0
.LBB22_160:                             ;   in Loop: Header=BB22_145 Depth=1
	s_cmp_gt_u32 s21, 7
	s_cbranch_scc1 .LBB22_164
; %bb.161:                              ;   in Loop: Header=BB22_145 Depth=1
	s_cmp_eq_u32 s21, 0
	s_cbranch_scc1 .LBB22_165
; %bb.162:                              ;   in Loop: Header=BB22_145 Depth=1
	s_mov_b64 s[16:17], 0
	v_pk_mov_b32 v[18:19], 0, 0
	s_mov_b64 s[18:19], 0
.LBB22_163:                             ;   Parent Loop BB22_145 Depth=1
                                        ; =>  This Inner Loop Header: Depth=2
	s_add_u32 s22, s4, s18
	s_addc_u32 s23, s5, s19
	global_load_ubyte v3, v33, s[22:23]
	s_add_u32 s18, s18, 1
	s_addc_u32 s19, s19, 0
	s_waitcnt vmcnt(0)
	v_and_b32_e32 v32, 0xffff, v3
	v_lshlrev_b64 v[8:9], s16, v[32:33]
	s_add_u32 s16, s16, 8
	s_addc_u32 s17, s17, 0
	v_or_b32_e32 v18, v8, v18
	s_cmp_lg_u32 s21, s18
	v_or_b32_e32 v19, v9, v19
	s_cbranch_scc1 .LBB22_163
	s_branch .LBB22_166
.LBB22_164:                             ;   in Loop: Header=BB22_145 Depth=1
                                        ; implicit-def: $sgpr20
	s_branch .LBB22_167
.LBB22_165:                             ;   in Loop: Header=BB22_145 Depth=1
	v_pk_mov_b32 v[18:19], 0, 0
.LBB22_166:                             ;   in Loop: Header=BB22_145 Depth=1
	s_mov_b32 s20, 0
	s_cbranch_execnz .LBB22_168
.LBB22_167:                             ;   in Loop: Header=BB22_145 Depth=1
	global_load_dwordx2 v[18:19], v33, s[4:5]
	s_add_i32 s20, s21, -8
	s_add_u32 s4, s4, 8
	s_addc_u32 s5, s5, 0
.LBB22_168:                             ;   in Loop: Header=BB22_145 Depth=1
	s_cmp_gt_u32 s20, 7
	s_cbranch_scc1 .LBB22_172
; %bb.169:                              ;   in Loop: Header=BB22_145 Depth=1
	s_cmp_eq_u32 s20, 0
	s_cbranch_scc1 .LBB22_173
; %bb.170:                              ;   in Loop: Header=BB22_145 Depth=1
	s_mov_b64 s[16:17], 0
	v_pk_mov_b32 v[20:21], 0, 0
	s_mov_b64 s[18:19], 0
.LBB22_171:                             ;   Parent Loop BB22_145 Depth=1
                                        ; =>  This Inner Loop Header: Depth=2
	s_add_u32 s22, s4, s18
	s_addc_u32 s23, s5, s19
	global_load_ubyte v3, v33, s[22:23]
	s_add_u32 s18, s18, 1
	s_addc_u32 s19, s19, 0
	s_waitcnt vmcnt(0)
	v_and_b32_e32 v32, 0xffff, v3
	v_lshlrev_b64 v[8:9], s16, v[32:33]
	s_add_u32 s16, s16, 8
	s_addc_u32 s17, s17, 0
	v_or_b32_e32 v20, v8, v20
	s_cmp_lg_u32 s20, s18
	v_or_b32_e32 v21, v9, v21
	s_cbranch_scc1 .LBB22_171
	s_branch .LBB22_174
.LBB22_172:                             ;   in Loop: Header=BB22_145 Depth=1
                                        ; implicit-def: $vgpr20_vgpr21
                                        ; implicit-def: $sgpr21
	s_branch .LBB22_175
.LBB22_173:                             ;   in Loop: Header=BB22_145 Depth=1
	v_pk_mov_b32 v[20:21], 0, 0
.LBB22_174:                             ;   in Loop: Header=BB22_145 Depth=1
	s_mov_b32 s21, 0
	s_cbranch_execnz .LBB22_176
.LBB22_175:                             ;   in Loop: Header=BB22_145 Depth=1
	global_load_dwordx2 v[20:21], v33, s[4:5]
	s_add_i32 s21, s20, -8
	s_add_u32 s4, s4, 8
	s_addc_u32 s5, s5, 0
.LBB22_176:                             ;   in Loop: Header=BB22_145 Depth=1
	s_cmp_gt_u32 s21, 7
	s_cbranch_scc1 .LBB22_180
; %bb.177:                              ;   in Loop: Header=BB22_145 Depth=1
	s_cmp_eq_u32 s21, 0
	s_cbranch_scc1 .LBB22_181
; %bb.178:                              ;   in Loop: Header=BB22_145 Depth=1
	s_mov_b64 s[16:17], 0
	v_pk_mov_b32 v[22:23], 0, 0
	s_mov_b64 s[18:19], 0
.LBB22_179:                             ;   Parent Loop BB22_145 Depth=1
                                        ; =>  This Inner Loop Header: Depth=2
	s_add_u32 s22, s4, s18
	s_addc_u32 s23, s5, s19
	global_load_ubyte v3, v33, s[22:23]
	s_add_u32 s18, s18, 1
	s_addc_u32 s19, s19, 0
	s_waitcnt vmcnt(0)
	v_and_b32_e32 v32, 0xffff, v3
	v_lshlrev_b64 v[8:9], s16, v[32:33]
	s_add_u32 s16, s16, 8
	s_addc_u32 s17, s17, 0
	v_or_b32_e32 v22, v8, v22
	s_cmp_lg_u32 s21, s18
	v_or_b32_e32 v23, v9, v23
	s_cbranch_scc1 .LBB22_179
	s_branch .LBB22_182
.LBB22_180:                             ;   in Loop: Header=BB22_145 Depth=1
                                        ; implicit-def: $sgpr20
	s_branch .LBB22_183
.LBB22_181:                             ;   in Loop: Header=BB22_145 Depth=1
	v_pk_mov_b32 v[22:23], 0, 0
.LBB22_182:                             ;   in Loop: Header=BB22_145 Depth=1
	s_mov_b32 s20, 0
	s_cbranch_execnz .LBB22_184
.LBB22_183:                             ;   in Loop: Header=BB22_145 Depth=1
	global_load_dwordx2 v[22:23], v33, s[4:5]
	s_add_i32 s20, s21, -8
	s_add_u32 s4, s4, 8
	s_addc_u32 s5, s5, 0
.LBB22_184:                             ;   in Loop: Header=BB22_145 Depth=1
	s_cmp_gt_u32 s20, 7
	s_cbranch_scc1 .LBB22_188
; %bb.185:                              ;   in Loop: Header=BB22_145 Depth=1
	s_cmp_eq_u32 s20, 0
	s_cbranch_scc1 .LBB22_189
; %bb.186:                              ;   in Loop: Header=BB22_145 Depth=1
	s_mov_b64 s[16:17], 0
	v_pk_mov_b32 v[24:25], 0, 0
	s_mov_b64 s[18:19], 0
.LBB22_187:                             ;   Parent Loop BB22_145 Depth=1
                                        ; =>  This Inner Loop Header: Depth=2
	s_add_u32 s22, s4, s18
	s_addc_u32 s23, s5, s19
	global_load_ubyte v3, v33, s[22:23]
	s_add_u32 s18, s18, 1
	s_addc_u32 s19, s19, 0
	s_waitcnt vmcnt(0)
	v_and_b32_e32 v32, 0xffff, v3
	v_lshlrev_b64 v[8:9], s16, v[32:33]
	s_add_u32 s16, s16, 8
	s_addc_u32 s17, s17, 0
	v_or_b32_e32 v24, v8, v24
	s_cmp_lg_u32 s20, s18
	v_or_b32_e32 v25, v9, v25
	s_cbranch_scc1 .LBB22_187
	s_branch .LBB22_190
.LBB22_188:                             ;   in Loop: Header=BB22_145 Depth=1
                                        ; implicit-def: $vgpr24_vgpr25
                                        ; implicit-def: $sgpr21
	s_branch .LBB22_191
.LBB22_189:                             ;   in Loop: Header=BB22_145 Depth=1
	v_pk_mov_b32 v[24:25], 0, 0
.LBB22_190:                             ;   in Loop: Header=BB22_145 Depth=1
	s_mov_b32 s21, 0
	s_cbranch_execnz .LBB22_192
.LBB22_191:                             ;   in Loop: Header=BB22_145 Depth=1
	global_load_dwordx2 v[24:25], v33, s[4:5]
	s_add_i32 s21, s20, -8
	s_add_u32 s4, s4, 8
	s_addc_u32 s5, s5, 0
.LBB22_192:                             ;   in Loop: Header=BB22_145 Depth=1
	s_cmp_gt_u32 s21, 7
	s_cbranch_scc1 .LBB22_196
; %bb.193:                              ;   in Loop: Header=BB22_145 Depth=1
	s_cmp_eq_u32 s21, 0
	s_cbranch_scc1 .LBB22_197
; %bb.194:                              ;   in Loop: Header=BB22_145 Depth=1
	s_mov_b64 s[16:17], 0
	v_pk_mov_b32 v[26:27], 0, 0
	s_mov_b64 s[18:19], s[4:5]
.LBB22_195:                             ;   Parent Loop BB22_145 Depth=1
                                        ; =>  This Inner Loop Header: Depth=2
	global_load_ubyte v3, v33, s[18:19]
	s_add_i32 s21, s21, -1
	s_waitcnt vmcnt(0)
	v_and_b32_e32 v32, 0xffff, v3
	v_lshlrev_b64 v[8:9], s16, v[32:33]
	s_add_u32 s16, s16, 8
	s_addc_u32 s17, s17, 0
	s_add_u32 s18, s18, 1
	s_addc_u32 s19, s19, 0
	v_or_b32_e32 v26, v8, v26
	s_cmp_lg_u32 s21, 0
	v_or_b32_e32 v27, v9, v27
	s_cbranch_scc1 .LBB22_195
	s_branch .LBB22_198
.LBB22_196:                             ;   in Loop: Header=BB22_145 Depth=1
	s_branch .LBB22_199
.LBB22_197:                             ;   in Loop: Header=BB22_145 Depth=1
	v_pk_mov_b32 v[26:27], 0, 0
.LBB22_198:                             ;   in Loop: Header=BB22_145 Depth=1
	s_cbranch_execnz .LBB22_200
.LBB22_199:                             ;   in Loop: Header=BB22_145 Depth=1
	global_load_dwordx2 v[26:27], v33, s[4:5]
.LBB22_200:                             ;   in Loop: Header=BB22_145 Depth=1
	v_readfirstlane_b32 s4, v37
	v_cmp_eq_u32_e64 s[4:5], s4, v37
	s_waitcnt vmcnt(0)
	v_pk_mov_b32 v[8:9], 0, 0
	s_and_saveexec_b64 s[16:17], s[4:5]
	s_cbranch_execz .LBB22_206
; %bb.201:                              ;   in Loop: Header=BB22_145 Depth=1
	global_load_dwordx2 v[30:31], v33, s[10:11] offset:24 glc
	s_waitcnt vmcnt(0)
	buffer_invl2
	buffer_wbinvl1_vol
	global_load_dwordx2 v[8:9], v33, s[10:11] offset:40
	global_load_dwordx2 v[12:13], v33, s[10:11]
	s_waitcnt vmcnt(1)
	v_and_b32_e32 v3, v8, v30
	v_and_b32_e32 v8, v9, v31
	v_mul_lo_u32 v8, v8, 24
	v_mul_hi_u32 v9, v3, 24
	v_mul_lo_u32 v3, v3, 24
	v_add_u32_e32 v9, v9, v8
	s_waitcnt vmcnt(0)
	v_add_co_u32_e32 v8, vcc, v12, v3
	v_addc_co_u32_e32 v9, vcc, v13, v9, vcc
	global_load_dwordx2 v[28:29], v[8:9], off glc
	s_waitcnt vmcnt(0)
	global_atomic_cmpswap_x2 v[8:9], v33, v[28:31], s[10:11] offset:24 glc
	s_waitcnt vmcnt(0)
	buffer_invl2
	buffer_wbinvl1_vol
	v_cmp_ne_u64_e32 vcc, v[8:9], v[30:31]
	s_and_saveexec_b64 s[18:19], vcc
	s_cbranch_execz .LBB22_205
; %bb.202:                              ;   in Loop: Header=BB22_145 Depth=1
	s_mov_b64 s[20:21], 0
.LBB22_203:                             ;   Parent Loop BB22_145 Depth=1
                                        ; =>  This Inner Loop Header: Depth=2
	s_sleep 1
	global_load_dwordx2 v[12:13], v33, s[10:11] offset:40
	global_load_dwordx2 v[28:29], v33, s[10:11]
	v_pk_mov_b32 v[30:31], v[8:9], v[8:9] op_sel:[0,1]
	s_waitcnt vmcnt(1)
	v_and_b32_e32 v8, v12, v30
	s_waitcnt vmcnt(0)
	v_mad_u64_u32 v[8:9], s[22:23], v8, 24, v[28:29]
	v_and_b32_e32 v3, v13, v31
	v_mov_b32_e32 v12, v9
	v_mad_u64_u32 v[12:13], s[22:23], v3, 24, v[12:13]
	v_mov_b32_e32 v9, v12
	global_load_dwordx2 v[28:29], v[8:9], off glc
	s_waitcnt vmcnt(0)
	global_atomic_cmpswap_x2 v[8:9], v33, v[28:31], s[10:11] offset:24 glc
	s_waitcnt vmcnt(0)
	buffer_invl2
	buffer_wbinvl1_vol
	v_cmp_eq_u64_e32 vcc, v[8:9], v[30:31]
	s_or_b64 s[20:21], vcc, s[20:21]
	s_andn2_b64 exec, exec, s[20:21]
	s_cbranch_execnz .LBB22_203
; %bb.204:                              ;   in Loop: Header=BB22_145 Depth=1
	s_or_b64 exec, exec, s[20:21]
.LBB22_205:                             ;   in Loop: Header=BB22_145 Depth=1
	s_or_b64 exec, exec, s[18:19]
.LBB22_206:                             ;   in Loop: Header=BB22_145 Depth=1
	s_or_b64 exec, exec, s[16:17]
	global_load_dwordx2 v[12:13], v33, s[10:11] offset:40
	global_load_dwordx4 v[28:31], v33, s[10:11]
	v_readfirstlane_b32 s16, v8
	v_readfirstlane_b32 s17, v9
	s_mov_b64 s[18:19], exec
	s_waitcnt vmcnt(1)
	v_readfirstlane_b32 s20, v12
	v_readfirstlane_b32 s21, v13
	s_and_b64 s[20:21], s[16:17], s[20:21]
	s_mul_i32 s22, s21, 24
	s_mul_hi_u32 s23, s20, 24
	s_mul_i32 s24, s20, 24
	s_add_i32 s22, s23, s22
	v_mov_b32_e32 v3, s22
	s_waitcnt vmcnt(0)
	v_add_co_u32_e32 v34, vcc, s24, v28
	v_addc_co_u32_e32 v35, vcc, v29, v3, vcc
	s_and_saveexec_b64 s[22:23], s[4:5]
	s_cbranch_execz .LBB22_208
; %bb.207:                              ;   in Loop: Header=BB22_145 Depth=1
	v_pk_mov_b32 v[8:9], s[18:19], s[18:19] op_sel:[0,1]
	global_store_dwordx4 v[34:35], v[8:11], off offset:8
.LBB22_208:                             ;   in Loop: Header=BB22_145 Depth=1
	s_or_b64 exec, exec, s[22:23]
	s_lshl_b64 s[18:19], s[20:21], 12
	v_mov_b32_e32 v3, s19
	v_add_co_u32_e32 v30, vcc, s18, v30
	v_addc_co_u32_e32 v3, vcc, v31, v3, vcc
	v_or_b32_e32 v9, v6, v2
	v_cmp_gt_u64_e64 vcc, s[12:13], 56
	s_lshl_b32 s18, s14, 2
	v_cndmask_b32_e32 v6, v9, v6, vcc
	s_add_i32 s18, s18, 28
	v_or_b32_e32 v8, 0, v7
	s_and_b32 s18, s18, 0x1e0
	v_and_b32_e32 v6, 0xffffff1f, v6
	v_cndmask_b32_e32 v13, v8, v7, vcc
	v_or_b32_e32 v12, s18, v6
	v_readfirstlane_b32 s18, v30
	v_readfirstlane_b32 s19, v3
	s_nop 4
	global_store_dwordx4 v36, v[12:15], s[18:19]
	global_store_dwordx4 v36, v[16:19], s[18:19] offset:16
	global_store_dwordx4 v36, v[20:23], s[18:19] offset:32
	;; [unrolled: 1-line block ×3, first 2 shown]
	s_and_saveexec_b64 s[18:19], s[4:5]
	s_cbranch_execz .LBB22_216
; %bb.209:                              ;   in Loop: Header=BB22_145 Depth=1
	global_load_dwordx2 v[16:17], v33, s[10:11] offset:32 glc
	global_load_dwordx2 v[6:7], v33, s[10:11] offset:40
	v_mov_b32_e32 v14, s16
	v_mov_b32_e32 v15, s17
	s_waitcnt vmcnt(0)
	v_readfirstlane_b32 s20, v6
	v_readfirstlane_b32 s21, v7
	s_and_b64 s[20:21], s[20:21], s[16:17]
	s_mul_i32 s21, s21, 24
	s_mul_hi_u32 s22, s20, 24
	s_mul_i32 s20, s20, 24
	s_add_i32 s21, s22, s21
	v_mov_b32_e32 v6, s21
	v_add_co_u32_e32 v12, vcc, s20, v28
	v_addc_co_u32_e32 v13, vcc, v29, v6, vcc
	global_store_dwordx2 v[12:13], v[16:17], off
	buffer_wbl2
	s_waitcnt vmcnt(0)
	global_atomic_cmpswap_x2 v[8:9], v33, v[14:17], s[10:11] offset:32 glc
	s_waitcnt vmcnt(0)
	v_cmp_ne_u64_e32 vcc, v[8:9], v[16:17]
	s_and_saveexec_b64 s[20:21], vcc
	s_cbranch_execz .LBB22_212
; %bb.210:                              ;   in Loop: Header=BB22_145 Depth=1
	s_mov_b64 s[22:23], 0
.LBB22_211:                             ;   Parent Loop BB22_145 Depth=1
                                        ; =>  This Inner Loop Header: Depth=2
	s_sleep 1
	global_store_dwordx2 v[12:13], v[8:9], off
	v_mov_b32_e32 v6, s16
	v_mov_b32_e32 v7, s17
	buffer_wbl2
	s_waitcnt vmcnt(0)
	global_atomic_cmpswap_x2 v[6:7], v33, v[6:9], s[10:11] offset:32 glc
	s_waitcnt vmcnt(0)
	v_cmp_eq_u64_e32 vcc, v[6:7], v[8:9]
	s_or_b64 s[22:23], vcc, s[22:23]
	v_pk_mov_b32 v[8:9], v[6:7], v[6:7] op_sel:[0,1]
	s_andn2_b64 exec, exec, s[22:23]
	s_cbranch_execnz .LBB22_211
.LBB22_212:                             ;   in Loop: Header=BB22_145 Depth=1
	s_or_b64 exec, exec, s[20:21]
	global_load_dwordx2 v[6:7], v33, s[10:11] offset:16
	s_mov_b64 s[22:23], exec
	v_mbcnt_lo_u32_b32 v8, s22, 0
	v_mbcnt_hi_u32_b32 v8, s23, v8
	v_cmp_eq_u32_e32 vcc, 0, v8
	s_and_saveexec_b64 s[20:21], vcc
	s_cbranch_execz .LBB22_214
; %bb.213:                              ;   in Loop: Header=BB22_145 Depth=1
	s_bcnt1_i32_b64 s22, s[22:23]
	v_mov_b32_e32 v32, s22
	buffer_wbl2
	s_waitcnt vmcnt(0)
	global_atomic_add_x2 v[6:7], v[32:33], off offset:8
.LBB22_214:                             ;   in Loop: Header=BB22_145 Depth=1
	s_or_b64 exec, exec, s[20:21]
	s_waitcnt vmcnt(0)
	global_load_dwordx2 v[8:9], v[6:7], off offset:16
	s_waitcnt vmcnt(0)
	v_cmp_eq_u64_e32 vcc, 0, v[8:9]
	s_cbranch_vccnz .LBB22_216
; %bb.215:                              ;   in Loop: Header=BB22_145 Depth=1
	global_load_dword v32, v[6:7], off offset:24
	s_waitcnt vmcnt(0)
	v_and_b32_e32 v6, 0xffffff, v32
	v_readfirstlane_b32 m0, v6
	buffer_wbl2
	global_store_dwordx2 v[8:9], v[32:33], off
	s_sendmsg sendmsg(MSG_INTERRUPT)
.LBB22_216:                             ;   in Loop: Header=BB22_145 Depth=1
	s_or_b64 exec, exec, s[18:19]
	v_add_co_u32_e32 v6, vcc, v30, v36
	v_addc_co_u32_e32 v7, vcc, 0, v3, vcc
	s_branch .LBB22_220
.LBB22_217:                             ;   in Loop: Header=BB22_220 Depth=2
	s_or_b64 exec, exec, s[18:19]
	v_readfirstlane_b32 s18, v3
	s_cmp_eq_u32 s18, 0
	s_cbranch_scc1 .LBB22_219
; %bb.218:                              ;   in Loop: Header=BB22_220 Depth=2
	s_sleep 1
	s_cbranch_execnz .LBB22_220
	s_branch .LBB22_222
.LBB22_219:                             ;   in Loop: Header=BB22_145 Depth=1
	s_branch .LBB22_222
.LBB22_220:                             ;   Parent Loop BB22_145 Depth=1
                                        ; =>  This Inner Loop Header: Depth=2
	v_mov_b32_e32 v3, 1
	s_and_saveexec_b64 s[18:19], s[4:5]
	s_cbranch_execz .LBB22_217
; %bb.221:                              ;   in Loop: Header=BB22_220 Depth=2
	global_load_dword v3, v[34:35], off offset:20 glc
	s_waitcnt vmcnt(0)
	buffer_invl2
	buffer_wbinvl1_vol
	v_and_b32_e32 v3, 1, v3
	s_branch .LBB22_217
.LBB22_222:                             ;   in Loop: Header=BB22_145 Depth=1
	global_load_dwordx4 v[6:9], v[6:7], off
	s_and_saveexec_b64 s[18:19], s[4:5]
	s_cbranch_execz .LBB22_144
; %bb.223:                              ;   in Loop: Header=BB22_145 Depth=1
	global_load_dwordx2 v[8:9], v33, s[10:11] offset:40
	global_load_dwordx2 v[16:17], v33, s[10:11] offset:24 glc
	global_load_dwordx2 v[18:19], v33, s[10:11]
	v_mov_b32_e32 v3, s17
	s_waitcnt vmcnt(2)
	v_add_co_u32_e32 v15, vcc, 1, v8
	v_addc_co_u32_e32 v20, vcc, 0, v9, vcc
	v_add_co_u32_e32 v12, vcc, s16, v15
	v_addc_co_u32_e32 v13, vcc, v20, v3, vcc
	v_cmp_eq_u64_e32 vcc, 0, v[12:13]
	v_cndmask_b32_e32 v13, v13, v20, vcc
	v_cndmask_b32_e32 v12, v12, v15, vcc
	v_and_b32_e32 v3, v13, v9
	v_and_b32_e32 v8, v12, v8
	v_mul_lo_u32 v3, v3, 24
	v_mul_hi_u32 v9, v8, 24
	v_mul_lo_u32 v8, v8, 24
	v_add_u32_e32 v3, v9, v3
	s_waitcnt vmcnt(0)
	v_add_co_u32_e32 v8, vcc, v18, v8
	v_addc_co_u32_e32 v9, vcc, v19, v3, vcc
	v_mov_b32_e32 v14, v16
	global_store_dwordx2 v[8:9], v[16:17], off
	v_mov_b32_e32 v15, v17
	buffer_wbl2
	s_waitcnt vmcnt(0)
	global_atomic_cmpswap_x2 v[14:15], v33, v[12:15], s[10:11] offset:24 glc
	s_waitcnt vmcnt(0)
	v_cmp_ne_u64_e32 vcc, v[14:15], v[16:17]
	s_and_b64 exec, exec, vcc
	s_cbranch_execz .LBB22_144
; %bb.224:                              ;   in Loop: Header=BB22_145 Depth=1
	s_mov_b64 s[4:5], 0
.LBB22_225:                             ;   Parent Loop BB22_145 Depth=1
                                        ; =>  This Inner Loop Header: Depth=2
	s_sleep 1
	global_store_dwordx2 v[8:9], v[14:15], off
	buffer_wbl2
	s_waitcnt vmcnt(0)
	global_atomic_cmpswap_x2 v[16:17], v33, v[12:15], s[10:11] offset:24 glc
	s_waitcnt vmcnt(0)
	v_cmp_eq_u64_e32 vcc, v[16:17], v[14:15]
	s_or_b64 s[4:5], vcc, s[4:5]
	v_pk_mov_b32 v[14:15], v[16:17], v[16:17] op_sel:[0,1]
	s_andn2_b64 exec, exec, s[4:5]
	s_cbranch_execnz .LBB22_225
	s_branch .LBB22_144
.LBB22_226:
                                        ; implicit-def: $vgpr6_vgpr7
	s_cbranch_execnz .LBB22_228
	s_branch .LBB22_254
.LBB22_227:
	s_branch .LBB22_254
.LBB22_228:
	v_readfirstlane_b32 s4, v37
	v_cmp_eq_u32_e64 s[4:5], s4, v37
	v_pk_mov_b32 v[10:11], 0, 0
	s_and_saveexec_b64 s[6:7], s[4:5]
	s_cbranch_execz .LBB22_234
; %bb.229:
	v_mov_b32_e32 v2, 0
	global_load_dwordx2 v[8:9], v2, s[10:11] offset:24 glc
	s_waitcnt vmcnt(0)
	buffer_invl2
	buffer_wbinvl1_vol
	global_load_dwordx2 v[6:7], v2, s[10:11] offset:40
	global_load_dwordx2 v[10:11], v2, s[10:11]
	s_waitcnt vmcnt(1)
	v_and_b32_e32 v3, v6, v8
	v_and_b32_e32 v6, v7, v9
	v_mul_lo_u32 v6, v6, 24
	v_mul_hi_u32 v7, v3, 24
	v_mul_lo_u32 v3, v3, 24
	v_add_u32_e32 v7, v7, v6
	s_waitcnt vmcnt(0)
	v_add_co_u32_e32 v6, vcc, v10, v3
	v_addc_co_u32_e32 v7, vcc, v11, v7, vcc
	global_load_dwordx2 v[6:7], v[6:7], off glc
	s_waitcnt vmcnt(0)
	global_atomic_cmpswap_x2 v[10:11], v2, v[6:9], s[10:11] offset:24 glc
	s_waitcnt vmcnt(0)
	buffer_invl2
	buffer_wbinvl1_vol
	v_cmp_ne_u64_e32 vcc, v[10:11], v[8:9]
	s_and_saveexec_b64 s[12:13], vcc
	s_cbranch_execz .LBB22_233
; %bb.230:
	s_mov_b64 s[14:15], 0
.LBB22_231:                             ; =>This Inner Loop Header: Depth=1
	s_sleep 1
	global_load_dwordx2 v[6:7], v2, s[10:11] offset:40
	global_load_dwordx2 v[12:13], v2, s[10:11]
	v_pk_mov_b32 v[8:9], v[10:11], v[10:11] op_sel:[0,1]
	s_waitcnt vmcnt(1)
	v_and_b32_e32 v6, v6, v8
	v_and_b32_e32 v3, v7, v9
	s_waitcnt vmcnt(0)
	v_mad_u64_u32 v[6:7], s[16:17], v6, 24, v[12:13]
	v_mov_b32_e32 v10, v7
	v_mad_u64_u32 v[10:11], s[16:17], v3, 24, v[10:11]
	v_mov_b32_e32 v7, v10
	global_load_dwordx2 v[6:7], v[6:7], off glc
	s_waitcnt vmcnt(0)
	global_atomic_cmpswap_x2 v[10:11], v2, v[6:9], s[10:11] offset:24 glc
	s_waitcnt vmcnt(0)
	buffer_invl2
	buffer_wbinvl1_vol
	v_cmp_eq_u64_e32 vcc, v[10:11], v[8:9]
	s_or_b64 s[14:15], vcc, s[14:15]
	s_andn2_b64 exec, exec, s[14:15]
	s_cbranch_execnz .LBB22_231
; %bb.232:
	s_or_b64 exec, exec, s[14:15]
.LBB22_233:
	s_or_b64 exec, exec, s[12:13]
.LBB22_234:
	s_or_b64 exec, exec, s[6:7]
	v_mov_b32_e32 v2, 0
	global_load_dwordx2 v[12:13], v2, s[10:11] offset:40
	global_load_dwordx4 v[6:9], v2, s[10:11]
	v_readfirstlane_b32 s6, v10
	v_readfirstlane_b32 s7, v11
	s_mov_b64 s[12:13], exec
	s_waitcnt vmcnt(1)
	v_readfirstlane_b32 s14, v12
	v_readfirstlane_b32 s15, v13
	s_and_b64 s[14:15], s[6:7], s[14:15]
	s_mul_i32 s16, s15, 24
	s_mul_hi_u32 s17, s14, 24
	s_mul_i32 s18, s14, 24
	s_add_i32 s16, s17, s16
	v_mov_b32_e32 v3, s16
	s_waitcnt vmcnt(0)
	v_add_co_u32_e32 v10, vcc, s18, v6
	v_addc_co_u32_e32 v11, vcc, v7, v3, vcc
	s_and_saveexec_b64 s[16:17], s[4:5]
	s_cbranch_execz .LBB22_236
; %bb.235:
	v_pk_mov_b32 v[12:13], s[12:13], s[12:13] op_sel:[0,1]
	v_mov_b32_e32 v14, 2
	v_mov_b32_e32 v15, 1
	global_store_dwordx4 v[10:11], v[12:15], off offset:8
.LBB22_236:
	s_or_b64 exec, exec, s[16:17]
	s_lshl_b64 s[12:13], s[14:15], 12
	v_mov_b32_e32 v3, s13
	v_add_co_u32_e32 v12, vcc, s12, v8
	s_movk_i32 s12, 0xff1f
	v_addc_co_u32_e32 v13, vcc, v9, v3, vcc
	v_and_or_b32 v0, v0, s12, 32
	s_mov_b32 s12, 0
	v_mov_b32_e32 v3, v2
	v_readfirstlane_b32 s16, v12
	v_readfirstlane_b32 s17, v13
	s_mov_b32 s13, s12
	v_add_co_u32_e32 v8, vcc, v12, v36
	s_mov_b32 s14, s12
	s_mov_b32 s15, s12
	s_nop 0
	global_store_dwordx4 v36, v[0:3], s[16:17]
	v_addc_co_u32_e32 v9, vcc, 0, v13, vcc
	v_pk_mov_b32 v[0:1], s[12:13], s[12:13] op_sel:[0,1]
	v_pk_mov_b32 v[2:3], s[14:15], s[14:15] op_sel:[0,1]
	global_store_dwordx4 v36, v[0:3], s[16:17] offset:16
	global_store_dwordx4 v36, v[0:3], s[16:17] offset:32
	;; [unrolled: 1-line block ×3, first 2 shown]
	s_and_saveexec_b64 s[12:13], s[4:5]
	s_cbranch_execz .LBB22_244
; %bb.237:
	v_mov_b32_e32 v12, 0
	global_load_dwordx2 v[16:17], v12, s[10:11] offset:32 glc
	global_load_dwordx2 v[0:1], v12, s[10:11] offset:40
	v_mov_b32_e32 v14, s6
	v_mov_b32_e32 v15, s7
	s_waitcnt vmcnt(0)
	v_readfirstlane_b32 s14, v0
	v_readfirstlane_b32 s15, v1
	s_and_b64 s[14:15], s[14:15], s[6:7]
	s_mul_i32 s15, s15, 24
	s_mul_hi_u32 s16, s14, 24
	s_mul_i32 s14, s14, 24
	s_add_i32 s15, s16, s15
	v_mov_b32_e32 v0, s15
	v_add_co_u32_e32 v6, vcc, s14, v6
	v_addc_co_u32_e32 v7, vcc, v7, v0, vcc
	global_store_dwordx2 v[6:7], v[16:17], off
	buffer_wbl2
	s_waitcnt vmcnt(0)
	global_atomic_cmpswap_x2 v[2:3], v12, v[14:17], s[10:11] offset:32 glc
	s_waitcnt vmcnt(0)
	v_cmp_ne_u64_e32 vcc, v[2:3], v[16:17]
	s_and_saveexec_b64 s[14:15], vcc
	s_cbranch_execz .LBB22_240
; %bb.238:
	s_mov_b64 s[16:17], 0
.LBB22_239:                             ; =>This Inner Loop Header: Depth=1
	s_sleep 1
	global_store_dwordx2 v[6:7], v[2:3], off
	v_mov_b32_e32 v0, s6
	v_mov_b32_e32 v1, s7
	buffer_wbl2
	s_waitcnt vmcnt(0)
	global_atomic_cmpswap_x2 v[0:1], v12, v[0:3], s[10:11] offset:32 glc
	s_waitcnt vmcnt(0)
	v_cmp_eq_u64_e32 vcc, v[0:1], v[2:3]
	s_or_b64 s[16:17], vcc, s[16:17]
	v_pk_mov_b32 v[2:3], v[0:1], v[0:1] op_sel:[0,1]
	s_andn2_b64 exec, exec, s[16:17]
	s_cbranch_execnz .LBB22_239
.LBB22_240:
	s_or_b64 exec, exec, s[14:15]
	v_mov_b32_e32 v3, 0
	global_load_dwordx2 v[0:1], v3, s[10:11] offset:16
	s_mov_b64 s[14:15], exec
	v_mbcnt_lo_u32_b32 v2, s14, 0
	v_mbcnt_hi_u32_b32 v2, s15, v2
	v_cmp_eq_u32_e32 vcc, 0, v2
	s_and_saveexec_b64 s[16:17], vcc
	s_cbranch_execz .LBB22_242
; %bb.241:
	s_bcnt1_i32_b64 s14, s[14:15]
	v_mov_b32_e32 v2, s14
	buffer_wbl2
	s_waitcnt vmcnt(0)
	global_atomic_add_x2 v[0:1], v[2:3], off offset:8
.LBB22_242:
	s_or_b64 exec, exec, s[16:17]
	s_waitcnt vmcnt(0)
	global_load_dwordx2 v[2:3], v[0:1], off offset:16
	s_waitcnt vmcnt(0)
	v_cmp_eq_u64_e32 vcc, 0, v[2:3]
	s_cbranch_vccnz .LBB22_244
; %bb.243:
	global_load_dword v0, v[0:1], off offset:24
	v_mov_b32_e32 v1, 0
	buffer_wbl2
	s_waitcnt vmcnt(0)
	global_store_dwordx2 v[2:3], v[0:1], off
	v_and_b32_e32 v0, 0xffffff, v0
	v_readfirstlane_b32 m0, v0
	s_sendmsg sendmsg(MSG_INTERRUPT)
.LBB22_244:
	s_or_b64 exec, exec, s[12:13]
	s_branch .LBB22_248
.LBB22_245:                             ;   in Loop: Header=BB22_248 Depth=1
	s_or_b64 exec, exec, s[12:13]
	v_readfirstlane_b32 s12, v0
	s_cmp_eq_u32 s12, 0
	s_cbranch_scc1 .LBB22_247
; %bb.246:                              ;   in Loop: Header=BB22_248 Depth=1
	s_sleep 1
	s_cbranch_execnz .LBB22_248
	s_branch .LBB22_250
.LBB22_247:
	s_branch .LBB22_250
.LBB22_248:                             ; =>This Inner Loop Header: Depth=1
	v_mov_b32_e32 v0, 1
	s_and_saveexec_b64 s[12:13], s[4:5]
	s_cbranch_execz .LBB22_245
; %bb.249:                              ;   in Loop: Header=BB22_248 Depth=1
	global_load_dword v0, v[10:11], off offset:20 glc
	s_waitcnt vmcnt(0)
	buffer_invl2
	buffer_wbinvl1_vol
	v_and_b32_e32 v0, 1, v0
	s_branch .LBB22_245
.LBB22_250:
	global_load_dwordx2 v[6:7], v[8:9], off
	s_and_saveexec_b64 s[12:13], s[4:5]
	s_cbranch_execz .LBB22_253
; %bb.251:
	v_mov_b32_e32 v10, 0
	global_load_dwordx2 v[8:9], v10, s[10:11] offset:40
	global_load_dwordx2 v[12:13], v10, s[10:11] offset:24 glc
	global_load_dwordx2 v[14:15], v10, s[10:11]
	v_mov_b32_e32 v1, s7
	s_mov_b64 s[4:5], 0
	s_waitcnt vmcnt(2)
	v_add_co_u32_e32 v3, vcc, 1, v8
	v_addc_co_u32_e32 v11, vcc, 0, v9, vcc
	v_add_co_u32_e32 v0, vcc, s6, v3
	v_addc_co_u32_e32 v1, vcc, v11, v1, vcc
	v_cmp_eq_u64_e32 vcc, 0, v[0:1]
	v_cndmask_b32_e32 v1, v1, v11, vcc
	v_cndmask_b32_e32 v0, v0, v3, vcc
	v_and_b32_e32 v3, v1, v9
	v_and_b32_e32 v8, v0, v8
	v_mul_lo_u32 v3, v3, 24
	v_mul_hi_u32 v9, v8, 24
	v_mul_lo_u32 v8, v8, 24
	v_add_u32_e32 v3, v9, v3
	s_waitcnt vmcnt(0)
	v_add_co_u32_e32 v8, vcc, v14, v8
	v_addc_co_u32_e32 v9, vcc, v15, v3, vcc
	v_mov_b32_e32 v2, v12
	global_store_dwordx2 v[8:9], v[12:13], off
	v_mov_b32_e32 v3, v13
	buffer_wbl2
	s_waitcnt vmcnt(0)
	global_atomic_cmpswap_x2 v[2:3], v10, v[0:3], s[10:11] offset:24 glc
	s_waitcnt vmcnt(0)
	v_cmp_ne_u64_e32 vcc, v[2:3], v[12:13]
	s_and_b64 exec, exec, vcc
	s_cbranch_execz .LBB22_253
.LBB22_252:                             ; =>This Inner Loop Header: Depth=1
	s_sleep 1
	global_store_dwordx2 v[8:9], v[2:3], off
	buffer_wbl2
	s_waitcnt vmcnt(0)
	global_atomic_cmpswap_x2 v[12:13], v10, v[0:3], s[10:11] offset:24 glc
	s_waitcnt vmcnt(0)
	v_cmp_eq_u64_e32 vcc, v[12:13], v[2:3]
	s_or_b64 s[4:5], vcc, s[4:5]
	v_pk_mov_b32 v[2:3], v[12:13], v[12:13] op_sel:[0,1]
	s_andn2_b64 exec, exec, s[4:5]
	s_cbranch_execnz .LBB22_252
.LBB22_253:
	s_or_b64 exec, exec, s[12:13]
.LBB22_254:
	v_readfirstlane_b32 s4, v37
	v_cmp_eq_u32_e64 s[4:5], s4, v37
	v_pk_mov_b32 v[10:11], 0, 0
	s_and_saveexec_b64 s[6:7], s[4:5]
	s_cbranch_execz .LBB22_260
; %bb.255:
	v_mov_b32_e32 v0, 0
	global_load_dwordx2 v[12:13], v0, s[10:11] offset:24 glc
	s_waitcnt vmcnt(0)
	buffer_invl2
	buffer_wbinvl1_vol
	global_load_dwordx2 v[2:3], v0, s[10:11] offset:40
	global_load_dwordx2 v[8:9], v0, s[10:11]
	s_waitcnt vmcnt(1)
	v_and_b32_e32 v1, v2, v12
	v_and_b32_e32 v2, v3, v13
	v_mul_lo_u32 v2, v2, 24
	v_mul_hi_u32 v3, v1, 24
	v_mul_lo_u32 v1, v1, 24
	v_add_u32_e32 v3, v3, v2
	s_waitcnt vmcnt(0)
	v_add_co_u32_e32 v2, vcc, v8, v1
	v_addc_co_u32_e32 v3, vcc, v9, v3, vcc
	global_load_dwordx2 v[10:11], v[2:3], off glc
	s_waitcnt vmcnt(0)
	global_atomic_cmpswap_x2 v[10:11], v0, v[10:13], s[10:11] offset:24 glc
	s_waitcnt vmcnt(0)
	buffer_invl2
	buffer_wbinvl1_vol
	v_cmp_ne_u64_e32 vcc, v[10:11], v[12:13]
	s_and_saveexec_b64 s[12:13], vcc
	s_cbranch_execz .LBB22_259
; %bb.256:
	s_mov_b64 s[14:15], 0
.LBB22_257:                             ; =>This Inner Loop Header: Depth=1
	s_sleep 1
	global_load_dwordx2 v[2:3], v0, s[10:11] offset:40
	global_load_dwordx2 v[8:9], v0, s[10:11]
	v_pk_mov_b32 v[12:13], v[10:11], v[10:11] op_sel:[0,1]
	s_waitcnt vmcnt(1)
	v_and_b32_e32 v2, v2, v12
	v_and_b32_e32 v1, v3, v13
	s_waitcnt vmcnt(0)
	v_mad_u64_u32 v[2:3], s[16:17], v2, 24, v[8:9]
	v_mov_b32_e32 v8, v3
	v_mad_u64_u32 v[8:9], s[16:17], v1, 24, v[8:9]
	v_mov_b32_e32 v3, v8
	global_load_dwordx2 v[10:11], v[2:3], off glc
	s_waitcnt vmcnt(0)
	global_atomic_cmpswap_x2 v[10:11], v0, v[10:13], s[10:11] offset:24 glc
	s_waitcnt vmcnt(0)
	buffer_invl2
	buffer_wbinvl1_vol
	v_cmp_eq_u64_e32 vcc, v[10:11], v[12:13]
	s_or_b64 s[14:15], vcc, s[14:15]
	s_andn2_b64 exec, exec, s[14:15]
	s_cbranch_execnz .LBB22_257
; %bb.258:
	s_or_b64 exec, exec, s[14:15]
.LBB22_259:
	s_or_b64 exec, exec, s[12:13]
.LBB22_260:
	s_or_b64 exec, exec, s[6:7]
	s_waitcnt vmcnt(0)
	v_mov_b32_e32 v9, 0
	global_load_dwordx2 v[12:13], v9, s[10:11] offset:40
	global_load_dwordx4 v[0:3], v9, s[10:11]
	v_readfirstlane_b32 s6, v10
	v_readfirstlane_b32 s7, v11
	s_mov_b64 s[12:13], exec
	s_waitcnt vmcnt(1)
	v_readfirstlane_b32 s14, v12
	v_readfirstlane_b32 s15, v13
	s_and_b64 s[14:15], s[6:7], s[14:15]
	s_mul_i32 s16, s15, 24
	s_mul_hi_u32 s17, s14, 24
	s_mul_i32 s18, s14, 24
	s_add_i32 s16, s17, s16
	v_mov_b32_e32 v8, s16
	s_waitcnt vmcnt(0)
	v_add_co_u32_e32 v10, vcc, s18, v0
	v_addc_co_u32_e32 v11, vcc, v1, v8, vcc
	s_and_saveexec_b64 s[16:17], s[4:5]
	s_cbranch_execz .LBB22_262
; %bb.261:
	v_pk_mov_b32 v[12:13], s[12:13], s[12:13] op_sel:[0,1]
	v_mov_b32_e32 v14, 2
	v_mov_b32_e32 v15, 1
	global_store_dwordx4 v[10:11], v[12:15], off offset:8
.LBB22_262:
	s_or_b64 exec, exec, s[16:17]
	s_lshl_b64 s[12:13], s[14:15], 12
	v_mov_b32_e32 v8, s13
	v_add_co_u32_e32 v2, vcc, s12, v2
	s_movk_i32 s12, 0xff1f
	v_addc_co_u32_e32 v3, vcc, v3, v8, vcc
	v_and_or_b32 v6, v6, s12, 32
	s_mov_b32 s12, 0
	v_mov_b32_e32 v8, 0xec
	v_readfirstlane_b32 s16, v2
	v_readfirstlane_b32 s17, v3
	s_mov_b32 s13, s12
	v_add_co_u32_e32 v12, vcc, v2, v36
	s_mov_b32 s14, s12
	s_mov_b32 s15, s12
	s_nop 0
	global_store_dwordx4 v36, v[6:9], s[16:17]
	v_addc_co_u32_e32 v13, vcc, 0, v3, vcc
	v_pk_mov_b32 v[6:7], s[12:13], s[12:13] op_sel:[0,1]
	v_pk_mov_b32 v[8:9], s[14:15], s[14:15] op_sel:[0,1]
	global_store_dwordx4 v36, v[6:9], s[16:17] offset:16
	global_store_dwordx4 v36, v[6:9], s[16:17] offset:32
	;; [unrolled: 1-line block ×3, first 2 shown]
	s_and_saveexec_b64 s[12:13], s[4:5]
	s_cbranch_execz .LBB22_270
; %bb.263:
	v_mov_b32_e32 v8, 0
	global_load_dwordx2 v[16:17], v8, s[10:11] offset:32 glc
	global_load_dwordx2 v[2:3], v8, s[10:11] offset:40
	v_mov_b32_e32 v14, s6
	v_mov_b32_e32 v15, s7
	s_waitcnt vmcnt(0)
	v_readfirstlane_b32 s14, v2
	v_readfirstlane_b32 s15, v3
	s_and_b64 s[14:15], s[14:15], s[6:7]
	s_mul_i32 s15, s15, 24
	s_mul_hi_u32 s16, s14, 24
	s_mul_i32 s14, s14, 24
	s_add_i32 s15, s16, s15
	v_mov_b32_e32 v2, s15
	v_add_co_u32_e32 v6, vcc, s14, v0
	v_addc_co_u32_e32 v7, vcc, v1, v2, vcc
	global_store_dwordx2 v[6:7], v[16:17], off
	buffer_wbl2
	s_waitcnt vmcnt(0)
	global_atomic_cmpswap_x2 v[2:3], v8, v[14:17], s[10:11] offset:32 glc
	s_waitcnt vmcnt(0)
	v_cmp_ne_u64_e32 vcc, v[2:3], v[16:17]
	s_and_saveexec_b64 s[14:15], vcc
	s_cbranch_execz .LBB22_266
; %bb.264:
	s_mov_b64 s[16:17], 0
.LBB22_265:                             ; =>This Inner Loop Header: Depth=1
	s_sleep 1
	global_store_dwordx2 v[6:7], v[2:3], off
	v_mov_b32_e32 v0, s6
	v_mov_b32_e32 v1, s7
	buffer_wbl2
	s_waitcnt vmcnt(0)
	global_atomic_cmpswap_x2 v[0:1], v8, v[0:3], s[10:11] offset:32 glc
	s_waitcnt vmcnt(0)
	v_cmp_eq_u64_e32 vcc, v[0:1], v[2:3]
	s_or_b64 s[16:17], vcc, s[16:17]
	v_pk_mov_b32 v[2:3], v[0:1], v[0:1] op_sel:[0,1]
	s_andn2_b64 exec, exec, s[16:17]
	s_cbranch_execnz .LBB22_265
.LBB22_266:
	s_or_b64 exec, exec, s[14:15]
	v_mov_b32_e32 v3, 0
	global_load_dwordx2 v[0:1], v3, s[10:11] offset:16
	s_mov_b64 s[14:15], exec
	v_mbcnt_lo_u32_b32 v2, s14, 0
	v_mbcnt_hi_u32_b32 v2, s15, v2
	v_cmp_eq_u32_e32 vcc, 0, v2
	s_and_saveexec_b64 s[16:17], vcc
	s_cbranch_execz .LBB22_268
; %bb.267:
	s_bcnt1_i32_b64 s14, s[14:15]
	v_mov_b32_e32 v2, s14
	buffer_wbl2
	s_waitcnt vmcnt(0)
	global_atomic_add_x2 v[0:1], v[2:3], off offset:8
.LBB22_268:
	s_or_b64 exec, exec, s[16:17]
	s_waitcnt vmcnt(0)
	global_load_dwordx2 v[2:3], v[0:1], off offset:16
	s_waitcnt vmcnt(0)
	v_cmp_eq_u64_e32 vcc, 0, v[2:3]
	s_cbranch_vccnz .LBB22_270
; %bb.269:
	global_load_dword v0, v[0:1], off offset:24
	v_mov_b32_e32 v1, 0
	buffer_wbl2
	s_waitcnt vmcnt(0)
	global_store_dwordx2 v[2:3], v[0:1], off
	v_and_b32_e32 v0, 0xffffff, v0
	v_readfirstlane_b32 m0, v0
	s_sendmsg sendmsg(MSG_INTERRUPT)
.LBB22_270:
	s_or_b64 exec, exec, s[12:13]
	s_branch .LBB22_274
.LBB22_271:                             ;   in Loop: Header=BB22_274 Depth=1
	s_or_b64 exec, exec, s[12:13]
	v_readfirstlane_b32 s12, v0
	s_cmp_eq_u32 s12, 0
	s_cbranch_scc1 .LBB22_273
; %bb.272:                              ;   in Loop: Header=BB22_274 Depth=1
	s_sleep 1
	s_cbranch_execnz .LBB22_274
	s_branch .LBB22_276
.LBB22_273:
	s_branch .LBB22_276
.LBB22_274:                             ; =>This Inner Loop Header: Depth=1
	v_mov_b32_e32 v0, 1
	s_and_saveexec_b64 s[12:13], s[4:5]
	s_cbranch_execz .LBB22_271
; %bb.275:                              ;   in Loop: Header=BB22_274 Depth=1
	global_load_dword v0, v[10:11], off offset:20 glc
	s_waitcnt vmcnt(0)
	buffer_invl2
	buffer_wbinvl1_vol
	v_and_b32_e32 v0, 1, v0
	s_branch .LBB22_271
.LBB22_276:
	global_load_dwordx2 v[0:1], v[12:13], off
	s_and_saveexec_b64 s[12:13], s[4:5]
	s_cbranch_execz .LBB22_279
; %bb.277:
	v_mov_b32_e32 v10, 0
	global_load_dwordx2 v[2:3], v10, s[10:11] offset:40
	global_load_dwordx2 v[12:13], v10, s[10:11] offset:24 glc
	global_load_dwordx2 v[14:15], v10, s[10:11]
	v_mov_b32_e32 v7, s7
	s_mov_b64 s[4:5], 0
	s_waitcnt vmcnt(2)
	v_add_co_u32_e32 v9, vcc, 1, v2
	v_addc_co_u32_e32 v11, vcc, 0, v3, vcc
	v_add_co_u32_e32 v6, vcc, s6, v9
	v_addc_co_u32_e32 v7, vcc, v11, v7, vcc
	v_cmp_eq_u64_e32 vcc, 0, v[6:7]
	v_cndmask_b32_e32 v7, v7, v11, vcc
	v_cndmask_b32_e32 v6, v6, v9, vcc
	v_and_b32_e32 v3, v7, v3
	v_and_b32_e32 v2, v6, v2
	v_mul_lo_u32 v3, v3, 24
	v_mul_hi_u32 v9, v2, 24
	v_mul_lo_u32 v2, v2, 24
	v_add_u32_e32 v3, v9, v3
	s_waitcnt vmcnt(0)
	v_add_co_u32_e32 v2, vcc, v14, v2
	v_addc_co_u32_e32 v3, vcc, v15, v3, vcc
	v_mov_b32_e32 v8, v12
	global_store_dwordx2 v[2:3], v[12:13], off
	v_mov_b32_e32 v9, v13
	buffer_wbl2
	s_waitcnt vmcnt(0)
	global_atomic_cmpswap_x2 v[8:9], v10, v[6:9], s[10:11] offset:24 glc
	s_waitcnt vmcnt(0)
	v_cmp_ne_u64_e32 vcc, v[8:9], v[12:13]
	s_and_b64 exec, exec, vcc
	s_cbranch_execz .LBB22_279
.LBB22_278:                             ; =>This Inner Loop Header: Depth=1
	s_sleep 1
	global_store_dwordx2 v[2:3], v[8:9], off
	buffer_wbl2
	s_waitcnt vmcnt(0)
	global_atomic_cmpswap_x2 v[12:13], v10, v[6:9], s[10:11] offset:24 glc
	s_waitcnt vmcnt(0)
	v_cmp_eq_u64_e32 vcc, v[12:13], v[8:9]
	s_or_b64 s[4:5], vcc, s[4:5]
	v_pk_mov_b32 v[8:9], v[12:13], v[12:13] op_sel:[0,1]
	s_andn2_b64 exec, exec, s[4:5]
	s_cbranch_execnz .LBB22_278
.LBB22_279:
	s_or_b64 exec, exec, s[12:13]
	s_mov_b64 s[4:5], 0
	v_pk_mov_b32 v[6:7], v[4:5], v[4:5] op_sel:[0,1]
.LBB22_280:                             ; =>This Inner Loop Header: Depth=1
	flat_load_ubyte v8, v[6:7]
	v_add_co_u32_e32 v2, vcc, 1, v6
	v_addc_co_u32_e32 v3, vcc, 0, v7, vcc
	v_pk_mov_b32 v[6:7], v[2:3], v[2:3] op_sel:[0,1]
	s_waitcnt vmcnt(0) lgkmcnt(0)
	v_cmp_eq_u16_e32 vcc, 0, v8
	s_or_b64 s[4:5], vcc, s[4:5]
	s_andn2_b64 exec, exec, s[4:5]
	s_cbranch_execnz .LBB22_280
; %bb.281:
	s_or_b64 exec, exec, s[4:5]
	s_mov_b64 s[6:7], 0
	v_cmp_ne_u64_e32 vcc, 0, v[4:5]
	s_and_saveexec_b64 s[4:5], vcc
	s_xor_b64 s[12:13], exec, s[4:5]
	s_cbranch_execz .LBB22_367
; %bb.282:
	v_sub_u32_e32 v26, v2, v4
	v_ashrrev_i32_e32 v27, 31, v26
	v_and_b32_e32 v28, 2, v0
	v_mov_b32_e32 v31, 0
	v_and_b32_e32 v0, -3, v0
	s_mov_b32 s22, 0
	s_movk_i32 s23, 0xff1f
	v_mov_b32_e32 v8, 2
	v_mov_b32_e32 v9, 1
	s_branch .LBB22_284
.LBB22_283:                             ;   in Loop: Header=BB22_284 Depth=1
	s_or_b64 exec, exec, s[16:17]
	v_sub_co_u32_e32 v26, vcc, v26, v32
	v_subb_co_u32_e32 v27, vcc, v27, v33, vcc
	v_cmp_eq_u64_e32 vcc, 0, v[26:27]
	s_or_b64 s[6:7], vcc, s[6:7]
	v_add_co_u32_e32 v4, vcc, v4, v32
	v_addc_co_u32_e32 v5, vcc, v5, v33, vcc
	s_andn2_b64 exec, exec, s[6:7]
	s_cbranch_execz .LBB22_366
.LBB22_284:                             ; =>This Loop Header: Depth=1
                                        ;     Child Loop BB22_287 Depth 2
                                        ;     Child Loop BB22_295 Depth 2
	;; [unrolled: 1-line block ×11, first 2 shown]
	v_cmp_gt_u64_e32 vcc, 56, v[26:27]
	v_cndmask_b32_e32 v33, 0, v27, vcc
	v_cndmask_b32_e32 v32, 56, v26, vcc
	v_cmp_gt_u64_e32 vcc, 8, v[26:27]
                                        ; implicit-def: $vgpr2_vgpr3
                                        ; implicit-def: $sgpr14
	s_and_saveexec_b64 s[4:5], vcc
	s_xor_b64 s[4:5], exec, s[4:5]
	s_cbranch_execz .LBB22_290
; %bb.285:                              ;   in Loop: Header=BB22_284 Depth=1
	s_mov_b64 s[16:17], 0
	v_cmp_ne_u64_e32 vcc, 0, v[26:27]
	s_waitcnt vmcnt(0)
	v_pk_mov_b32 v[2:3], 0, 0
	s_and_saveexec_b64 s[14:15], vcc
	s_cbranch_execz .LBB22_289
; %bb.286:                              ;   in Loop: Header=BB22_284 Depth=1
	v_lshlrev_b64 v[6:7], 3, v[32:33]
	v_pk_mov_b32 v[2:3], 0, 0
	v_pk_mov_b32 v[10:11], v[4:5], v[4:5] op_sel:[0,1]
	s_mov_b64 s[18:19], 0
.LBB22_287:                             ;   Parent Loop BB22_284 Depth=1
                                        ; =>  This Inner Loop Header: Depth=2
	flat_load_ubyte v7, v[10:11]
	v_mov_b32_e32 v13, s22
	v_add_co_u32_e32 v10, vcc, 1, v10
	v_addc_co_u32_e32 v11, vcc, 0, v11, vcc
	s_waitcnt vmcnt(0) lgkmcnt(0)
	v_and_b32_e32 v12, 0xffff, v7
	v_lshlrev_b64 v[12:13], s18, v[12:13]
	s_add_u32 s18, s18, 8
	s_addc_u32 s19, s19, 0
	v_cmp_eq_u32_e32 vcc, s18, v6
	v_or_b32_e32 v3, v13, v3
	s_or_b64 s[16:17], vcc, s[16:17]
	v_or_b32_e32 v2, v12, v2
	s_andn2_b64 exec, exec, s[16:17]
	s_cbranch_execnz .LBB22_287
; %bb.288:                              ;   in Loop: Header=BB22_284 Depth=1
	s_or_b64 exec, exec, s[16:17]
.LBB22_289:                             ;   in Loop: Header=BB22_284 Depth=1
	s_or_b64 exec, exec, s[14:15]
	s_mov_b32 s14, 0
.LBB22_290:                             ;   in Loop: Header=BB22_284 Depth=1
	s_or_saveexec_b64 s[4:5], s[4:5]
	v_mov_b32_e32 v12, s14
	v_pk_mov_b32 v[6:7], v[4:5], v[4:5] op_sel:[0,1]
	s_xor_b64 exec, exec, s[4:5]
	s_cbranch_execz .LBB22_292
; %bb.291:                              ;   in Loop: Header=BB22_284 Depth=1
	s_waitcnt vmcnt(0)
	flat_load_dwordx2 v[2:3], v[4:5]
	v_add_u32_e32 v12, -8, v32
	s_waitcnt vmcnt(0) lgkmcnt(0)
	v_and_b32_e32 v6, 0xff, v3
	v_and_b32_e32 v7, 0xff00, v3
	;; [unrolled: 1-line block ×4, first 2 shown]
	v_or_b32_e32 v6, v6, v7
	v_or3_b32 v3, v6, v10, v3
	v_add_co_u32_e32 v6, vcc, 8, v4
	v_or3_b32 v2, v2, 0, 0
	v_addc_co_u32_e32 v7, vcc, 0, v5, vcc
.LBB22_292:                             ;   in Loop: Header=BB22_284 Depth=1
	s_or_b64 exec, exec, s[4:5]
	v_cmp_gt_u32_e32 vcc, 8, v12
                                        ; implicit-def: $vgpr10_vgpr11
                                        ; implicit-def: $sgpr14
	s_and_saveexec_b64 s[4:5], vcc
	s_xor_b64 s[4:5], exec, s[4:5]
	s_cbranch_execz .LBB22_298
; %bb.293:                              ;   in Loop: Header=BB22_284 Depth=1
	v_cmp_ne_u32_e32 vcc, 0, v12
	v_pk_mov_b32 v[10:11], 0, 0
	s_and_saveexec_b64 s[14:15], vcc
	s_cbranch_execz .LBB22_297
; %bb.294:                              ;   in Loop: Header=BB22_284 Depth=1
	s_mov_b64 s[16:17], 0
	v_pk_mov_b32 v[10:11], 0, 0
	s_mov_b64 s[18:19], 0
	s_mov_b64 s[20:21], 0
.LBB22_295:                             ;   Parent Loop BB22_284 Depth=1
                                        ; =>  This Inner Loop Header: Depth=2
	v_mov_b32_e32 v13, s21
	v_add_co_u32_e32 v14, vcc, s20, v6
	v_addc_co_u32_e32 v15, vcc, v7, v13, vcc
	flat_load_ubyte v13, v[14:15]
	s_add_u32 s20, s20, 1
	v_mov_b32_e32 v15, s22
	s_addc_u32 s21, s21, 0
	v_cmp_eq_u32_e32 vcc, s20, v12
	s_waitcnt vmcnt(0) lgkmcnt(0)
	v_and_b32_e32 v14, 0xffff, v13
	v_lshlrev_b64 v[14:15], s18, v[14:15]
	s_add_u32 s18, s18, 8
	s_addc_u32 s19, s19, 0
	v_or_b32_e32 v11, v15, v11
	s_or_b64 s[16:17], vcc, s[16:17]
	v_or_b32_e32 v10, v14, v10
	s_andn2_b64 exec, exec, s[16:17]
	s_cbranch_execnz .LBB22_295
; %bb.296:                              ;   in Loop: Header=BB22_284 Depth=1
	s_or_b64 exec, exec, s[16:17]
.LBB22_297:                             ;   in Loop: Header=BB22_284 Depth=1
	s_or_b64 exec, exec, s[14:15]
	s_mov_b32 s14, 0
                                        ; implicit-def: $vgpr12
.LBB22_298:                             ;   in Loop: Header=BB22_284 Depth=1
	s_or_saveexec_b64 s[4:5], s[4:5]
	v_mov_b32_e32 v14, s14
	s_xor_b64 exec, exec, s[4:5]
	s_cbranch_execz .LBB22_300
; %bb.299:                              ;   in Loop: Header=BB22_284 Depth=1
	flat_load_dwordx2 v[10:11], v[6:7]
	v_add_u32_e32 v14, -8, v12
	v_add_co_u32_e32 v6, vcc, 8, v6
	v_addc_co_u32_e32 v7, vcc, 0, v7, vcc
	s_waitcnt vmcnt(0) lgkmcnt(0)
	v_and_b32_e32 v12, 0xff, v11
	v_and_b32_e32 v13, 0xff00, v11
	;; [unrolled: 1-line block ×4, first 2 shown]
	v_or_b32_e32 v12, v12, v13
	v_or3_b32 v10, v10, 0, 0
	v_or3_b32 v11, v12, v15, v11
.LBB22_300:                             ;   in Loop: Header=BB22_284 Depth=1
	s_or_b64 exec, exec, s[4:5]
	v_cmp_gt_u32_e32 vcc, 8, v14
                                        ; implicit-def: $sgpr14
	s_and_saveexec_b64 s[4:5], vcc
	s_xor_b64 s[4:5], exec, s[4:5]
	s_cbranch_execz .LBB22_306
; %bb.301:                              ;   in Loop: Header=BB22_284 Depth=1
	v_cmp_ne_u32_e32 vcc, 0, v14
	v_pk_mov_b32 v[12:13], 0, 0
	s_and_saveexec_b64 s[14:15], vcc
	s_cbranch_execz .LBB22_305
; %bb.302:                              ;   in Loop: Header=BB22_284 Depth=1
	s_mov_b64 s[16:17], 0
	v_pk_mov_b32 v[12:13], 0, 0
	s_mov_b64 s[18:19], 0
	s_mov_b64 s[20:21], 0
.LBB22_303:                             ;   Parent Loop BB22_284 Depth=1
                                        ; =>  This Inner Loop Header: Depth=2
	v_mov_b32_e32 v15, s21
	v_add_co_u32_e32 v16, vcc, s20, v6
	v_addc_co_u32_e32 v17, vcc, v7, v15, vcc
	flat_load_ubyte v15, v[16:17]
	s_add_u32 s20, s20, 1
	v_mov_b32_e32 v17, s22
	s_addc_u32 s21, s21, 0
	v_cmp_eq_u32_e32 vcc, s20, v14
	s_waitcnt vmcnt(0) lgkmcnt(0)
	v_and_b32_e32 v16, 0xffff, v15
	v_lshlrev_b64 v[16:17], s18, v[16:17]
	s_add_u32 s18, s18, 8
	s_addc_u32 s19, s19, 0
	v_or_b32_e32 v13, v17, v13
	s_or_b64 s[16:17], vcc, s[16:17]
	v_or_b32_e32 v12, v16, v12
	s_andn2_b64 exec, exec, s[16:17]
	s_cbranch_execnz .LBB22_303
; %bb.304:                              ;   in Loop: Header=BB22_284 Depth=1
	s_or_b64 exec, exec, s[16:17]
.LBB22_305:                             ;   in Loop: Header=BB22_284 Depth=1
	s_or_b64 exec, exec, s[14:15]
	s_mov_b32 s14, 0
                                        ; implicit-def: $vgpr14
.LBB22_306:                             ;   in Loop: Header=BB22_284 Depth=1
	s_or_saveexec_b64 s[4:5], s[4:5]
	v_mov_b32_e32 v16, s14
	s_xor_b64 exec, exec, s[4:5]
	s_cbranch_execz .LBB22_308
; %bb.307:                              ;   in Loop: Header=BB22_284 Depth=1
	flat_load_dwordx2 v[12:13], v[6:7]
	v_add_u32_e32 v16, -8, v14
	v_add_co_u32_e32 v6, vcc, 8, v6
	v_addc_co_u32_e32 v7, vcc, 0, v7, vcc
	s_waitcnt vmcnt(0) lgkmcnt(0)
	v_and_b32_e32 v14, 0xff, v13
	v_and_b32_e32 v15, 0xff00, v13
	v_and_b32_e32 v17, 0xff0000, v13
	v_and_b32_e32 v13, 0xff000000, v13
	v_or_b32_e32 v14, v14, v15
	v_or3_b32 v12, v12, 0, 0
	v_or3_b32 v13, v14, v17, v13
.LBB22_308:                             ;   in Loop: Header=BB22_284 Depth=1
	s_or_b64 exec, exec, s[4:5]
	v_cmp_gt_u32_e32 vcc, 8, v16
                                        ; implicit-def: $vgpr14_vgpr15
                                        ; implicit-def: $sgpr14
	s_and_saveexec_b64 s[4:5], vcc
	s_xor_b64 s[4:5], exec, s[4:5]
	s_cbranch_execz .LBB22_314
; %bb.309:                              ;   in Loop: Header=BB22_284 Depth=1
	v_cmp_ne_u32_e32 vcc, 0, v16
	v_pk_mov_b32 v[14:15], 0, 0
	s_and_saveexec_b64 s[14:15], vcc
	s_cbranch_execz .LBB22_313
; %bb.310:                              ;   in Loop: Header=BB22_284 Depth=1
	s_mov_b64 s[16:17], 0
	v_pk_mov_b32 v[14:15], 0, 0
	s_mov_b64 s[18:19], 0
	s_mov_b64 s[20:21], 0
.LBB22_311:                             ;   Parent Loop BB22_284 Depth=1
                                        ; =>  This Inner Loop Header: Depth=2
	v_mov_b32_e32 v17, s21
	v_add_co_u32_e32 v18, vcc, s20, v6
	v_addc_co_u32_e32 v19, vcc, v7, v17, vcc
	flat_load_ubyte v17, v[18:19]
	s_add_u32 s20, s20, 1
	v_mov_b32_e32 v19, s22
	s_addc_u32 s21, s21, 0
	v_cmp_eq_u32_e32 vcc, s20, v16
	s_waitcnt vmcnt(0) lgkmcnt(0)
	v_and_b32_e32 v18, 0xffff, v17
	v_lshlrev_b64 v[18:19], s18, v[18:19]
	s_add_u32 s18, s18, 8
	s_addc_u32 s19, s19, 0
	v_or_b32_e32 v15, v19, v15
	s_or_b64 s[16:17], vcc, s[16:17]
	v_or_b32_e32 v14, v18, v14
	s_andn2_b64 exec, exec, s[16:17]
	s_cbranch_execnz .LBB22_311
; %bb.312:                              ;   in Loop: Header=BB22_284 Depth=1
	s_or_b64 exec, exec, s[16:17]
.LBB22_313:                             ;   in Loop: Header=BB22_284 Depth=1
	s_or_b64 exec, exec, s[14:15]
	s_mov_b32 s14, 0
                                        ; implicit-def: $vgpr16
.LBB22_314:                             ;   in Loop: Header=BB22_284 Depth=1
	s_or_saveexec_b64 s[4:5], s[4:5]
	v_mov_b32_e32 v18, s14
	s_xor_b64 exec, exec, s[4:5]
	s_cbranch_execz .LBB22_316
; %bb.315:                              ;   in Loop: Header=BB22_284 Depth=1
	flat_load_dwordx2 v[14:15], v[6:7]
	v_add_u32_e32 v18, -8, v16
	v_add_co_u32_e32 v6, vcc, 8, v6
	v_addc_co_u32_e32 v7, vcc, 0, v7, vcc
	s_waitcnt vmcnt(0) lgkmcnt(0)
	v_and_b32_e32 v16, 0xff, v15
	v_and_b32_e32 v17, 0xff00, v15
	;; [unrolled: 1-line block ×4, first 2 shown]
	v_or_b32_e32 v16, v16, v17
	v_or3_b32 v14, v14, 0, 0
	v_or3_b32 v15, v16, v19, v15
.LBB22_316:                             ;   in Loop: Header=BB22_284 Depth=1
	s_or_b64 exec, exec, s[4:5]
	v_cmp_gt_u32_e32 vcc, 8, v18
                                        ; implicit-def: $sgpr14
	s_and_saveexec_b64 s[4:5], vcc
	s_xor_b64 s[4:5], exec, s[4:5]
	s_cbranch_execz .LBB22_322
; %bb.317:                              ;   in Loop: Header=BB22_284 Depth=1
	v_cmp_ne_u32_e32 vcc, 0, v18
	v_pk_mov_b32 v[16:17], 0, 0
	s_and_saveexec_b64 s[14:15], vcc
	s_cbranch_execz .LBB22_321
; %bb.318:                              ;   in Loop: Header=BB22_284 Depth=1
	s_mov_b64 s[16:17], 0
	v_pk_mov_b32 v[16:17], 0, 0
	s_mov_b64 s[18:19], 0
	s_mov_b64 s[20:21], 0
.LBB22_319:                             ;   Parent Loop BB22_284 Depth=1
                                        ; =>  This Inner Loop Header: Depth=2
	v_mov_b32_e32 v19, s21
	v_add_co_u32_e32 v20, vcc, s20, v6
	v_addc_co_u32_e32 v21, vcc, v7, v19, vcc
	flat_load_ubyte v19, v[20:21]
	s_add_u32 s20, s20, 1
	v_mov_b32_e32 v21, s22
	s_addc_u32 s21, s21, 0
	v_cmp_eq_u32_e32 vcc, s20, v18
	s_waitcnt vmcnt(0) lgkmcnt(0)
	v_and_b32_e32 v20, 0xffff, v19
	v_lshlrev_b64 v[20:21], s18, v[20:21]
	s_add_u32 s18, s18, 8
	s_addc_u32 s19, s19, 0
	v_or_b32_e32 v17, v21, v17
	s_or_b64 s[16:17], vcc, s[16:17]
	v_or_b32_e32 v16, v20, v16
	s_andn2_b64 exec, exec, s[16:17]
	s_cbranch_execnz .LBB22_319
; %bb.320:                              ;   in Loop: Header=BB22_284 Depth=1
	s_or_b64 exec, exec, s[16:17]
.LBB22_321:                             ;   in Loop: Header=BB22_284 Depth=1
	s_or_b64 exec, exec, s[14:15]
	s_mov_b32 s14, 0
                                        ; implicit-def: $vgpr18
.LBB22_322:                             ;   in Loop: Header=BB22_284 Depth=1
	s_or_saveexec_b64 s[4:5], s[4:5]
	v_mov_b32_e32 v20, s14
	s_xor_b64 exec, exec, s[4:5]
	s_cbranch_execz .LBB22_324
; %bb.323:                              ;   in Loop: Header=BB22_284 Depth=1
	flat_load_dwordx2 v[16:17], v[6:7]
	v_add_u32_e32 v20, -8, v18
	v_add_co_u32_e32 v6, vcc, 8, v6
	v_addc_co_u32_e32 v7, vcc, 0, v7, vcc
	s_waitcnt vmcnt(0) lgkmcnt(0)
	v_and_b32_e32 v18, 0xff, v17
	v_and_b32_e32 v19, 0xff00, v17
	;; [unrolled: 1-line block ×4, first 2 shown]
	v_or_b32_e32 v18, v18, v19
	v_or3_b32 v16, v16, 0, 0
	v_or3_b32 v17, v18, v21, v17
.LBB22_324:                             ;   in Loop: Header=BB22_284 Depth=1
	s_or_b64 exec, exec, s[4:5]
	v_cmp_gt_u32_e32 vcc, 8, v20
                                        ; implicit-def: $vgpr18_vgpr19
                                        ; implicit-def: $sgpr14
	s_and_saveexec_b64 s[4:5], vcc
	s_xor_b64 s[4:5], exec, s[4:5]
	s_cbranch_execz .LBB22_330
; %bb.325:                              ;   in Loop: Header=BB22_284 Depth=1
	v_cmp_ne_u32_e32 vcc, 0, v20
	v_pk_mov_b32 v[18:19], 0, 0
	s_and_saveexec_b64 s[14:15], vcc
	s_cbranch_execz .LBB22_329
; %bb.326:                              ;   in Loop: Header=BB22_284 Depth=1
	s_mov_b64 s[16:17], 0
	v_pk_mov_b32 v[18:19], 0, 0
	s_mov_b64 s[18:19], 0
	s_mov_b64 s[20:21], 0
.LBB22_327:                             ;   Parent Loop BB22_284 Depth=1
                                        ; =>  This Inner Loop Header: Depth=2
	v_mov_b32_e32 v21, s21
	v_add_co_u32_e32 v22, vcc, s20, v6
	v_addc_co_u32_e32 v23, vcc, v7, v21, vcc
	flat_load_ubyte v21, v[22:23]
	s_add_u32 s20, s20, 1
	v_mov_b32_e32 v23, s22
	s_addc_u32 s21, s21, 0
	v_cmp_eq_u32_e32 vcc, s20, v20
	s_waitcnt vmcnt(0) lgkmcnt(0)
	v_and_b32_e32 v22, 0xffff, v21
	v_lshlrev_b64 v[22:23], s18, v[22:23]
	s_add_u32 s18, s18, 8
	s_addc_u32 s19, s19, 0
	v_or_b32_e32 v19, v23, v19
	s_or_b64 s[16:17], vcc, s[16:17]
	v_or_b32_e32 v18, v22, v18
	s_andn2_b64 exec, exec, s[16:17]
	s_cbranch_execnz .LBB22_327
; %bb.328:                              ;   in Loop: Header=BB22_284 Depth=1
	s_or_b64 exec, exec, s[16:17]
.LBB22_329:                             ;   in Loop: Header=BB22_284 Depth=1
	s_or_b64 exec, exec, s[14:15]
	s_mov_b32 s14, 0
                                        ; implicit-def: $vgpr20
.LBB22_330:                             ;   in Loop: Header=BB22_284 Depth=1
	s_or_saveexec_b64 s[4:5], s[4:5]
	v_mov_b32_e32 v22, s14
	s_xor_b64 exec, exec, s[4:5]
	s_cbranch_execz .LBB22_332
; %bb.331:                              ;   in Loop: Header=BB22_284 Depth=1
	flat_load_dwordx2 v[18:19], v[6:7]
	v_add_u32_e32 v22, -8, v20
	v_add_co_u32_e32 v6, vcc, 8, v6
	v_addc_co_u32_e32 v7, vcc, 0, v7, vcc
	s_waitcnt vmcnt(0) lgkmcnt(0)
	v_and_b32_e32 v20, 0xff, v19
	v_and_b32_e32 v21, 0xff00, v19
	;; [unrolled: 1-line block ×4, first 2 shown]
	v_or_b32_e32 v20, v20, v21
	v_or3_b32 v18, v18, 0, 0
	v_or3_b32 v19, v20, v23, v19
.LBB22_332:                             ;   in Loop: Header=BB22_284 Depth=1
	s_or_b64 exec, exec, s[4:5]
	v_cmp_gt_u32_e32 vcc, 8, v22
	s_and_saveexec_b64 s[4:5], vcc
	s_xor_b64 s[4:5], exec, s[4:5]
	s_cbranch_execz .LBB22_338
; %bb.333:                              ;   in Loop: Header=BB22_284 Depth=1
	v_cmp_ne_u32_e32 vcc, 0, v22
	v_pk_mov_b32 v[20:21], 0, 0
	s_and_saveexec_b64 s[14:15], vcc
	s_cbranch_execz .LBB22_337
; %bb.334:                              ;   in Loop: Header=BB22_284 Depth=1
	s_mov_b64 s[16:17], 0
	v_pk_mov_b32 v[20:21], 0, 0
	s_mov_b64 s[18:19], 0
.LBB22_335:                             ;   Parent Loop BB22_284 Depth=1
                                        ; =>  This Inner Loop Header: Depth=2
	flat_load_ubyte v23, v[6:7]
	v_mov_b32_e32 v25, s22
	v_add_co_u32_e32 v6, vcc, 1, v6
	v_add_u32_e32 v22, -1, v22
	v_addc_co_u32_e32 v7, vcc, 0, v7, vcc
	v_cmp_eq_u32_e32 vcc, 0, v22
	s_waitcnt vmcnt(0) lgkmcnt(0)
	v_and_b32_e32 v24, 0xffff, v23
	v_lshlrev_b64 v[24:25], s18, v[24:25]
	s_add_u32 s18, s18, 8
	s_addc_u32 s19, s19, 0
	v_or_b32_e32 v21, v25, v21
	s_or_b64 s[16:17], vcc, s[16:17]
	v_or_b32_e32 v20, v24, v20
	s_andn2_b64 exec, exec, s[16:17]
	s_cbranch_execnz .LBB22_335
; %bb.336:                              ;   in Loop: Header=BB22_284 Depth=1
	s_or_b64 exec, exec, s[16:17]
.LBB22_337:                             ;   in Loop: Header=BB22_284 Depth=1
	s_or_b64 exec, exec, s[14:15]
                                        ; implicit-def: $vgpr6_vgpr7
.LBB22_338:                             ;   in Loop: Header=BB22_284 Depth=1
	s_andn2_saveexec_b64 s[4:5], s[4:5]
	s_cbranch_execz .LBB22_340
; %bb.339:                              ;   in Loop: Header=BB22_284 Depth=1
	flat_load_dwordx2 v[6:7], v[6:7]
	s_waitcnt vmcnt(0) lgkmcnt(0)
	v_and_b32_e32 v20, 0xff, v7
	v_and_b32_e32 v21, 0xff00, v7
	;; [unrolled: 1-line block ×4, first 2 shown]
	v_or_b32_e32 v20, v20, v21
	v_or3_b32 v21, v20, v22, v7
	v_or3_b32 v20, v6, 0, 0
.LBB22_340:                             ;   in Loop: Header=BB22_284 Depth=1
	s_or_b64 exec, exec, s[4:5]
	v_readfirstlane_b32 s4, v37
	v_cmp_eq_u32_e64 s[4:5], s4, v37
	v_pk_mov_b32 v[6:7], 0, 0
	s_and_saveexec_b64 s[14:15], s[4:5]
	s_cbranch_execz .LBB22_346
; %bb.341:                              ;   in Loop: Header=BB22_284 Depth=1
	global_load_dwordx2 v[24:25], v31, s[10:11] offset:24 glc
	s_waitcnt vmcnt(0)
	buffer_invl2
	buffer_wbinvl1_vol
	global_load_dwordx2 v[6:7], v31, s[10:11] offset:40
	global_load_dwordx2 v[22:23], v31, s[10:11]
	s_waitcnt vmcnt(1)
	v_and_b32_e32 v6, v6, v24
	v_and_b32_e32 v7, v7, v25
	v_mul_lo_u32 v7, v7, 24
	v_mul_hi_u32 v29, v6, 24
	v_mul_lo_u32 v6, v6, 24
	v_add_u32_e32 v7, v29, v7
	s_waitcnt vmcnt(0)
	v_add_co_u32_e32 v6, vcc, v22, v6
	v_addc_co_u32_e32 v7, vcc, v23, v7, vcc
	global_load_dwordx2 v[22:23], v[6:7], off glc
	s_waitcnt vmcnt(0)
	global_atomic_cmpswap_x2 v[6:7], v31, v[22:25], s[10:11] offset:24 glc
	s_waitcnt vmcnt(0)
	buffer_invl2
	buffer_wbinvl1_vol
	v_cmp_ne_u64_e32 vcc, v[6:7], v[24:25]
	s_and_saveexec_b64 s[16:17], vcc
	s_cbranch_execz .LBB22_345
; %bb.342:                              ;   in Loop: Header=BB22_284 Depth=1
	s_mov_b64 s[18:19], 0
.LBB22_343:                             ;   Parent Loop BB22_284 Depth=1
                                        ; =>  This Inner Loop Header: Depth=2
	s_sleep 1
	global_load_dwordx2 v[22:23], v31, s[10:11] offset:40
	global_load_dwordx2 v[34:35], v31, s[10:11]
	v_pk_mov_b32 v[24:25], v[6:7], v[6:7] op_sel:[0,1]
	s_waitcnt vmcnt(1)
	v_and_b32_e32 v6, v22, v24
	s_waitcnt vmcnt(0)
	v_mad_u64_u32 v[6:7], s[20:21], v6, 24, v[34:35]
	v_and_b32_e32 v23, v23, v25
	v_mov_b32_e32 v22, v7
	v_mad_u64_u32 v[22:23], s[20:21], v23, 24, v[22:23]
	v_mov_b32_e32 v7, v22
	global_load_dwordx2 v[22:23], v[6:7], off glc
	s_waitcnt vmcnt(0)
	global_atomic_cmpswap_x2 v[6:7], v31, v[22:25], s[10:11] offset:24 glc
	s_waitcnt vmcnt(0)
	buffer_invl2
	buffer_wbinvl1_vol
	v_cmp_eq_u64_e32 vcc, v[6:7], v[24:25]
	s_or_b64 s[18:19], vcc, s[18:19]
	s_andn2_b64 exec, exec, s[18:19]
	s_cbranch_execnz .LBB22_343
; %bb.344:                              ;   in Loop: Header=BB22_284 Depth=1
	s_or_b64 exec, exec, s[18:19]
.LBB22_345:                             ;   in Loop: Header=BB22_284 Depth=1
	s_or_b64 exec, exec, s[16:17]
.LBB22_346:                             ;   in Loop: Header=BB22_284 Depth=1
	s_or_b64 exec, exec, s[14:15]
	global_load_dwordx2 v[34:35], v31, s[10:11] offset:40
	global_load_dwordx4 v[22:25], v31, s[10:11]
	v_readfirstlane_b32 s14, v6
	v_readfirstlane_b32 s15, v7
	s_mov_b64 s[16:17], exec
	s_waitcnt vmcnt(1)
	v_readfirstlane_b32 s18, v34
	v_readfirstlane_b32 s19, v35
	s_and_b64 s[18:19], s[14:15], s[18:19]
	s_mul_i32 s20, s19, 24
	s_mul_hi_u32 s21, s18, 24
	s_mul_i32 s24, s18, 24
	s_add_i32 s20, s21, s20
	v_mov_b32_e32 v6, s20
	s_waitcnt vmcnt(0)
	v_add_co_u32_e32 v34, vcc, s24, v22
	v_addc_co_u32_e32 v35, vcc, v23, v6, vcc
	s_and_saveexec_b64 s[20:21], s[4:5]
	s_cbranch_execz .LBB22_348
; %bb.347:                              ;   in Loop: Header=BB22_284 Depth=1
	v_pk_mov_b32 v[6:7], s[16:17], s[16:17] op_sel:[0,1]
	global_store_dwordx4 v[34:35], v[6:9], off offset:8
.LBB22_348:                             ;   in Loop: Header=BB22_284 Depth=1
	s_or_b64 exec, exec, s[20:21]
	s_lshl_b64 s[16:17], s[18:19], 12
	v_mov_b32_e32 v7, s17
	v_add_co_u32_e32 v6, vcc, s16, v24
	v_addc_co_u32_e32 v7, vcc, v25, v7, vcc
	v_or_b32_e32 v24, 0, v1
	v_cmp_lt_u64_e32 vcc, 56, v[26:27]
	v_or_b32_e32 v25, v0, v28
	v_cndmask_b32_e32 v1, v24, v1, vcc
	v_lshl_add_u32 v24, v32, 2, 28
	v_cndmask_b32_e32 v0, v25, v0, vcc
	v_and_b32_e32 v24, 0x1e0, v24
	v_and_or_b32 v0, v0, s23, v24
	v_readfirstlane_b32 s16, v6
	v_readfirstlane_b32 s17, v7
	s_nop 4
	global_store_dwordx4 v36, v[0:3], s[16:17]
	global_store_dwordx4 v36, v[10:13], s[16:17] offset:16
	global_store_dwordx4 v36, v[14:17], s[16:17] offset:32
	;; [unrolled: 1-line block ×3, first 2 shown]
	s_and_saveexec_b64 s[16:17], s[4:5]
	s_cbranch_execz .LBB22_356
; %bb.349:                              ;   in Loop: Header=BB22_284 Depth=1
	global_load_dwordx2 v[14:15], v31, s[10:11] offset:32 glc
	global_load_dwordx2 v[0:1], v31, s[10:11] offset:40
	v_mov_b32_e32 v12, s14
	v_mov_b32_e32 v13, s15
	s_waitcnt vmcnt(0)
	v_readfirstlane_b32 s18, v0
	v_readfirstlane_b32 s19, v1
	s_and_b64 s[18:19], s[18:19], s[14:15]
	s_mul_i32 s19, s19, 24
	s_mul_hi_u32 s20, s18, 24
	s_mul_i32 s18, s18, 24
	s_add_i32 s19, s20, s19
	v_mov_b32_e32 v0, s19
	v_add_co_u32_e32 v10, vcc, s18, v22
	v_addc_co_u32_e32 v11, vcc, v23, v0, vcc
	global_store_dwordx2 v[10:11], v[14:15], off
	buffer_wbl2
	s_waitcnt vmcnt(0)
	global_atomic_cmpswap_x2 v[2:3], v31, v[12:15], s[10:11] offset:32 glc
	s_waitcnt vmcnt(0)
	v_cmp_ne_u64_e32 vcc, v[2:3], v[14:15]
	s_and_saveexec_b64 s[18:19], vcc
	s_cbranch_execz .LBB22_352
; %bb.350:                              ;   in Loop: Header=BB22_284 Depth=1
	s_mov_b64 s[20:21], 0
.LBB22_351:                             ;   Parent Loop BB22_284 Depth=1
                                        ; =>  This Inner Loop Header: Depth=2
	s_sleep 1
	global_store_dwordx2 v[10:11], v[2:3], off
	v_mov_b32_e32 v0, s14
	v_mov_b32_e32 v1, s15
	buffer_wbl2
	s_waitcnt vmcnt(0)
	global_atomic_cmpswap_x2 v[0:1], v31, v[0:3], s[10:11] offset:32 glc
	s_waitcnt vmcnt(0)
	v_cmp_eq_u64_e32 vcc, v[0:1], v[2:3]
	s_or_b64 s[20:21], vcc, s[20:21]
	v_pk_mov_b32 v[2:3], v[0:1], v[0:1] op_sel:[0,1]
	s_andn2_b64 exec, exec, s[20:21]
	s_cbranch_execnz .LBB22_351
.LBB22_352:                             ;   in Loop: Header=BB22_284 Depth=1
	s_or_b64 exec, exec, s[18:19]
	global_load_dwordx2 v[0:1], v31, s[10:11] offset:16
	s_mov_b64 s[20:21], exec
	v_mbcnt_lo_u32_b32 v2, s20, 0
	v_mbcnt_hi_u32_b32 v2, s21, v2
	v_cmp_eq_u32_e32 vcc, 0, v2
	s_and_saveexec_b64 s[18:19], vcc
	s_cbranch_execz .LBB22_354
; %bb.353:                              ;   in Loop: Header=BB22_284 Depth=1
	s_bcnt1_i32_b64 s20, s[20:21]
	v_mov_b32_e32 v30, s20
	buffer_wbl2
	s_waitcnt vmcnt(0)
	global_atomic_add_x2 v[0:1], v[30:31], off offset:8
.LBB22_354:                             ;   in Loop: Header=BB22_284 Depth=1
	s_or_b64 exec, exec, s[18:19]
	s_waitcnt vmcnt(0)
	global_load_dwordx2 v[2:3], v[0:1], off offset:16
	s_waitcnt vmcnt(0)
	v_cmp_eq_u64_e32 vcc, 0, v[2:3]
	s_cbranch_vccnz .LBB22_356
; %bb.355:                              ;   in Loop: Header=BB22_284 Depth=1
	global_load_dword v30, v[0:1], off offset:24
	s_waitcnt vmcnt(0)
	v_and_b32_e32 v0, 0xffffff, v30
	v_readfirstlane_b32 m0, v0
	buffer_wbl2
	global_store_dwordx2 v[2:3], v[30:31], off
	s_sendmsg sendmsg(MSG_INTERRUPT)
.LBB22_356:                             ;   in Loop: Header=BB22_284 Depth=1
	s_or_b64 exec, exec, s[16:17]
	v_add_co_u32_e32 v0, vcc, v6, v36
	v_addc_co_u32_e32 v1, vcc, 0, v7, vcc
	s_branch .LBB22_360
.LBB22_357:                             ;   in Loop: Header=BB22_360 Depth=2
	s_or_b64 exec, exec, s[16:17]
	v_readfirstlane_b32 s16, v2
	s_cmp_eq_u32 s16, 0
	s_cbranch_scc1 .LBB22_359
; %bb.358:                              ;   in Loop: Header=BB22_360 Depth=2
	s_sleep 1
	s_cbranch_execnz .LBB22_360
	s_branch .LBB22_362
.LBB22_359:                             ;   in Loop: Header=BB22_284 Depth=1
	s_branch .LBB22_362
.LBB22_360:                             ;   Parent Loop BB22_284 Depth=1
                                        ; =>  This Inner Loop Header: Depth=2
	v_mov_b32_e32 v2, 1
	s_and_saveexec_b64 s[16:17], s[4:5]
	s_cbranch_execz .LBB22_357
; %bb.361:                              ;   in Loop: Header=BB22_360 Depth=2
	global_load_dword v2, v[34:35], off offset:20 glc
	s_waitcnt vmcnt(0)
	buffer_invl2
	buffer_wbinvl1_vol
	v_and_b32_e32 v2, 1, v2
	s_branch .LBB22_357
.LBB22_362:                             ;   in Loop: Header=BB22_284 Depth=1
	global_load_dwordx4 v[0:3], v[0:1], off
	s_and_saveexec_b64 s[16:17], s[4:5]
	s_cbranch_execz .LBB22_283
; %bb.363:                              ;   in Loop: Header=BB22_284 Depth=1
	global_load_dwordx2 v[2:3], v31, s[10:11] offset:40
	global_load_dwordx2 v[6:7], v31, s[10:11] offset:24 glc
	global_load_dwordx2 v[14:15], v31, s[10:11]
	v_mov_b32_e32 v11, s15
	s_waitcnt vmcnt(2)
	v_add_co_u32_e32 v13, vcc, 1, v2
	v_addc_co_u32_e32 v16, vcc, 0, v3, vcc
	v_add_co_u32_e32 v10, vcc, s14, v13
	v_addc_co_u32_e32 v11, vcc, v16, v11, vcc
	v_cmp_eq_u64_e32 vcc, 0, v[10:11]
	v_cndmask_b32_e32 v11, v11, v16, vcc
	v_cndmask_b32_e32 v10, v10, v13, vcc
	v_and_b32_e32 v3, v11, v3
	v_and_b32_e32 v2, v10, v2
	v_mul_lo_u32 v3, v3, 24
	v_mul_hi_u32 v13, v2, 24
	v_mul_lo_u32 v2, v2, 24
	v_add_u32_e32 v3, v13, v3
	s_waitcnt vmcnt(0)
	v_add_co_u32_e32 v2, vcc, v14, v2
	v_addc_co_u32_e32 v3, vcc, v15, v3, vcc
	v_mov_b32_e32 v12, v6
	global_store_dwordx2 v[2:3], v[6:7], off
	v_mov_b32_e32 v13, v7
	buffer_wbl2
	s_waitcnt vmcnt(0)
	global_atomic_cmpswap_x2 v[12:13], v31, v[10:13], s[10:11] offset:24 glc
	s_waitcnt vmcnt(0)
	v_cmp_ne_u64_e32 vcc, v[12:13], v[6:7]
	s_and_b64 exec, exec, vcc
	s_cbranch_execz .LBB22_283
; %bb.364:                              ;   in Loop: Header=BB22_284 Depth=1
	s_mov_b64 s[4:5], 0
.LBB22_365:                             ;   Parent Loop BB22_284 Depth=1
                                        ; =>  This Inner Loop Header: Depth=2
	s_sleep 1
	global_store_dwordx2 v[2:3], v[12:13], off
	buffer_wbl2
	s_waitcnt vmcnt(0)
	global_atomic_cmpswap_x2 v[6:7], v31, v[10:13], s[10:11] offset:24 glc
	s_waitcnt vmcnt(0)
	v_cmp_eq_u64_e32 vcc, v[6:7], v[12:13]
	s_or_b64 s[4:5], vcc, s[4:5]
	v_pk_mov_b32 v[12:13], v[6:7], v[6:7] op_sel:[0,1]
	s_andn2_b64 exec, exec, s[4:5]
	s_cbranch_execnz .LBB22_365
	s_branch .LBB22_283
.LBB22_366:
	s_or_b64 exec, exec, s[6:7]
                                        ; implicit-def: $vgpr36
                                        ; implicit-def: $vgpr37
.LBB22_367:
	s_andn2_saveexec_b64 s[6:7], s[12:13]
	s_cbranch_execz .LBB22_394
; %bb.368:
	v_readfirstlane_b32 s4, v37
	v_cmp_eq_u32_e64 s[4:5], s4, v37
	v_pk_mov_b32 v[8:9], 0, 0
	s_and_saveexec_b64 s[12:13], s[4:5]
	s_cbranch_execz .LBB22_374
; %bb.369:
	s_waitcnt vmcnt(0)
	v_mov_b32_e32 v2, 0
	global_load_dwordx2 v[6:7], v2, s[10:11] offset:24 glc
	s_waitcnt vmcnt(0)
	buffer_invl2
	buffer_wbinvl1_vol
	global_load_dwordx2 v[4:5], v2, s[10:11] offset:40
	global_load_dwordx2 v[8:9], v2, s[10:11]
	s_waitcnt vmcnt(1)
	v_and_b32_e32 v3, v4, v6
	v_and_b32_e32 v4, v5, v7
	v_mul_lo_u32 v4, v4, 24
	v_mul_hi_u32 v5, v3, 24
	v_mul_lo_u32 v3, v3, 24
	v_add_u32_e32 v5, v5, v4
	s_waitcnt vmcnt(0)
	v_add_co_u32_e32 v4, vcc, v8, v3
	v_addc_co_u32_e32 v5, vcc, v9, v5, vcc
	global_load_dwordx2 v[4:5], v[4:5], off glc
	s_waitcnt vmcnt(0)
	global_atomic_cmpswap_x2 v[8:9], v2, v[4:7], s[10:11] offset:24 glc
	s_waitcnt vmcnt(0)
	buffer_invl2
	buffer_wbinvl1_vol
	v_cmp_ne_u64_e32 vcc, v[8:9], v[6:7]
	s_and_saveexec_b64 s[14:15], vcc
	s_cbranch_execz .LBB22_373
; %bb.370:
	s_mov_b64 s[16:17], 0
.LBB22_371:                             ; =>This Inner Loop Header: Depth=1
	s_sleep 1
	global_load_dwordx2 v[4:5], v2, s[10:11] offset:40
	global_load_dwordx2 v[10:11], v2, s[10:11]
	v_pk_mov_b32 v[6:7], v[8:9], v[8:9] op_sel:[0,1]
	s_waitcnt vmcnt(1)
	v_and_b32_e32 v4, v4, v6
	v_and_b32_e32 v3, v5, v7
	s_waitcnt vmcnt(0)
	v_mad_u64_u32 v[4:5], s[18:19], v4, 24, v[10:11]
	v_mov_b32_e32 v8, v5
	v_mad_u64_u32 v[8:9], s[18:19], v3, 24, v[8:9]
	v_mov_b32_e32 v5, v8
	global_load_dwordx2 v[4:5], v[4:5], off glc
	s_waitcnt vmcnt(0)
	global_atomic_cmpswap_x2 v[8:9], v2, v[4:7], s[10:11] offset:24 glc
	s_waitcnt vmcnt(0)
	buffer_invl2
	buffer_wbinvl1_vol
	v_cmp_eq_u64_e32 vcc, v[8:9], v[6:7]
	s_or_b64 s[16:17], vcc, s[16:17]
	s_andn2_b64 exec, exec, s[16:17]
	s_cbranch_execnz .LBB22_371
; %bb.372:
	s_or_b64 exec, exec, s[16:17]
.LBB22_373:
	s_or_b64 exec, exec, s[14:15]
.LBB22_374:
	s_or_b64 exec, exec, s[12:13]
	s_waitcnt vmcnt(0)
	v_mov_b32_e32 v2, 0
	global_load_dwordx2 v[10:11], v2, s[10:11] offset:40
	global_load_dwordx4 v[4:7], v2, s[10:11]
	v_readfirstlane_b32 s12, v8
	v_readfirstlane_b32 s13, v9
	s_mov_b64 s[14:15], exec
	s_waitcnt vmcnt(1)
	v_readfirstlane_b32 s16, v10
	v_readfirstlane_b32 s17, v11
	s_and_b64 s[16:17], s[12:13], s[16:17]
	s_mul_i32 s18, s17, 24
	s_mul_hi_u32 s19, s16, 24
	s_mul_i32 s20, s16, 24
	s_add_i32 s18, s19, s18
	v_mov_b32_e32 v3, s18
	s_waitcnt vmcnt(0)
	v_add_co_u32_e32 v8, vcc, s20, v4
	v_addc_co_u32_e32 v9, vcc, v5, v3, vcc
	s_and_saveexec_b64 s[18:19], s[4:5]
	s_cbranch_execz .LBB22_376
; %bb.375:
	v_pk_mov_b32 v[10:11], s[14:15], s[14:15] op_sel:[0,1]
	v_mov_b32_e32 v12, 2
	v_mov_b32_e32 v13, 1
	global_store_dwordx4 v[8:9], v[10:13], off offset:8
.LBB22_376:
	s_or_b64 exec, exec, s[18:19]
	s_lshl_b64 s[14:15], s[16:17], 12
	v_mov_b32_e32 v3, s15
	v_add_co_u32_e32 v10, vcc, s14, v6
	v_addc_co_u32_e32 v11, vcc, v7, v3, vcc
	s_movk_i32 s14, 0xff1f
	s_mov_b32 s16, 0
	v_and_or_b32 v0, v0, s14, 32
	v_mov_b32_e32 v3, v2
	v_readfirstlane_b32 s14, v10
	v_readfirstlane_b32 s15, v11
	s_mov_b32 s17, s16
	v_add_co_u32_e32 v6, vcc, v10, v36
	s_mov_b32 s18, s16
	s_mov_b32 s19, s16
	s_nop 0
	global_store_dwordx4 v36, v[0:3], s[14:15]
	v_addc_co_u32_e32 v7, vcc, 0, v11, vcc
	v_pk_mov_b32 v[0:1], s[16:17], s[16:17] op_sel:[0,1]
	v_pk_mov_b32 v[2:3], s[18:19], s[18:19] op_sel:[0,1]
	global_store_dwordx4 v36, v[0:3], s[14:15] offset:16
	global_store_dwordx4 v36, v[0:3], s[14:15] offset:32
	;; [unrolled: 1-line block ×3, first 2 shown]
	s_and_saveexec_b64 s[14:15], s[4:5]
	s_cbranch_execz .LBB22_384
; %bb.377:
	v_mov_b32_e32 v10, 0
	global_load_dwordx2 v[14:15], v10, s[10:11] offset:32 glc
	global_load_dwordx2 v[0:1], v10, s[10:11] offset:40
	v_mov_b32_e32 v12, s12
	v_mov_b32_e32 v13, s13
	s_waitcnt vmcnt(0)
	v_readfirstlane_b32 s16, v0
	v_readfirstlane_b32 s17, v1
	s_and_b64 s[16:17], s[16:17], s[12:13]
	s_mul_i32 s17, s17, 24
	s_mul_hi_u32 s18, s16, 24
	s_mul_i32 s16, s16, 24
	s_add_i32 s17, s18, s17
	v_mov_b32_e32 v0, s17
	v_add_co_u32_e32 v4, vcc, s16, v4
	v_addc_co_u32_e32 v5, vcc, v5, v0, vcc
	global_store_dwordx2 v[4:5], v[14:15], off
	buffer_wbl2
	s_waitcnt vmcnt(0)
	global_atomic_cmpswap_x2 v[2:3], v10, v[12:15], s[10:11] offset:32 glc
	s_waitcnt vmcnt(0)
	v_cmp_ne_u64_e32 vcc, v[2:3], v[14:15]
	s_and_saveexec_b64 s[16:17], vcc
	s_cbranch_execz .LBB22_380
; %bb.378:
	s_mov_b64 s[18:19], 0
.LBB22_379:                             ; =>This Inner Loop Header: Depth=1
	s_sleep 1
	global_store_dwordx2 v[4:5], v[2:3], off
	v_mov_b32_e32 v0, s12
	v_mov_b32_e32 v1, s13
	buffer_wbl2
	s_waitcnt vmcnt(0)
	global_atomic_cmpswap_x2 v[0:1], v10, v[0:3], s[10:11] offset:32 glc
	s_waitcnt vmcnt(0)
	v_cmp_eq_u64_e32 vcc, v[0:1], v[2:3]
	s_or_b64 s[18:19], vcc, s[18:19]
	v_pk_mov_b32 v[2:3], v[0:1], v[0:1] op_sel:[0,1]
	s_andn2_b64 exec, exec, s[18:19]
	s_cbranch_execnz .LBB22_379
.LBB22_380:
	s_or_b64 exec, exec, s[16:17]
	v_mov_b32_e32 v3, 0
	global_load_dwordx2 v[0:1], v3, s[10:11] offset:16
	s_mov_b64 s[16:17], exec
	v_mbcnt_lo_u32_b32 v2, s16, 0
	v_mbcnt_hi_u32_b32 v2, s17, v2
	v_cmp_eq_u32_e32 vcc, 0, v2
	s_and_saveexec_b64 s[18:19], vcc
	s_cbranch_execz .LBB22_382
; %bb.381:
	s_bcnt1_i32_b64 s16, s[16:17]
	v_mov_b32_e32 v2, s16
	buffer_wbl2
	s_waitcnt vmcnt(0)
	global_atomic_add_x2 v[0:1], v[2:3], off offset:8
.LBB22_382:
	s_or_b64 exec, exec, s[18:19]
	s_waitcnt vmcnt(0)
	global_load_dwordx2 v[2:3], v[0:1], off offset:16
	s_waitcnt vmcnt(0)
	v_cmp_eq_u64_e32 vcc, 0, v[2:3]
	s_cbranch_vccnz .LBB22_384
; %bb.383:
	global_load_dword v0, v[0:1], off offset:24
	v_mov_b32_e32 v1, 0
	buffer_wbl2
	s_waitcnt vmcnt(0)
	global_store_dwordx2 v[2:3], v[0:1], off
	v_and_b32_e32 v0, 0xffffff, v0
	v_readfirstlane_b32 m0, v0
	s_sendmsg sendmsg(MSG_INTERRUPT)
.LBB22_384:
	s_or_b64 exec, exec, s[14:15]
	s_branch .LBB22_388
.LBB22_385:                             ;   in Loop: Header=BB22_388 Depth=1
	s_or_b64 exec, exec, s[14:15]
	v_readfirstlane_b32 s14, v0
	s_cmp_eq_u32 s14, 0
	s_cbranch_scc1 .LBB22_387
; %bb.386:                              ;   in Loop: Header=BB22_388 Depth=1
	s_sleep 1
	s_cbranch_execnz .LBB22_388
	s_branch .LBB22_390
.LBB22_387:
	s_branch .LBB22_390
.LBB22_388:                             ; =>This Inner Loop Header: Depth=1
	v_mov_b32_e32 v0, 1
	s_and_saveexec_b64 s[14:15], s[4:5]
	s_cbranch_execz .LBB22_385
; %bb.389:                              ;   in Loop: Header=BB22_388 Depth=1
	global_load_dword v0, v[8:9], off offset:20 glc
	s_waitcnt vmcnt(0)
	buffer_invl2
	buffer_wbinvl1_vol
	v_and_b32_e32 v0, 1, v0
	s_branch .LBB22_385
.LBB22_390:
	global_load_dwordx2 v[0:1], v[6:7], off
	s_and_saveexec_b64 s[14:15], s[4:5]
	s_cbranch_execz .LBB22_393
; %bb.391:
	v_mov_b32_e32 v8, 0
	global_load_dwordx2 v[6:7], v8, s[10:11] offset:40
	global_load_dwordx2 v[10:11], v8, s[10:11] offset:24 glc
	global_load_dwordx2 v[12:13], v8, s[10:11]
	v_mov_b32_e32 v3, s13
	s_mov_b64 s[4:5], 0
	s_waitcnt vmcnt(2)
	v_add_co_u32_e32 v5, vcc, 1, v6
	v_addc_co_u32_e32 v9, vcc, 0, v7, vcc
	v_add_co_u32_e32 v2, vcc, s12, v5
	v_addc_co_u32_e32 v3, vcc, v9, v3, vcc
	v_cmp_eq_u64_e32 vcc, 0, v[2:3]
	v_cndmask_b32_e32 v3, v3, v9, vcc
	v_cndmask_b32_e32 v2, v2, v5, vcc
	v_and_b32_e32 v5, v3, v7
	v_and_b32_e32 v6, v2, v6
	v_mul_lo_u32 v5, v5, 24
	v_mul_hi_u32 v7, v6, 24
	v_mul_lo_u32 v6, v6, 24
	v_add_u32_e32 v5, v7, v5
	s_waitcnt vmcnt(0)
	v_add_co_u32_e32 v6, vcc, v12, v6
	v_addc_co_u32_e32 v7, vcc, v13, v5, vcc
	v_mov_b32_e32 v4, v10
	global_store_dwordx2 v[6:7], v[10:11], off
	v_mov_b32_e32 v5, v11
	buffer_wbl2
	s_waitcnt vmcnt(0)
	global_atomic_cmpswap_x2 v[4:5], v8, v[2:5], s[10:11] offset:24 glc
	s_waitcnt vmcnt(0)
	v_cmp_ne_u64_e32 vcc, v[4:5], v[10:11]
	s_and_b64 exec, exec, vcc
	s_cbranch_execz .LBB22_393
.LBB22_392:                             ; =>This Inner Loop Header: Depth=1
	s_sleep 1
	global_store_dwordx2 v[6:7], v[4:5], off
	buffer_wbl2
	s_waitcnt vmcnt(0)
	global_atomic_cmpswap_x2 v[10:11], v8, v[2:5], s[10:11] offset:24 glc
	s_waitcnt vmcnt(0)
	v_cmp_eq_u64_e32 vcc, v[10:11], v[4:5]
	s_or_b64 s[4:5], vcc, s[4:5]
	v_pk_mov_b32 v[4:5], v[10:11], v[10:11] op_sel:[0,1]
	s_andn2_b64 exec, exec, s[4:5]
	s_cbranch_execnz .LBB22_392
.LBB22_393:
	s_or_b64 exec, exec, s[14:15]
.LBB22_394:
	s_or_b64 exec, exec, s[6:7]
	s_getpc_b64 s[4:5]
	s_add_u32 s4, s4, .str.1@rel32@lo+4
	s_addc_u32 s5, s5, .str.1@rel32@hi+12
	s_getpc_b64 s[6:7]
	s_add_u32 s6, s6, .str.1@rel32@lo+22
	s_addc_u32 s7, s7, .str.1@rel32@hi+30
	s_sub_i32 s10, s6, s4
	s_ashr_i32 s11, s10, 31
	s_waitcnt vmcnt(0)
	v_mov_b32_e32 v2, s4
	v_mov_b32_e32 v3, s5
	;; [unrolled: 1-line block ×5, first 2 shown]
	s_getpc_b64 s[6:7]
	s_add_u32 s6, s6, __ockl_fprintf_append_string_n@rel32@lo+4
	s_addc_u32 s7, s7, __ockl_fprintf_append_string_n@rel32@hi+12
	s_swappc_b64 s[30:31], s[6:7]
	s_trap 2
.Lfunc_end22:
	.size	__assert_fail, .Lfunc_end22-__assert_fail
                                        ; -- End function
	.section	.AMDGPU.csdata,"",@progbits
; Function info:
; codeLenInByte = 15384
; NumSgprs: 38
; NumVgprs: 41
; NumAgprs: 0
; TotalNumVgprs: 41
; ScratchSize: 64
; MemoryBound: 0
	.section	.text._ZN4vllm3moe7moeTopKILi256EiEEvPKfPKbPfPT0_PiiiiibS3_,"axG",@progbits,_ZN4vllm3moe7moeTopKILi256EiEEvPKfPKbPfPT0_PiiiiibS3_,comdat
	.protected	_ZN4vllm3moe7moeTopKILi256EiEEvPKfPKbPfPT0_PiiiiibS3_ ; -- Begin function _ZN4vllm3moe7moeTopKILi256EiEEvPKfPKbPfPT0_PiiiiibS3_
	.globl	_ZN4vllm3moe7moeTopKILi256EiEEvPKfPKbPfPT0_PiiiiibS3_
	.p2align	8
	.type	_ZN4vllm3moe7moeTopKILi256EiEEvPKfPKbPfPT0_PiiiiibS3_,@function
_ZN4vllm3moe7moeTopKILi256EiEEvPKfPKbPfPT0_PiiiiibS3_: ; @_ZN4vllm3moe7moeTopKILi256EiEEvPKfPKbPfPT0_PiiiiibS3_
; %bb.0:
	s_add_u32 flat_scratch_lo, s6, s9
	s_load_dwordx8 s[24:31], s[4:5], 0x0
	s_load_dwordx2 s[34:35], s[4:5], 0x20
	s_addc_u32 flat_scratch_hi, s7, 0
	s_add_u32 s0, s0, s9
	s_addc_u32 s1, s1, 0
	s_mov_b64 s[12:13], -1
	s_mov_b64 s[42:43], 0
	s_waitcnt lgkmcnt(0)
	s_cmp_eq_u64 s[26:27], 0
	s_mov_b64 s[40:41], -1
	s_mov_b32 s32, 0
	s_cbranch_scc1 .LBB23_2
; %bb.1:
	s_ashr_i32 s7, s8, 31
	s_add_u32 s6, s26, s8
	s_addc_u32 s7, s27, s7
	v_mov_b32_e32 v1, 0
	global_load_ubyte v1, v1, s[6:7]
	s_waitcnt vmcnt(0)
	v_readfirstlane_b32 s6, v1
	s_bitcmp1_b32 s6, 0
	s_cselect_b64 s[6:7], -1, 0
	s_xor_b64 s[40:41], s[6:7], -1
.LBB23_2:
	s_load_dword s6, s[4:5], 0x38
	s_load_dwordx4 s[36:39], s[4:5], 0x28
	s_mov_b32 s9, 0
	s_waitcnt lgkmcnt(0)
	s_bitcmp1_b32 s6, 0
	s_cselect_b64 s[6:7], -1, 0
	s_cmp_gt_i32 s37, 0
	s_cselect_b64 s[26:27], -1, 0
	s_and_b64 vcc, exec, s[26:27]
	s_cbranch_vccnz .LBB23_4
; %bb.3:
	s_mov_b64 s[42:43], -1
	s_mov_b64 s[10:11], 0
	v_mov_b32_e32 v1, s9
	s_cbranch_execz .LBB23_5
	s_branch .LBB23_30
.LBB23_4:
                                        ; implicit-def: $sgpr9
	s_mov_b64 s[10:11], 0
	s_andn2_b64 vcc, exec, s[12:13]
	v_mov_b32_e32 v1, s9
	s_cbranch_vccnz .LBB23_30
.LBB23_5:
	v_mbcnt_lo_u32_b32 v1, -1, 0
	v_mbcnt_hi_u32_b32 v1, -1, v1
	v_bfrev_b32_e32 v2, 0.5
	s_load_dwordx2 s[44:45], s[4:5], 0x40
	s_load_dword s9, s[4:5], 0x48
	v_lshl_or_b32 v4, v1, 2, v2
	v_lshrrev_b32_e32 v2, 3, v0
	v_and_b32_e32 v5, 24, v2
	v_and_b32_e32 v2, 3, v1
	v_cmp_ne_u32_e32 vcc, 3, v2
	v_addc_co_u32_e32 v3, vcc, 0, v1, vcc
	s_waitcnt lgkmcnt(0)
	s_cmp_lg_u64 s[44:45], 0
	s_mul_i32 s48, s8, s37
	v_cmp_gt_u32_e32 vcc, 2, v2
	v_lshlrev_b32_e32 v6, 3, v2
	v_cndmask_b32_e64 v2, 0, 1, vcc
	s_cselect_b64 s[16:17], -1, 0
	s_ashr_i32 s49, s48, 31
	v_lshlrev_b32_e32 v2, 1, v2
	s_lshl_b64 s[18:19], s[48:49], 2
	v_cmp_eq_u32_e64 s[10:11], 0, v1
	v_add_lshl_u32 v8, v2, v1, 2
	s_add_u32 s50, s30, s18
	v_cndmask_b32_e64 v1, 0, 1, s[16:17]
	s_mul_i32 s33, s8, s36
	v_cmp_gt_i32_e64 s[20:21], s36, v0
	s_mov_b64 s[46:47], 0
	s_mov_b32 s58, 0
	v_cmp_gt_u32_e64 s[12:13], 64, v0
	v_lshlrev_b32_e32 v7, 2, v3
	v_cmp_eq_u32_e64 s[14:15], 0, v0
	s_addc_u32 s51, s31, s19
	v_mov_b32_e32 v3, 0
	v_cmp_ne_u32_e64 s[16:17], 1, v1
	v_mov_b32_e32 v1, 0
                                        ; implicit-def: $sgpr42_sgpr43
	s_branch .LBB23_7
.LBB23_6:                               ;   in Loop: Header=BB23_7 Depth=1
	s_or_b64 exec, exec, s[52:53]
	s_xor_b64 s[18:19], s[18:19], -1
	s_and_b64 s[22:23], exec, s[22:23]
	s_or_b64 s[46:47], s[22:23], s[46:47]
	s_andn2_b64 s[22:23], s[42:43], exec
	s_and_b64 s[18:19], s[18:19], exec
	s_or_b64 s[42:43], s[22:23], s[18:19]
	s_andn2_b64 exec, exec, s[46:47]
	s_cbranch_execz .LBB23_29
.LBB23_7:                               ; =>This Loop Header: Depth=1
                                        ;     Child Loop BB23_10 Depth 2
                                        ;       Child Loop BB23_14 Depth 3
	v_mov_b32_e32 v9, -1.0
	v_mov_b32_e32 v10, v3
	s_and_saveexec_b64 s[52:53], s[20:21]
	s_cbranch_execz .LBB23_19
; %bb.8:                                ;   in Loop: Header=BB23_7 Depth=1
	s_cmp_lg_u32 s58, 0
	s_cselect_b64 s[18:19], -1, 0
	v_cndmask_b32_e64 v2, 0, 1, s[18:19]
	s_mov_b64 s[54:55], 0
	v_mov_b32_e32 v9, -1.0
	v_mov_b32_e32 v10, 0
	v_cmp_ne_u32_e64 s[18:19], 1, v2
	v_mov_b32_e32 v2, v0
	s_branch .LBB23_10
.LBB23_9:                               ;   in Loop: Header=BB23_10 Depth=2
	s_or_b64 exec, exec, s[56:57]
	v_add_u32_e32 v2, 0x100, v2
	v_cmp_le_i32_e32 vcc, s36, v2
	s_or_b64 s[54:55], vcc, s[54:55]
	s_andn2_b64 exec, exec, s[54:55]
	s_cbranch_execz .LBB23_18
.LBB23_10:                              ;   Parent Loop BB23_7 Depth=1
                                        ; =>  This Loop Header: Depth=2
                                        ;       Child Loop BB23_14 Depth 3
	v_add_u32_e32 v12, s33, v2
	v_ashrrev_i32_e32 v13, 31, v12
	v_lshlrev_b64 v[12:13], 2, v[12:13]
	v_mov_b32_e32 v11, s25
	v_add_co_u32_e32 v12, vcc, s24, v12
	v_addc_co_u32_e32 v13, vcc, v11, v13, vcc
	global_load_dword v11, v[12:13], off
	s_and_b64 vcc, exec, s[16:17]
	s_cbranch_vccnz .LBB23_12
; %bb.11:                               ;   in Loop: Header=BB23_10 Depth=2
	v_lshlrev_b64 v[12:13], 2, v[2:3]
	v_mov_b32_e32 v14, s45
	v_add_co_u32_e32 v12, vcc, s44, v12
	v_addc_co_u32_e32 v13, vcc, v14, v13, vcc
	global_load_dword v12, v[12:13], off
	s_waitcnt vmcnt(0)
	v_add_f32_e32 v11, v11, v12
.LBB23_12:                              ;   in Loop: Header=BB23_10 Depth=2
	s_and_b64 vcc, exec, s[18:19]
	s_cbranch_vccnz .LBB23_16
; %bb.13:                               ;   in Loop: Header=BB23_10 Depth=2
	s_mov_b32 s49, 0
	s_mov_b64 s[22:23], s[50:51]
	v_mov_b32_e32 v12, v2
.LBB23_14:                              ;   Parent Loop BB23_7 Depth=1
                                        ;     Parent Loop BB23_10 Depth=2
                                        ; =>    This Inner Loop Header: Depth=3
	global_load_dword v13, v3, s[22:23]
	s_add_i32 s49, s49, 1
	s_add_u32 s22, s22, 4
	s_addc_u32 s23, s23, 0
	s_cmp_ge_u32 s49, s58
	s_waitcnt vmcnt(0)
	v_cmp_eq_u32_e32 vcc, v13, v2
	v_cndmask_b32_e32 v12, v12, v10, vcc
	v_cndmask_b32_e32 v11, v11, v9, vcc
	s_cbranch_scc0 .LBB23_14
; %bb.15:                               ;   in Loop: Header=BB23_10 Depth=2
	v_cmp_ngt_f32_e32 vcc, v9, v11
	s_and_saveexec_b64 s[56:57], vcc
	s_cbranch_execz .LBB23_9
	s_branch .LBB23_17
.LBB23_16:                              ;   in Loop: Header=BB23_10 Depth=2
	v_mov_b32_e32 v12, v2
	s_waitcnt vmcnt(0)
	v_cmp_ngt_f32_e32 vcc, v9, v11
	s_and_saveexec_b64 s[56:57], vcc
	s_cbranch_execz .LBB23_9
.LBB23_17:                              ;   in Loop: Header=BB23_10 Depth=2
	v_cmp_eq_f32_e32 vcc, v11, v9
	v_cmp_lt_i32_e64 s[22:23], v10, v12
	s_and_b64 vcc, vcc, s[22:23]
	v_cndmask_b32_e32 v9, v11, v9, vcc
	v_cndmask_b32_e32 v10, v12, v10, vcc
	s_branch .LBB23_9
.LBB23_18:                              ;   in Loop: Header=BB23_7 Depth=1
	s_or_b64 exec, exec, s[54:55]
.LBB23_19:                              ;   in Loop: Header=BB23_7 Depth=1
	s_or_b64 exec, exec, s[52:53]
	v_mov_b32_dpp v2, v10 quad_perm:[1,0,3,2] row_mask:0xf bank_mask:0xf
	v_mov_b32_dpp v11, v9 quad_perm:[1,0,3,2] row_mask:0xf bank_mask:0xf
	v_cmp_eq_f32_e32 vcc, v9, v11
	v_cmp_lt_i32_e64 s[18:19], v10, v2
	s_and_b64 vcc, vcc, s[18:19]
	v_cmp_gt_f32_e64 s[18:19], v9, v11
	v_cndmask_b32_e32 v12, v11, v9, vcc
	s_or_b64 vcc, s[18:19], vcc
	v_cndmask_b32_e64 v9, v12, v9, s[18:19]
	v_cndmask_b32_e32 v2, v2, v10, vcc
	s_nop 0
	v_mov_b32_dpp v11, v9 quad_perm:[2,3,0,1] row_mask:0xf bank_mask:0xf
	v_mov_b32_dpp v10, v2 quad_perm:[2,3,0,1] row_mask:0xf bank_mask:0xf
	v_cmp_eq_f32_e32 vcc, v9, v11
	v_cmp_lt_i32_e64 s[18:19], v2, v10
	s_and_b64 vcc, vcc, s[18:19]
	v_cmp_gt_f32_e64 s[18:19], v9, v11
	v_cndmask_b32_e32 v12, v11, v9, vcc
	s_or_b64 vcc, s[18:19], vcc
	v_cndmask_b32_e64 v9, v12, v9, s[18:19]
	v_cndmask_b32_e32 v2, v10, v2, vcc
	s_nop 0
	v_mov_b32_dpp v11, v9 row_ror:4 row_mask:0xf bank_mask:0xf
	v_mov_b32_dpp v10, v2 row_ror:4 row_mask:0xf bank_mask:0xf
	v_cmp_eq_f32_e32 vcc, v9, v11
	v_cmp_lt_i32_e64 s[18:19], v2, v10
	s_and_b64 vcc, vcc, s[18:19]
	v_cmp_gt_f32_e64 s[18:19], v9, v11
	v_cndmask_b32_e32 v12, v11, v9, vcc
	s_or_b64 vcc, s[18:19], vcc
	v_cndmask_b32_e64 v9, v12, v9, s[18:19]
	v_cndmask_b32_e32 v2, v10, v2, vcc
	s_nop 0
	v_mov_b32_dpp v11, v9 row_ror:8 row_mask:0xf bank_mask:0xf
	v_mov_b32_dpp v10, v2 row_ror:8 row_mask:0xf bank_mask:0xf
	v_cmp_eq_f32_e32 vcc, v9, v11
	v_cmp_lt_i32_e64 s[18:19], v2, v10
	s_and_b64 vcc, vcc, s[18:19]
	v_cmp_gt_f32_e64 s[18:19], v9, v11
	v_cndmask_b32_e32 v12, v11, v9, vcc
	s_or_b64 vcc, s[18:19], vcc
	v_cndmask_b32_e64 v9, v12, v9, s[18:19]
	v_cndmask_b32_e32 v2, v10, v2, vcc
	s_nop 0
	v_mov_b32_dpp v11, v9 row_bcast:15 row_mask:0xf bank_mask:0xf
	v_mov_b32_dpp v10, v2 row_bcast:15 row_mask:0xf bank_mask:0xf
	v_cmp_eq_f32_e32 vcc, v9, v11
	v_cmp_lt_i32_e64 s[18:19], v2, v10
	s_and_b64 vcc, vcc, s[18:19]
	v_cmp_gt_f32_e64 s[18:19], v9, v11
	v_cndmask_b32_e32 v12, v11, v9, vcc
	s_or_b64 vcc, s[18:19], vcc
	v_cndmask_b32_e64 v9, v12, v9, s[18:19]
	v_cndmask_b32_e32 v2, v10, v2, vcc
	s_nop 0
	v_mov_b32_dpp v11, v9 row_bcast:31 row_mask:0xf bank_mask:0xf
	v_mov_b32_dpp v10, v2 row_bcast:31 row_mask:0xf bank_mask:0xf
	v_cmp_eq_f32_e32 vcc, v9, v11
	v_cmp_lt_i32_e64 s[18:19], v2, v10
	s_and_b64 vcc, vcc, s[18:19]
	v_cmp_gt_f32_e64 s[18:19], v9, v11
	v_cndmask_b32_e32 v12, v11, v9, vcc
	s_or_b64 vcc, s[18:19], vcc
	v_cndmask_b32_e64 v9, v12, v9, s[18:19]
	v_cndmask_b32_e32 v2, v10, v2, vcc
	ds_bpermute_b32 v2, v4, v2
	ds_bpermute_b32 v9, v4, v9
	s_and_saveexec_b64 s[18:19], s[10:11]
	s_cbranch_execz .LBB23_21
; %bb.20:                               ;   in Loop: Header=BB23_7 Depth=1
	s_waitcnt lgkmcnt(0)
	ds_write2_b32 v5, v2, v9 offset1:1
.LBB23_21:                              ;   in Loop: Header=BB23_7 Depth=1
	s_or_b64 exec, exec, s[18:19]
	s_waitcnt lgkmcnt(0)
	s_barrier
	s_and_saveexec_b64 s[52:53], s[12:13]
	s_cbranch_execz .LBB23_23
; %bb.22:                               ;   in Loop: Header=BB23_7 Depth=1
	ds_read2_b32 v[10:11], v6 offset1:1
	s_waitcnt lgkmcnt(0)
	ds_bpermute_b32 v2, v7, v11
	ds_bpermute_b32 v9, v7, v10
	s_waitcnt lgkmcnt(1)
	v_cmp_eq_f32_e64 s[18:19], v11, v2
	s_waitcnt lgkmcnt(0)
	v_cmp_lt_i32_e64 s[22:23], v9, v10
	v_cmp_lt_f32_e32 vcc, v11, v2
	s_and_b64 s[18:19], s[18:19], s[22:23]
	s_or_b64 vcc, vcc, s[18:19]
	v_cndmask_b32_e32 v2, v11, v2, vcc
	v_cndmask_b32_e32 v9, v10, v9, vcc
	ds_bpermute_b32 v11, v8, v2
	ds_bpermute_b32 v10, v8, v9
	s_waitcnt lgkmcnt(1)
	v_cmp_eq_f32_e64 s[18:19], v2, v11
	s_waitcnt lgkmcnt(0)
	v_cmp_lt_i32_e64 s[22:23], v10, v9
	v_cmp_lt_f32_e32 vcc, v2, v11
	s_and_b64 s[18:19], s[18:19], s[22:23]
	s_or_b64 vcc, vcc, s[18:19]
	v_cndmask_b32_e32 v2, v9, v10, vcc
.LBB23_23:                              ;   in Loop: Header=BB23_7 Depth=1
	s_or_b64 exec, exec, s[52:53]
	s_mov_b64 s[22:23], -1
	s_mov_b64 s[54:55], -1
                                        ; implicit-def: $sgpr18_sgpr19
	s_and_saveexec_b64 s[52:53], s[14:15]
	s_cbranch_execz .LBB23_27
; %bb.24:                               ;   in Loop: Header=BB23_7 Depth=1
	v_add_u32_e32 v10, s33, v2
	v_ashrrev_i32_e32 v11, 31, v10
	v_lshlrev_b64 v[10:11], 2, v[10:11]
	v_mov_b32_e32 v9, s25
	v_add_co_u32_e32 v10, vcc, s24, v10
	v_addc_co_u32_e32 v11, vcc, v9, v11, vcc
	global_load_dword v9, v[10:11], off
	v_cmp_le_i32_e32 vcc, s38, v2
	v_cmp_gt_i32_e64 s[18:19], s39, v2
	s_add_i32 s54, s58, s48
	s_and_b64 s[56:57], vcc, s[18:19]
	s_ashr_i32 s55, s54, 31
	s_lshl_b64 s[18:19], s[54:55], 2
	s_and_b64 vcc, s[40:41], s[56:57]
	s_add_u32 s54, s28, s18
	s_addc_u32 s55, s29, s19
	v_subrev_u32_e32 v2, s38, v2
	v_mov_b32_e32 v10, s36
	s_add_u32 s56, s30, s18
	v_cndmask_b32_e32 v2, v10, v2, vcc
	s_addc_u32 s57, s31, s19
	v_cmp_lt_i32_e32 vcc, -1, v2
	global_store_dword v3, v2, s[56:57]
	s_waitcnt vmcnt(1)
	global_store_dword v3, v9, s[54:55]
	s_mov_b64 s[54:55], 0
	s_and_saveexec_b64 s[56:57], vcc
	s_cbranch_execz .LBB23_26
; %bb.25:                               ;   in Loop: Header=BB23_7 Depth=1
	s_mul_i32 s49, s58, s9
	s_add_i32 s49, s49, s8
	s_add_u32 s18, s34, s18
	s_addc_u32 s19, s35, s19
	v_mov_b32_e32 v2, s49
	global_store_dword v3, v2, s[18:19]
	v_add_f32_e32 v2, v1, v9
	s_mov_b64 s[54:55], exec
	v_cndmask_b32_e64 v1, v1, v2, s[6:7]
.LBB23_26:                              ;   in Loop: Header=BB23_7 Depth=1
	s_or_b64 exec, exec, s[56:57]
	s_mov_b64 s[18:19], -1
	s_orn2_b64 s[54:55], s[54:55], exec
.LBB23_27:                              ;   in Loop: Header=BB23_7 Depth=1
	s_or_b64 exec, exec, s[52:53]
	s_and_saveexec_b64 s[52:53], s[54:55]
	s_cbranch_execz .LBB23_6
; %bb.28:                               ;   in Loop: Header=BB23_7 Depth=1
	s_add_i32 s58, s58, 1
	s_cmp_eq_u32 s58, s37
	s_cselect_b64 s[22:23], -1, 0
	s_andn2_b64 s[18:19], s[18:19], exec
	s_orn2_b64 s[22:23], s[22:23], exec
	s_barrier
	s_branch .LBB23_6
.LBB23_29:
	s_or_b64 exec, exec, s[46:47]
	s_mov_b64 s[10:11], -1
.LBB23_30:
	s_and_saveexec_b64 s[12:13], s[42:43]
	s_cbranch_execnz .LBB23_33
; %bb.31:
	s_or_b64 exec, exec, s[12:13]
	s_and_saveexec_b64 s[6:7], s[10:11]
	s_cbranch_execnz .LBB23_43
.LBB23_32:
	s_endpgm
.LBB23_33:
	v_cmp_eq_u32_e32 vcc, 0, v0
	s_and_b64 s[6:7], vcc, s[6:7]
	s_and_saveexec_b64 s[14:15], s[6:7]
	s_cbranch_execz .LBB23_42
; %bb.34:
	s_andn2_b64 vcc, exec, s[26:27]
	s_cbranch_vccnz .LBB23_42
; %bb.35:
	v_cmp_lt_f32_e32 vcc, 0, v1
	s_mov_b32 s16, 0
	v_cndmask_b32_e32 v0, 1.0, v1, vcc
	s_mul_i32 s17, s8, s37
	s_cmp_eq_u32 s37, 1
	s_mov_b64 s[6:7], -1
	s_cbranch_scc1 .LBB23_39
; %bb.36:
	s_and_b32 s16, s37, 0x7ffffffe
	v_mov_b32_e32 v1, v0
	v_mov_b32_e32 v2, 0
	s_mov_b32 s18, s16
	s_mov_b32 s8, s17
.LBB23_37:                              ; =>This Inner Loop Header: Depth=1
	s_ashr_i32 s9, s8, 31
	s_lshl_b64 s[6:7], s[8:9], 2
	s_add_u32 s20, s28, s6
	s_addc_u32 s21, s29, s7
	global_load_dwordx2 v[4:5], v2, s[20:21]
	s_add_i32 s8, s8, 2
	s_add_i32 s18, s18, -2
	s_cmp_lg_u32 s18, 0
	s_waitcnt vmcnt(0)
	v_div_scale_f32 v3, s[6:7], v1, v1, v5
	v_div_scale_f32 v7, s[6:7], v0, v0, v4
	v_rcp_f32_e32 v8, v3
	v_rcp_f32_e32 v9, v7
	v_div_scale_f32 v6, vcc, v5, v1, v5
	v_fma_f32 v11, -v3, v8, 1.0
	v_fma_f32 v12, -v7, v9, 1.0
	v_fmac_f32_e32 v8, v11, v8
	v_div_scale_f32 v10, s[6:7], v4, v0, v4
	v_fmac_f32_e32 v9, v12, v9
	v_mul_f32_e32 v11, v6, v8
	v_mul_f32_e32 v12, v10, v9
	v_fma_f32 v13, -v3, v11, v6
	v_fma_f32 v14, -v7, v12, v10
	v_fmac_f32_e32 v11, v13, v8
	v_fmac_f32_e32 v12, v14, v9
	v_fma_f32 v3, -v3, v11, v6
	v_fma_f32 v6, -v7, v12, v10
	v_div_fmas_f32 v3, v3, v8, v11
	s_mov_b64 vcc, s[6:7]
	v_div_fixup_f32 v5, v3, v1, v5
	v_div_fmas_f32 v3, v6, v9, v12
	v_div_fixup_f32 v4, v3, v0, v4
	global_store_dwordx2 v2, v[4:5], s[20:21]
	s_cbranch_scc1 .LBB23_37
; %bb.38:
	s_cmp_lg_u32 s16, s37
	s_cselect_b64 s[6:7], -1, 0
.LBB23_39:
	s_and_b64 vcc, exec, s[6:7]
	s_cbranch_vccz .LBB23_42
; %bb.40:
	s_sub_i32 s8, s37, s16
	s_ashr_i32 s7, s17, 31
	s_add_u32 s6, s17, s16
	s_addc_u32 s7, s7, 0
	s_lshl_b64 s[6:7], s[6:7], 2
	s_add_u32 s6, s28, s6
	s_addc_u32 s7, s29, s7
	v_mov_b32_e32 v1, 0
.LBB23_41:                              ; =>This Inner Loop Header: Depth=1
	global_load_dword v2, v1, s[6:7]
	s_add_i32 s8, s8, -1
	s_waitcnt vmcnt(0)
	v_div_scale_f32 v3, s[16:17], v0, v0, v2
	v_rcp_f32_e32 v4, v3
	v_div_scale_f32 v5, vcc, v2, v0, v2
	v_fma_f32 v6, -v3, v4, 1.0
	v_fmac_f32_e32 v4, v6, v4
	v_mul_f32_e32 v6, v5, v4
	v_fma_f32 v7, -v3, v6, v5
	v_fmac_f32_e32 v6, v7, v4
	v_fma_f32 v3, -v3, v6, v5
	v_div_fmas_f32 v3, v3, v4, v6
	v_div_fixup_f32 v2, v3, v0, v2
	global_store_dword v1, v2, s[6:7]
	s_add_u32 s6, s6, 4
	s_addc_u32 s7, s7, 0
	s_cmp_lg_u32 s8, 0
	s_cbranch_scc1 .LBB23_41
.LBB23_42:
	s_or_b64 exec, exec, s[14:15]
	s_andn2_b64 s[10:11], s[10:11], exec
	s_or_b64 exec, exec, s[12:13]
	s_and_saveexec_b64 s[6:7], s[10:11]
	s_cbranch_execz .LBB23_32
.LBB23_43:
	s_add_u32 s8, s4, 0x48
	s_addc_u32 s9, s5, 0
	s_getpc_b64 s[4:5]
	s_add_u32 s4, s4, __PRETTY_FUNCTION__._ZN4vllm3moe7moeTopKILi256EiEEvPKfPKbPfPT0_PiiiiibS3_@rel32@lo+4
	s_addc_u32 s5, s5, __PRETTY_FUNCTION__._ZN4vllm3moe7moeTopKILi256EiEEvPKfPKbPfPT0_PiiiiibS3_@rel32@hi+12
	v_mov_b32_e32 v0, s4
	v_mov_b32_e32 v1, s5
	s_getpc_b64 s[6:7]
	s_add_u32 s6, s6, __assert_fail@rel32@lo+4
	s_addc_u32 s7, s7, __assert_fail@rel32@hi+12
	s_swappc_b64 s[30:31], s[6:7]
	; divergent unreachable
	s_endpgm
	.section	.rodata,"a",@progbits
	.p2align	6, 0x0
	.amdhsa_kernel _ZN4vllm3moe7moeTopKILi256EiEEvPKfPKbPfPT0_PiiiiibS3_
		.amdhsa_group_segment_fixed_size 32
		.amdhsa_private_segment_fixed_size 64
		.amdhsa_kernarg_size 328
		.amdhsa_user_sgpr_count 8
		.amdhsa_user_sgpr_private_segment_buffer 1
		.amdhsa_user_sgpr_dispatch_ptr 0
		.amdhsa_user_sgpr_queue_ptr 0
		.amdhsa_user_sgpr_kernarg_segment_ptr 1
		.amdhsa_user_sgpr_dispatch_id 0
		.amdhsa_user_sgpr_flat_scratch_init 1
		.amdhsa_user_sgpr_kernarg_preload_length 0
		.amdhsa_user_sgpr_kernarg_preload_offset 0
		.amdhsa_user_sgpr_private_segment_size 0
		.amdhsa_uses_dynamic_stack 0
		.amdhsa_system_sgpr_private_segment_wavefront_offset 1
		.amdhsa_system_sgpr_workgroup_id_x 1
		.amdhsa_system_sgpr_workgroup_id_y 0
		.amdhsa_system_sgpr_workgroup_id_z 0
		.amdhsa_system_sgpr_workgroup_info 0
		.amdhsa_system_vgpr_workitem_id 0
		.amdhsa_next_free_vgpr 41
		.amdhsa_next_free_sgpr 59
		.amdhsa_accum_offset 44
		.amdhsa_reserve_vcc 1
		.amdhsa_reserve_flat_scratch 1
		.amdhsa_float_round_mode_32 0
		.amdhsa_float_round_mode_16_64 0
		.amdhsa_float_denorm_mode_32 3
		.amdhsa_float_denorm_mode_16_64 3
		.amdhsa_dx10_clamp 1
		.amdhsa_ieee_mode 1
		.amdhsa_fp16_overflow 0
		.amdhsa_tg_split 0
		.amdhsa_exception_fp_ieee_invalid_op 0
		.amdhsa_exception_fp_denorm_src 0
		.amdhsa_exception_fp_ieee_div_zero 0
		.amdhsa_exception_fp_ieee_overflow 0
		.amdhsa_exception_fp_ieee_underflow 0
		.amdhsa_exception_fp_ieee_inexact 0
		.amdhsa_exception_int_div_zero 0
	.end_amdhsa_kernel
	.section	.text._ZN4vllm3moe7moeTopKILi256EiEEvPKfPKbPfPT0_PiiiiibS3_,"axG",@progbits,_ZN4vllm3moe7moeTopKILi256EiEEvPKfPKbPfPT0_PiiiiibS3_,comdat
.Lfunc_end23:
	.size	_ZN4vllm3moe7moeTopKILi256EiEEvPKfPKbPfPT0_PiiiiibS3_, .Lfunc_end23-_ZN4vllm3moe7moeTopKILi256EiEEvPKfPKbPfPT0_PiiiiibS3_
                                        ; -- End function
	.section	.AMDGPU.csdata,"",@progbits
; Kernel info:
; codeLenInByte = 2096
; NumSgprs: 65
; NumVgprs: 41
; NumAgprs: 0
; TotalNumVgprs: 41
; ScratchSize: 64
; MemoryBound: 0
; FloatMode: 240
; IeeeMode: 1
; LDSByteSize: 32 bytes/workgroup (compile time only)
; SGPRBlocks: 8
; VGPRBlocks: 5
; NumSGPRsForWavesPerEU: 65
; NumVGPRsForWavesPerEU: 41
; AccumOffset: 44
; Occupancy: 8
; WaveLimiterHint : 1
; COMPUTE_PGM_RSRC2:SCRATCH_EN: 1
; COMPUTE_PGM_RSRC2:USER_SGPR: 8
; COMPUTE_PGM_RSRC2:TRAP_HANDLER: 0
; COMPUTE_PGM_RSRC2:TGID_X_EN: 1
; COMPUTE_PGM_RSRC2:TGID_Y_EN: 0
; COMPUTE_PGM_RSRC2:TGID_Z_EN: 0
; COMPUTE_PGM_RSRC2:TIDIG_COMP_CNT: 0
; COMPUTE_PGM_RSRC3_GFX90A:ACCUM_OFFSET: 10
; COMPUTE_PGM_RSRC3_GFX90A:TG_SPLIT: 0
	.section	.text._ZN4vllm3moe10topkGatingILi1ELi1ELi4ELi4ELi64EjfLNS0_11ScoringFuncE0EEEvPKT5_PKbPfiPT4_PiiiibPKf,"axG",@progbits,_ZN4vllm3moe10topkGatingILi1ELi1ELi4ELi4ELi64EjfLNS0_11ScoringFuncE0EEEvPKT5_PKbPfiPT4_PiiiibPKf,comdat
	.protected	_ZN4vllm3moe10topkGatingILi1ELi1ELi4ELi4ELi64EjfLNS0_11ScoringFuncE0EEEvPKT5_PKbPfiPT4_PiiiibPKf ; -- Begin function _ZN4vllm3moe10topkGatingILi1ELi1ELi4ELi4ELi64EjfLNS0_11ScoringFuncE0EEEvPKT5_PKbPfiPT4_PiiiibPKf
	.globl	_ZN4vllm3moe10topkGatingILi1ELi1ELi4ELi4ELi64EjfLNS0_11ScoringFuncE0EEEvPKT5_PKbPfiPT4_PiiiibPKf
	.p2align	8
	.type	_ZN4vllm3moe10topkGatingILi1ELi1ELi4ELi4ELi64EjfLNS0_11ScoringFuncE0EEEvPKT5_PKbPfiPT4_PiiiibPKf,@function
_ZN4vllm3moe10topkGatingILi1ELi1ELi4ELi4ELi64EjfLNS0_11ScoringFuncE0EEEvPKT5_PKbPfiPT4_PiiiibPKf: ; @_ZN4vllm3moe10topkGatingILi1ELi1ELi4ELi4ELi64EjfLNS0_11ScoringFuncE0EEEvPKT5_PKbPfiPT4_PiiiibPKf
; %bb.0:
	s_load_dword s18, s[4:5], 0x18
	v_bfe_u32 v1, v0, 10, 10
	s_lshl_b32 s0, s6, 8
	v_lshlrev_b32_e32 v1, 6, v1
	v_and_b32_e32 v0, 0x3ff, v0
	v_add3_u32 v0, v1, v0, s0
	s_waitcnt lgkmcnt(0)
	v_cmp_gt_i32_e32 vcc, s18, v0
	s_and_saveexec_b64 s[0:1], vcc
	s_cbranch_execz .LBB24_17
; %bb.1:
	s_load_dwordx4 s[12:15], s[4:5], 0x0
	s_load_dwordx2 s[2:3], s[4:5], 0x10
	v_ashrrev_i32_e32 v1, 31, v0
	s_waitcnt lgkmcnt(0)
	s_cmp_eq_u64 s[14:15], 0
	s_cbranch_scc1 .LBB24_3
; %bb.2:
	v_mov_b32_e32 v3, s15
	v_add_co_u32_e32 v2, vcc, s14, v0
	v_addc_co_u32_e32 v3, vcc, v3, v1, vcc
	global_load_ubyte v2, v[2:3], off
	s_waitcnt vmcnt(0)
	v_and_b32_e32 v2, 1, v2
	v_cmp_eq_u32_e32 vcc, 1, v2
	s_xor_b64 s[0:1], vcc, -1
	s_orn2_b64 s[16:17], s[0:1], exec
	s_branch .LBB24_4
.LBB24_3:
	s_mov_b64 s[16:17], -1
.LBB24_4:
	s_load_dwordx4 s[8:11], s[4:5], 0x30
	s_waitcnt lgkmcnt(0)
	s_bitcmp1_b32 s11, 0
	s_cselect_b64 s[0:1], -1, 0
	s_cmp_gt_i32 s8, 0
	s_cselect_b64 s[14:15], -1, 0
	s_cmp_lt_i32 s8, 1
	s_cbranch_scc1 .LBB24_8
; %bb.5:
	v_lshlrev_b64 v[2:3], 2, v[0:1]
	v_mov_b32_e32 v1, s13
	v_add_co_u32_e32 v2, vcc, s12, v2
	v_addc_co_u32_e32 v3, vcc, v1, v3, vcc
	global_load_dword v4, v[2:3], off
	s_mov_b32 s19, 0x3fb8aa3b
	v_mul_lo_u32 v2, v0, s8
	s_load_dwordx4 s[4:7], s[4:5], 0x20
	s_cmp_lt_i32 s9, 1
	v_ashrrev_i32_e32 v3, 31, v2
	s_cselect_b64 s[12:13], -1, 0
	s_cmp_gt_i32 s10, 0
	v_lshlrev_b64 v[6:7], 2, v[2:3]
	v_mov_b32_e32 v5, s3
	s_cselect_b64 s[10:11], -1, 0
	v_add_co_u32_e32 v2, vcc, s2, v6
	s_sub_i32 s9, 0, s9
	s_and_b64 s[10:11], s[12:13], s[10:11]
	v_addc_co_u32_e32 v3, vcc, v5, v7, vcc
	v_mov_b32_e32 v9, s9
	s_and_b64 vcc, s[16:17], s[10:11]
	v_cndmask_b32_e32 v9, 1, v9, vcc
	s_waitcnt lgkmcnt(0)
	v_mov_b32_e32 v5, s5
	s_mov_b32 s20, 0xc2ce8ed0
	s_mov_b32 s21, 0x42b17218
	v_mov_b32_e32 v10, 0x7f800000
	v_mov_b32_e32 v11, s7
	s_movk_i32 s22, 0x1f8
	v_mov_b32_e32 v1, 0
	v_mov_b32_e32 v8, v0
	s_waitcnt vmcnt(0)
	v_sub_f32_e32 v12, v4, v4
	v_mul_f32_e32 v4, 0x3fb8aa3b, v12
	v_fma_f32 v13, v12, s19, -v4
	v_rndne_f32_e32 v14, v4
	v_fmac_f32_e32 v13, 0x32a5705f, v12
	v_sub_f32_e32 v4, v4, v14
	v_add_f32_e32 v4, v4, v13
	v_cvt_i32_f32_e32 v14, v14
	v_exp_f32_e32 v13, v4
	v_add_co_u32_e32 v4, vcc, s4, v6
	v_addc_co_u32_e32 v5, vcc, v5, v7, vcc
	v_ldexp_f32 v13, v13, v14
	v_cmp_ngt_f32_e32 vcc, s20, v12
	v_cndmask_b32_e32 v13, 0, v13, vcc
	v_cmp_nlt_f32_e32 vcc, s21, v12
	v_cndmask_b32_e32 v10, v10, v13, vcc
	v_div_scale_f32 v12, s[4:5], v10, v10, 1.0
	v_rcp_f32_e32 v13, v12
	v_add_co_u32_e32 v6, vcc, s6, v6
	v_addc_co_u32_e32 v7, vcc, v11, v7, vcc
	v_fma_f32 v14, -v12, v13, 1.0
	v_div_scale_f32 v11, vcc, 1.0, v10, 1.0
	v_fmac_f32_e32 v13, v14, v13
	v_mul_f32_e32 v14, v11, v13
	v_fma_f32 v15, -v12, v14, v11
	v_fmac_f32_e32 v14, v15, v13
	v_fma_f32 v11, -v12, v14, v11
	v_div_fmas_f32 v11, v11, v13, v14
	v_div_fixup_f32 v11, v11, v10, 1.0
	v_mul_f32_e32 v10, v10, v11
	v_cmp_class_f32_e64 vcc, v10, s22
	v_cndmask_b32_e32 v10, 0, v10, vcc
	s_mov_b32 s4, s8
.LBB24_6:                               ; =>This Inner Loop Header: Depth=1
	global_store_dword v[2:3], v10, off
	global_store_dword v[4:5], v9, off
	global_store_dword v[6:7], v8, off
	v_add_co_u32_e32 v2, vcc, 4, v2
	v_addc_co_u32_e32 v3, vcc, 0, v3, vcc
	v_add_co_u32_e32 v4, vcc, 4, v4
	v_addc_co_u32_e32 v5, vcc, 0, v5, vcc
	v_add_f32_e32 v11, v1, v10
	s_add_i32 s4, s4, -1
	v_add_co_u32_e32 v6, vcc, 4, v6
	v_cndmask_b32_e64 v1, v1, v11, s[0:1]
	v_add_u32_e32 v8, s18, v8
	s_cmp_lg_u32 s4, 0
	v_addc_co_u32_e32 v7, vcc, 0, v7, vcc
	s_cbranch_scc1 .LBB24_6
; %bb.7:
	s_andn2_b64 vcc, exec, s[0:1]
	s_cbranch_vccz .LBB24_9
	s_branch .LBB24_17
.LBB24_8:
	v_mov_b32_e32 v1, 0
	s_andn2_b64 vcc, exec, s[0:1]
	s_cbranch_vccnz .LBB24_17
.LBB24_9:
	s_andn2_b64 vcc, exec, s[14:15]
	s_cbranch_vccnz .LBB24_17
; %bb.10:
	v_cmp_lt_f32_e32 vcc, 0, v1
	s_mov_b32 s4, 0
	v_cndmask_b32_e32 v2, 1.0, v1, vcc
	v_mul_lo_u32 v0, v0, s8
	s_cmp_eq_u32 s8, 1
	s_mov_b64 s[0:1], -1
	s_cbranch_scc1 .LBB24_14
; %bb.11:
	s_and_b32 s4, s8, 0x7ffffffe
	v_mov_b32_e32 v1, v2
	v_mov_b32_e32 v3, s3
	s_mov_b32 s5, s4
	v_mov_b32_e32 v4, v0
.LBB24_12:                              ; =>This Inner Loop Header: Depth=1
	v_ashrrev_i32_e32 v5, 31, v4
	v_lshlrev_b64 v[6:7], 2, v[4:5]
	v_add_co_u32_e32 v6, vcc, s2, v6
	v_addc_co_u32_e32 v7, vcc, v3, v7, vcc
	global_load_dwordx2 v[8:9], v[6:7], off
	s_add_i32 s5, s5, -2
	s_cmp_lg_u32 s5, 0
	v_add_u32_e32 v4, 2, v4
	s_waitcnt vmcnt(0)
	v_div_scale_f32 v5, s[0:1], v1, v1, v9
	v_div_scale_f32 v11, s[0:1], v2, v2, v8
	v_rcp_f32_e32 v12, v5
	v_rcp_f32_e32 v13, v11
	v_div_scale_f32 v10, vcc, v9, v1, v9
	v_fma_f32 v15, -v5, v12, 1.0
	v_fma_f32 v16, -v11, v13, 1.0
	v_fmac_f32_e32 v12, v15, v12
	v_div_scale_f32 v14, s[0:1], v8, v2, v8
	v_fmac_f32_e32 v13, v16, v13
	v_mul_f32_e32 v15, v10, v12
	v_mul_f32_e32 v16, v14, v13
	v_fma_f32 v17, -v5, v15, v10
	v_fma_f32 v18, -v11, v16, v14
	v_fmac_f32_e32 v15, v17, v12
	v_fmac_f32_e32 v16, v18, v13
	v_fma_f32 v5, -v5, v15, v10
	v_fma_f32 v10, -v11, v16, v14
	v_div_fmas_f32 v5, v5, v12, v15
	s_mov_b64 vcc, s[0:1]
	v_div_fixup_f32 v9, v5, v1, v9
	v_div_fmas_f32 v5, v10, v13, v16
	v_div_fixup_f32 v8, v5, v2, v8
	global_store_dwordx2 v[6:7], v[8:9], off
	s_cbranch_scc1 .LBB24_12
; %bb.13:
	s_cmp_lg_u32 s4, s8
	s_cselect_b64 s[0:1], -1, 0
.LBB24_14:
	s_and_b64 vcc, exec, s[0:1]
	s_cbranch_vccz .LBB24_17
; %bb.15:
	v_ashrrev_i32_e32 v1, 31, v0
	v_add_co_u32_e32 v0, vcc, s4, v0
	v_addc_co_u32_e32 v1, vcc, 0, v1, vcc
	v_lshlrev_b64 v[0:1], 2, v[0:1]
	v_mov_b32_e32 v3, s3
	v_add_co_u32_e32 v0, vcc, s2, v0
	s_sub_i32 s0, s8, s4
	v_addc_co_u32_e32 v1, vcc, v3, v1, vcc
.LBB24_16:                              ; =>This Inner Loop Header: Depth=1
	global_load_dword v3, v[0:1], off
	s_add_i32 s0, s0, -1
	s_cmp_lg_u32 s0, 0
	s_waitcnt vmcnt(0)
	v_div_scale_f32 v4, s[2:3], v2, v2, v3
	v_rcp_f32_e32 v5, v4
	v_div_scale_f32 v6, vcc, v3, v2, v3
	v_fma_f32 v7, -v4, v5, 1.0
	v_fmac_f32_e32 v5, v7, v5
	v_mul_f32_e32 v7, v6, v5
	v_fma_f32 v8, -v4, v7, v6
	v_fmac_f32_e32 v7, v8, v5
	v_fma_f32 v4, -v4, v7, v6
	v_div_fmas_f32 v4, v4, v5, v7
	v_div_fixup_f32 v3, v4, v2, v3
	global_store_dword v[0:1], v3, off
	v_add_co_u32_e32 v0, vcc, 4, v0
	v_addc_co_u32_e32 v1, vcc, 0, v1, vcc
	s_cbranch_scc1 .LBB24_16
.LBB24_17:
	s_endpgm
	.section	.rodata,"a",@progbits
	.p2align	6, 0x0
	.amdhsa_kernel _ZN4vllm3moe10topkGatingILi1ELi1ELi4ELi4ELi64EjfLNS0_11ScoringFuncE0EEEvPKT5_PKbPfiPT4_PiiiibPKf
		.amdhsa_group_segment_fixed_size 0
		.amdhsa_private_segment_fixed_size 0
		.amdhsa_kernarg_size 72
		.amdhsa_user_sgpr_count 6
		.amdhsa_user_sgpr_private_segment_buffer 1
		.amdhsa_user_sgpr_dispatch_ptr 0
		.amdhsa_user_sgpr_queue_ptr 0
		.amdhsa_user_sgpr_kernarg_segment_ptr 1
		.amdhsa_user_sgpr_dispatch_id 0
		.amdhsa_user_sgpr_flat_scratch_init 0
		.amdhsa_user_sgpr_kernarg_preload_length 0
		.amdhsa_user_sgpr_kernarg_preload_offset 0
		.amdhsa_user_sgpr_private_segment_size 0
		.amdhsa_uses_dynamic_stack 0
		.amdhsa_system_sgpr_private_segment_wavefront_offset 0
		.amdhsa_system_sgpr_workgroup_id_x 1
		.amdhsa_system_sgpr_workgroup_id_y 0
		.amdhsa_system_sgpr_workgroup_id_z 0
		.amdhsa_system_sgpr_workgroup_info 0
		.amdhsa_system_vgpr_workitem_id 1
		.amdhsa_next_free_vgpr 19
		.amdhsa_next_free_sgpr 23
		.amdhsa_accum_offset 20
		.amdhsa_reserve_vcc 1
		.amdhsa_reserve_flat_scratch 0
		.amdhsa_float_round_mode_32 0
		.amdhsa_float_round_mode_16_64 0
		.amdhsa_float_denorm_mode_32 3
		.amdhsa_float_denorm_mode_16_64 3
		.amdhsa_dx10_clamp 1
		.amdhsa_ieee_mode 1
		.amdhsa_fp16_overflow 0
		.amdhsa_tg_split 0
		.amdhsa_exception_fp_ieee_invalid_op 0
		.amdhsa_exception_fp_denorm_src 0
		.amdhsa_exception_fp_ieee_div_zero 0
		.amdhsa_exception_fp_ieee_overflow 0
		.amdhsa_exception_fp_ieee_underflow 0
		.amdhsa_exception_fp_ieee_inexact 0
		.amdhsa_exception_int_div_zero 0
	.end_amdhsa_kernel
	.section	.text._ZN4vllm3moe10topkGatingILi1ELi1ELi4ELi4ELi64EjfLNS0_11ScoringFuncE0EEEvPKT5_PKbPfiPT4_PiiiibPKf,"axG",@progbits,_ZN4vllm3moe10topkGatingILi1ELi1ELi4ELi4ELi64EjfLNS0_11ScoringFuncE0EEEvPKT5_PKbPfiPT4_PiiiibPKf,comdat
.Lfunc_end24:
	.size	_ZN4vllm3moe10topkGatingILi1ELi1ELi4ELi4ELi64EjfLNS0_11ScoringFuncE0EEEvPKT5_PKbPfiPT4_PiiiibPKf, .Lfunc_end24-_ZN4vllm3moe10topkGatingILi1ELi1ELi4ELi4ELi64EjfLNS0_11ScoringFuncE0EEEvPKT5_PKbPfiPT4_PiiiibPKf
                                        ; -- End function
	.section	.AMDGPU.csdata,"",@progbits
; Kernel info:
; codeLenInByte = 1052
; NumSgprs: 27
; NumVgprs: 19
; NumAgprs: 0
; TotalNumVgprs: 19
; ScratchSize: 0
; MemoryBound: 0
; FloatMode: 240
; IeeeMode: 1
; LDSByteSize: 0 bytes/workgroup (compile time only)
; SGPRBlocks: 3
; VGPRBlocks: 2
; NumSGPRsForWavesPerEU: 27
; NumVGPRsForWavesPerEU: 19
; AccumOffset: 20
; Occupancy: 8
; WaveLimiterHint : 0
; COMPUTE_PGM_RSRC2:SCRATCH_EN: 0
; COMPUTE_PGM_RSRC2:USER_SGPR: 6
; COMPUTE_PGM_RSRC2:TRAP_HANDLER: 0
; COMPUTE_PGM_RSRC2:TGID_X_EN: 1
; COMPUTE_PGM_RSRC2:TGID_Y_EN: 0
; COMPUTE_PGM_RSRC2:TGID_Z_EN: 0
; COMPUTE_PGM_RSRC2:TIDIG_COMP_CNT: 1
; COMPUTE_PGM_RSRC3_GFX90A:ACCUM_OFFSET: 4
; COMPUTE_PGM_RSRC3_GFX90A:TG_SPLIT: 0
	.section	.text._ZN4vllm3moe10topkGatingILi1ELi1ELi4ELi4ELi32EjfLNS0_11ScoringFuncE0EEEvPKT5_PKbPfiPT4_PiiiibPKf,"axG",@progbits,_ZN4vllm3moe10topkGatingILi1ELi1ELi4ELi4ELi32EjfLNS0_11ScoringFuncE0EEEvPKT5_PKbPfiPT4_PiiiibPKf,comdat
	.protected	_ZN4vllm3moe10topkGatingILi1ELi1ELi4ELi4ELi32EjfLNS0_11ScoringFuncE0EEEvPKT5_PKbPfiPT4_PiiiibPKf ; -- Begin function _ZN4vllm3moe10topkGatingILi1ELi1ELi4ELi4ELi32EjfLNS0_11ScoringFuncE0EEEvPKT5_PKbPfiPT4_PiiiibPKf
	.globl	_ZN4vllm3moe10topkGatingILi1ELi1ELi4ELi4ELi32EjfLNS0_11ScoringFuncE0EEEvPKT5_PKbPfiPT4_PiiiibPKf
	.p2align	8
	.type	_ZN4vllm3moe10topkGatingILi1ELi1ELi4ELi4ELi32EjfLNS0_11ScoringFuncE0EEEvPKT5_PKbPfiPT4_PiiiibPKf,@function
_ZN4vllm3moe10topkGatingILi1ELi1ELi4ELi4ELi32EjfLNS0_11ScoringFuncE0EEEvPKT5_PKbPfiPT4_PiiiibPKf: ; @_ZN4vllm3moe10topkGatingILi1ELi1ELi4ELi4ELi32EjfLNS0_11ScoringFuncE0EEEvPKT5_PKbPfiPT4_PiiiibPKf
; %bb.0:
	s_load_dword s18, s[4:5], 0x18
	v_bfe_u32 v1, v0, 10, 10
	s_lshl_b32 s0, s6, 7
	v_lshlrev_b32_e32 v1, 5, v1
	v_and_b32_e32 v0, 0x3ff, v0
	v_add3_u32 v0, v1, v0, s0
	s_waitcnt lgkmcnt(0)
	v_cmp_gt_i32_e32 vcc, s18, v0
	s_and_saveexec_b64 s[0:1], vcc
	s_cbranch_execz .LBB25_17
; %bb.1:
	s_load_dwordx4 s[12:15], s[4:5], 0x0
	s_load_dwordx2 s[2:3], s[4:5], 0x10
	v_ashrrev_i32_e32 v1, 31, v0
	s_waitcnt lgkmcnt(0)
	s_cmp_eq_u64 s[14:15], 0
	s_cbranch_scc1 .LBB25_3
; %bb.2:
	v_mov_b32_e32 v3, s15
	v_add_co_u32_e32 v2, vcc, s14, v0
	v_addc_co_u32_e32 v3, vcc, v3, v1, vcc
	global_load_ubyte v2, v[2:3], off
	s_waitcnt vmcnt(0)
	v_and_b32_e32 v2, 1, v2
	v_cmp_eq_u32_e32 vcc, 1, v2
	s_xor_b64 s[0:1], vcc, -1
	s_orn2_b64 s[16:17], s[0:1], exec
	s_branch .LBB25_4
.LBB25_3:
	s_mov_b64 s[16:17], -1
.LBB25_4:
	s_load_dwordx4 s[8:11], s[4:5], 0x30
	s_waitcnt lgkmcnt(0)
	s_bitcmp1_b32 s11, 0
	s_cselect_b64 s[0:1], -1, 0
	s_cmp_gt_i32 s8, 0
	s_cselect_b64 s[14:15], -1, 0
	s_cmp_lt_i32 s8, 1
	s_cbranch_scc1 .LBB25_8
; %bb.5:
	v_lshlrev_b64 v[2:3], 2, v[0:1]
	v_mov_b32_e32 v1, s13
	v_add_co_u32_e32 v2, vcc, s12, v2
	v_addc_co_u32_e32 v3, vcc, v1, v3, vcc
	global_load_dword v4, v[2:3], off
	s_mov_b32 s19, 0x3fb8aa3b
	v_mul_lo_u32 v2, v0, s8
	s_load_dwordx4 s[4:7], s[4:5], 0x20
	s_cmp_lt_i32 s9, 1
	v_ashrrev_i32_e32 v3, 31, v2
	s_cselect_b64 s[12:13], -1, 0
	s_cmp_gt_i32 s10, 0
	v_lshlrev_b64 v[6:7], 2, v[2:3]
	v_mov_b32_e32 v5, s3
	s_cselect_b64 s[10:11], -1, 0
	v_add_co_u32_e32 v2, vcc, s2, v6
	s_sub_i32 s9, 0, s9
	s_and_b64 s[10:11], s[12:13], s[10:11]
	v_addc_co_u32_e32 v3, vcc, v5, v7, vcc
	v_mov_b32_e32 v9, s9
	s_and_b64 vcc, s[16:17], s[10:11]
	v_cndmask_b32_e32 v9, 1, v9, vcc
	s_waitcnt lgkmcnt(0)
	v_mov_b32_e32 v5, s5
	s_mov_b32 s20, 0xc2ce8ed0
	s_mov_b32 s21, 0x42b17218
	v_mov_b32_e32 v10, 0x7f800000
	v_mov_b32_e32 v11, s7
	s_movk_i32 s22, 0x1f8
	v_mov_b32_e32 v1, 0
	v_mov_b32_e32 v8, v0
	s_waitcnt vmcnt(0)
	v_sub_f32_e32 v12, v4, v4
	v_mul_f32_e32 v4, 0x3fb8aa3b, v12
	v_fma_f32 v13, v12, s19, -v4
	v_rndne_f32_e32 v14, v4
	v_fmac_f32_e32 v13, 0x32a5705f, v12
	v_sub_f32_e32 v4, v4, v14
	v_add_f32_e32 v4, v4, v13
	v_cvt_i32_f32_e32 v14, v14
	v_exp_f32_e32 v13, v4
	v_add_co_u32_e32 v4, vcc, s4, v6
	v_addc_co_u32_e32 v5, vcc, v5, v7, vcc
	v_ldexp_f32 v13, v13, v14
	v_cmp_ngt_f32_e32 vcc, s20, v12
	v_cndmask_b32_e32 v13, 0, v13, vcc
	v_cmp_nlt_f32_e32 vcc, s21, v12
	v_cndmask_b32_e32 v10, v10, v13, vcc
	v_div_scale_f32 v12, s[4:5], v10, v10, 1.0
	v_rcp_f32_e32 v13, v12
	v_add_co_u32_e32 v6, vcc, s6, v6
	v_addc_co_u32_e32 v7, vcc, v11, v7, vcc
	v_fma_f32 v14, -v12, v13, 1.0
	v_div_scale_f32 v11, vcc, 1.0, v10, 1.0
	v_fmac_f32_e32 v13, v14, v13
	v_mul_f32_e32 v14, v11, v13
	v_fma_f32 v15, -v12, v14, v11
	v_fmac_f32_e32 v14, v15, v13
	v_fma_f32 v11, -v12, v14, v11
	v_div_fmas_f32 v11, v11, v13, v14
	v_div_fixup_f32 v11, v11, v10, 1.0
	v_mul_f32_e32 v10, v10, v11
	v_cmp_class_f32_e64 vcc, v10, s22
	v_cndmask_b32_e32 v10, 0, v10, vcc
	s_mov_b32 s4, s8
.LBB25_6:                               ; =>This Inner Loop Header: Depth=1
	global_store_dword v[2:3], v10, off
	global_store_dword v[4:5], v9, off
	;; [unrolled: 1-line block ×3, first 2 shown]
	v_add_co_u32_e32 v2, vcc, 4, v2
	v_addc_co_u32_e32 v3, vcc, 0, v3, vcc
	v_add_co_u32_e32 v4, vcc, 4, v4
	v_addc_co_u32_e32 v5, vcc, 0, v5, vcc
	v_add_f32_e32 v11, v1, v10
	s_add_i32 s4, s4, -1
	v_add_co_u32_e32 v6, vcc, 4, v6
	v_cndmask_b32_e64 v1, v1, v11, s[0:1]
	v_add_u32_e32 v8, s18, v8
	s_cmp_lg_u32 s4, 0
	v_addc_co_u32_e32 v7, vcc, 0, v7, vcc
	s_cbranch_scc1 .LBB25_6
; %bb.7:
	s_andn2_b64 vcc, exec, s[0:1]
	s_cbranch_vccz .LBB25_9
	s_branch .LBB25_17
.LBB25_8:
	v_mov_b32_e32 v1, 0
	s_andn2_b64 vcc, exec, s[0:1]
	s_cbranch_vccnz .LBB25_17
.LBB25_9:
	s_andn2_b64 vcc, exec, s[14:15]
	s_cbranch_vccnz .LBB25_17
; %bb.10:
	v_cmp_lt_f32_e32 vcc, 0, v1
	s_mov_b32 s4, 0
	v_cndmask_b32_e32 v2, 1.0, v1, vcc
	v_mul_lo_u32 v0, v0, s8
	s_cmp_eq_u32 s8, 1
	s_mov_b64 s[0:1], -1
	s_cbranch_scc1 .LBB25_14
; %bb.11:
	s_and_b32 s4, s8, 0x7ffffffe
	v_mov_b32_e32 v1, v2
	v_mov_b32_e32 v3, s3
	s_mov_b32 s5, s4
	v_mov_b32_e32 v4, v0
.LBB25_12:                              ; =>This Inner Loop Header: Depth=1
	v_ashrrev_i32_e32 v5, 31, v4
	v_lshlrev_b64 v[6:7], 2, v[4:5]
	v_add_co_u32_e32 v6, vcc, s2, v6
	v_addc_co_u32_e32 v7, vcc, v3, v7, vcc
	global_load_dwordx2 v[8:9], v[6:7], off
	s_add_i32 s5, s5, -2
	s_cmp_lg_u32 s5, 0
	v_add_u32_e32 v4, 2, v4
	s_waitcnt vmcnt(0)
	v_div_scale_f32 v5, s[0:1], v1, v1, v9
	v_div_scale_f32 v11, s[0:1], v2, v2, v8
	v_rcp_f32_e32 v12, v5
	v_rcp_f32_e32 v13, v11
	v_div_scale_f32 v10, vcc, v9, v1, v9
	v_fma_f32 v15, -v5, v12, 1.0
	v_fma_f32 v16, -v11, v13, 1.0
	v_fmac_f32_e32 v12, v15, v12
	v_div_scale_f32 v14, s[0:1], v8, v2, v8
	v_fmac_f32_e32 v13, v16, v13
	v_mul_f32_e32 v15, v10, v12
	v_mul_f32_e32 v16, v14, v13
	v_fma_f32 v17, -v5, v15, v10
	v_fma_f32 v18, -v11, v16, v14
	v_fmac_f32_e32 v15, v17, v12
	v_fmac_f32_e32 v16, v18, v13
	v_fma_f32 v5, -v5, v15, v10
	v_fma_f32 v10, -v11, v16, v14
	v_div_fmas_f32 v5, v5, v12, v15
	s_mov_b64 vcc, s[0:1]
	v_div_fixup_f32 v9, v5, v1, v9
	v_div_fmas_f32 v5, v10, v13, v16
	v_div_fixup_f32 v8, v5, v2, v8
	global_store_dwordx2 v[6:7], v[8:9], off
	s_cbranch_scc1 .LBB25_12
; %bb.13:
	s_cmp_lg_u32 s4, s8
	s_cselect_b64 s[0:1], -1, 0
.LBB25_14:
	s_and_b64 vcc, exec, s[0:1]
	s_cbranch_vccz .LBB25_17
; %bb.15:
	v_ashrrev_i32_e32 v1, 31, v0
	v_add_co_u32_e32 v0, vcc, s4, v0
	v_addc_co_u32_e32 v1, vcc, 0, v1, vcc
	v_lshlrev_b64 v[0:1], 2, v[0:1]
	v_mov_b32_e32 v3, s3
	v_add_co_u32_e32 v0, vcc, s2, v0
	s_sub_i32 s0, s8, s4
	v_addc_co_u32_e32 v1, vcc, v3, v1, vcc
.LBB25_16:                              ; =>This Inner Loop Header: Depth=1
	global_load_dword v3, v[0:1], off
	s_add_i32 s0, s0, -1
	s_cmp_lg_u32 s0, 0
	s_waitcnt vmcnt(0)
	v_div_scale_f32 v4, s[2:3], v2, v2, v3
	v_rcp_f32_e32 v5, v4
	v_div_scale_f32 v6, vcc, v3, v2, v3
	v_fma_f32 v7, -v4, v5, 1.0
	v_fmac_f32_e32 v5, v7, v5
	v_mul_f32_e32 v7, v6, v5
	v_fma_f32 v8, -v4, v7, v6
	v_fmac_f32_e32 v7, v8, v5
	v_fma_f32 v4, -v4, v7, v6
	v_div_fmas_f32 v4, v4, v5, v7
	v_div_fixup_f32 v3, v4, v2, v3
	global_store_dword v[0:1], v3, off
	v_add_co_u32_e32 v0, vcc, 4, v0
	v_addc_co_u32_e32 v1, vcc, 0, v1, vcc
	s_cbranch_scc1 .LBB25_16
.LBB25_17:
	s_endpgm
	.section	.rodata,"a",@progbits
	.p2align	6, 0x0
	.amdhsa_kernel _ZN4vllm3moe10topkGatingILi1ELi1ELi4ELi4ELi32EjfLNS0_11ScoringFuncE0EEEvPKT5_PKbPfiPT4_PiiiibPKf
		.amdhsa_group_segment_fixed_size 0
		.amdhsa_private_segment_fixed_size 0
		.amdhsa_kernarg_size 72
		.amdhsa_user_sgpr_count 6
		.amdhsa_user_sgpr_private_segment_buffer 1
		.amdhsa_user_sgpr_dispatch_ptr 0
		.amdhsa_user_sgpr_queue_ptr 0
		.amdhsa_user_sgpr_kernarg_segment_ptr 1
		.amdhsa_user_sgpr_dispatch_id 0
		.amdhsa_user_sgpr_flat_scratch_init 0
		.amdhsa_user_sgpr_kernarg_preload_length 0
		.amdhsa_user_sgpr_kernarg_preload_offset 0
		.amdhsa_user_sgpr_private_segment_size 0
		.amdhsa_uses_dynamic_stack 0
		.amdhsa_system_sgpr_private_segment_wavefront_offset 0
		.amdhsa_system_sgpr_workgroup_id_x 1
		.amdhsa_system_sgpr_workgroup_id_y 0
		.amdhsa_system_sgpr_workgroup_id_z 0
		.amdhsa_system_sgpr_workgroup_info 0
		.amdhsa_system_vgpr_workitem_id 1
		.amdhsa_next_free_vgpr 19
		.amdhsa_next_free_sgpr 23
		.amdhsa_accum_offset 20
		.amdhsa_reserve_vcc 1
		.amdhsa_reserve_flat_scratch 0
		.amdhsa_float_round_mode_32 0
		.amdhsa_float_round_mode_16_64 0
		.amdhsa_float_denorm_mode_32 3
		.amdhsa_float_denorm_mode_16_64 3
		.amdhsa_dx10_clamp 1
		.amdhsa_ieee_mode 1
		.amdhsa_fp16_overflow 0
		.amdhsa_tg_split 0
		.amdhsa_exception_fp_ieee_invalid_op 0
		.amdhsa_exception_fp_denorm_src 0
		.amdhsa_exception_fp_ieee_div_zero 0
		.amdhsa_exception_fp_ieee_overflow 0
		.amdhsa_exception_fp_ieee_underflow 0
		.amdhsa_exception_fp_ieee_inexact 0
		.amdhsa_exception_int_div_zero 0
	.end_amdhsa_kernel
	.section	.text._ZN4vllm3moe10topkGatingILi1ELi1ELi4ELi4ELi32EjfLNS0_11ScoringFuncE0EEEvPKT5_PKbPfiPT4_PiiiibPKf,"axG",@progbits,_ZN4vllm3moe10topkGatingILi1ELi1ELi4ELi4ELi32EjfLNS0_11ScoringFuncE0EEEvPKT5_PKbPfiPT4_PiiiibPKf,comdat
.Lfunc_end25:
	.size	_ZN4vllm3moe10topkGatingILi1ELi1ELi4ELi4ELi32EjfLNS0_11ScoringFuncE0EEEvPKT5_PKbPfiPT4_PiiiibPKf, .Lfunc_end25-_ZN4vllm3moe10topkGatingILi1ELi1ELi4ELi4ELi32EjfLNS0_11ScoringFuncE0EEEvPKT5_PKbPfiPT4_PiiiibPKf
                                        ; -- End function
	.section	.AMDGPU.csdata,"",@progbits
; Kernel info:
; codeLenInByte = 1052
; NumSgprs: 27
; NumVgprs: 19
; NumAgprs: 0
; TotalNumVgprs: 19
; ScratchSize: 0
; MemoryBound: 0
; FloatMode: 240
; IeeeMode: 1
; LDSByteSize: 0 bytes/workgroup (compile time only)
; SGPRBlocks: 3
; VGPRBlocks: 2
; NumSGPRsForWavesPerEU: 27
; NumVGPRsForWavesPerEU: 19
; AccumOffset: 20
; Occupancy: 8
; WaveLimiterHint : 0
; COMPUTE_PGM_RSRC2:SCRATCH_EN: 0
; COMPUTE_PGM_RSRC2:USER_SGPR: 6
; COMPUTE_PGM_RSRC2:TRAP_HANDLER: 0
; COMPUTE_PGM_RSRC2:TGID_X_EN: 1
; COMPUTE_PGM_RSRC2:TGID_Y_EN: 0
; COMPUTE_PGM_RSRC2:TGID_Z_EN: 0
; COMPUTE_PGM_RSRC2:TIDIG_COMP_CNT: 1
; COMPUTE_PGM_RSRC3_GFX90A:ACCUM_OFFSET: 4
; COMPUTE_PGM_RSRC3_GFX90A:TG_SPLIT: 0
	.section	.text._ZN4vllm3moe10topkGatingILi2ELi2ELi4ELi8ELi64EjfLNS0_11ScoringFuncE0EEEvPKT5_PKbPfiPT4_PiiiibPKf,"axG",@progbits,_ZN4vllm3moe10topkGatingILi2ELi2ELi4ELi8ELi64EjfLNS0_11ScoringFuncE0EEEvPKT5_PKbPfiPT4_PiiiibPKf,comdat
	.protected	_ZN4vllm3moe10topkGatingILi2ELi2ELi4ELi8ELi64EjfLNS0_11ScoringFuncE0EEEvPKT5_PKbPfiPT4_PiiiibPKf ; -- Begin function _ZN4vllm3moe10topkGatingILi2ELi2ELi4ELi8ELi64EjfLNS0_11ScoringFuncE0EEEvPKT5_PKbPfiPT4_PiiiibPKf
	.globl	_ZN4vllm3moe10topkGatingILi2ELi2ELi4ELi8ELi64EjfLNS0_11ScoringFuncE0EEEvPKT5_PKbPfiPT4_PiiiibPKf
	.p2align	8
	.type	_ZN4vllm3moe10topkGatingILi2ELi2ELi4ELi8ELi64EjfLNS0_11ScoringFuncE0EEEvPKT5_PKbPfiPT4_PiiiibPKf,@function
_ZN4vllm3moe10topkGatingILi2ELi2ELi4ELi8ELi64EjfLNS0_11ScoringFuncE0EEEvPKT5_PKbPfiPT4_PiiiibPKf: ; @_ZN4vllm3moe10topkGatingILi2ELi2ELi4ELi8ELi64EjfLNS0_11ScoringFuncE0EEEvPKT5_PKbPfiPT4_PiiiibPKf
; %bb.0:
	s_load_dword s16, s[4:5], 0x18
	v_bfe_u32 v1, v0, 10, 10
	s_lshl_b32 s0, s6, 8
	v_lshlrev_b32_e32 v1, 6, v1
	v_and_b32_e32 v0, 0x3ff, v0
	v_add3_u32 v10, v1, v0, s0
	s_waitcnt lgkmcnt(0)
	v_cmp_gt_i32_e32 vcc, s16, v10
	s_and_saveexec_b64 s[0:1], vcc
	s_cbranch_execz .LBB26_19
; %bb.1:
	s_load_dwordx4 s[0:3], s[4:5], 0x0
	s_load_dwordx2 s[6:7], s[4:5], 0x10
	s_waitcnt lgkmcnt(0)
	s_cmp_eq_u64 s[2:3], 0
	s_cbranch_scc1 .LBB26_3
; %bb.2:
	v_ashrrev_i32_e32 v1, 31, v10
	v_mov_b32_e32 v2, s3
	v_add_co_u32_e32 v0, vcc, s2, v10
	v_addc_co_u32_e32 v1, vcc, v2, v1, vcc
	global_load_ubyte v0, v[0:1], off
	s_waitcnt vmcnt(0)
	v_and_b32_e32 v0, 1, v0
	v_cmp_eq_u32_e32 vcc, 1, v0
	s_xor_b64 s[2:3], vcc, -1
	s_orn2_b64 s[12:13], s[2:3], exec
	s_branch .LBB26_4
.LBB26_3:
	s_mov_b64 s[12:13], -1
.LBB26_4:
	v_lshlrev_b32_e32 v0, 1, v10
	v_ashrrev_i32_e32 v1, 31, v0
	v_lshlrev_b64 v[0:1], 2, v[0:1]
	v_mov_b32_e32 v2, s1
	v_add_co_u32_e32 v0, vcc, s0, v0
	v_addc_co_u32_e32 v1, vcc, v2, v1, vcc
	global_load_dwordx2 v[0:1], v[0:1], off
	s_mov_b32 s2, 0x3fb8aa3b
	s_mov_b32 s3, 0xc2ce8ed0
	;; [unrolled: 1-line block ×3, first 2 shown]
	s_load_dwordx2 s[0:1], s[4:5], 0x40
	s_mov_b32 s9, 0x7f800000
	s_waitcnt lgkmcnt(0)
	s_cmp_eq_u64 s[0:1], 0
	s_waitcnt vmcnt(0)
	v_max_f32_e32 v2, v1, v1
	v_max_f32_e32 v3, v0, v0
	;; [unrolled: 1-line block ×3, first 2 shown]
	v_pk_add_f32 v[0:1], v[0:1], v[2:3] op_sel_hi:[1,0] neg_lo:[0,1] neg_hi:[0,1]
	v_mul_f32_e32 v2, 0x3fb8aa3b, v1
	v_mul_f32_e32 v3, 0x3fb8aa3b, v0
	v_fma_f32 v4, v1, s2, -v2
	v_rndne_f32_e32 v5, v2
	v_fma_f32 v6, v0, s2, -v3
	v_rndne_f32_e32 v7, v3
	v_fmac_f32_e32 v4, 0x32a5705f, v1
	v_sub_f32_e32 v2, v2, v5
	v_fmac_f32_e32 v6, 0x32a5705f, v0
	v_sub_f32_e32 v3, v3, v7
	v_add_f32_e32 v2, v2, v4
	v_cvt_i32_f32_e32 v5, v5
	v_add_f32_e32 v3, v3, v6
	v_exp_f32_e32 v2, v2
	v_cvt_i32_f32_e32 v7, v7
	v_exp_f32_e32 v3, v3
	v_cmp_ngt_f32_e32 vcc, s3, v1
	v_ldexp_f32 v2, v2, v5
	v_cndmask_b32_e32 v2, 0, v2, vcc
	v_ldexp_f32 v3, v3, v7
	v_cmp_ngt_f32_e32 vcc, s3, v0
	v_mov_b32_e32 v4, 0x7f800000
	v_cndmask_b32_e32 v3, 0, v3, vcc
	v_cmp_nlt_f32_e32 vcc, s8, v1
	v_cndmask_b32_e32 v1, v4, v2, vcc
	v_cmp_nlt_f32_e32 vcc, s8, v0
	v_cndmask_b32_e32 v0, v4, v3, vcc
	v_add_f32_e32 v2, v0, v1
	v_div_scale_f32 v3, s[2:3], v2, v2, 1.0
	v_rcp_f32_e32 v4, v3
	v_div_scale_f32 v5, vcc, 1.0, v2, 1.0
	s_movk_i32 s2, 0x1f8
	v_fma_f32 v6, -v3, v4, 1.0
	v_fmac_f32_e32 v4, v6, v4
	v_mul_f32_e32 v6, v5, v4
	v_fma_f32 v7, -v3, v6, v5
	v_fmac_f32_e32 v6, v7, v4
	v_fma_f32 v3, -v3, v6, v5
	v_div_fmas_f32 v3, v3, v4, v6
	v_div_fixup_f32 v2, v3, v2, 1.0
	v_pk_mul_f32 v[0:1], v[2:3], v[0:1] op_sel_hi:[0,1]
	v_cmp_nlg_f32_e64 vcc, |v0|, s9
	v_cndmask_b32_e32 v1, v1, v1, vcc
	v_cndmask_b32_e64 v0, v0, 0, vcc
	v_cmp_class_f32_e64 vcc, v1, s2
	v_cndmask_b32_e32 v1, 0, v1, vcc
	v_pk_mov_b32 v[2:3], v[0:1], v[0:1] op_sel:[0,1]
	s_cbranch_scc1 .LBB26_6
; %bb.5:
	s_load_dwordx2 s[0:1], s[0:1], 0x0
	s_waitcnt lgkmcnt(0)
	v_pk_add_f32 v[2:3], v[0:1], s[0:1]
.LBB26_6:
	s_load_dwordx4 s[8:11], s[4:5], 0x30
	s_waitcnt lgkmcnt(0)
	s_bitcmp1_b32 s11, 0
	s_cselect_b64 vcc, -1, 0
	s_cmp_gt_i32 s8, 0
	s_cselect_b64 s[14:15], -1, 0
	s_cmp_lt_i32 s8, 1
	s_cbranch_scc1 .LBB26_10
; %bb.7:
	s_load_dwordx4 s[20:23], s[4:5], 0x20
	v_mul_lo_u32 v4, v10, s8
	v_ashrrev_i32_e32 v5, 31, v4
	v_lshlrev_b64 v[8:9], 2, v[4:5]
	v_mov_b32_e32 v5, s7
	v_add_co_u32_e64 v4, s[0:1], s6, v8
	v_addc_co_u32_e64 v5, s[0:1], v5, v9, s[0:1]
	s_waitcnt lgkmcnt(0)
	v_mov_b32_e32 v7, s21
	v_add_co_u32_e64 v6, s[0:1], s20, v8
	v_addc_co_u32_e64 v7, s[0:1], v7, v9, s[0:1]
	v_mov_b32_e32 v11, s23
	v_add_co_u32_e64 v8, s[0:1], s22, v8
	v_addc_co_u32_e64 v9, s[0:1], v11, v9, s[0:1]
	s_mov_b32 s11, 0
	v_mov_b32_e32 v11, 0
	v_mov_b32_e32 v12, 0xc61c4000
	;; [unrolled: 1-line block ×3, first 2 shown]
.LBB26_8:                               ; =>This Inner Loop Header: Depth=1
	v_cmp_gt_f32_e64 s[0:1], v3, v2
	v_cndmask_b32_e64 v15, 0, 1, s[0:1]
	v_cmp_le_i32_e64 s[2:3], s9, v15
	v_cmp_gt_i32_e64 s[4:5], s10, v15
	s_and_b64 s[2:3], s[2:3], s[4:5]
	v_cndmask_b32_e64 v14, v0, v1, s[0:1]
	v_subrev_u32_e32 v15, s9, v15
	s_and_b64 s[2:3], s[12:13], s[2:3]
	s_add_i32 s11, s11, 1
	global_store_dword v[4:5], v14, off
	v_cndmask_b32_e64 v15, 2, v15, s[2:3]
	v_add_f32_e32 v14, v11, v14
	s_cmp_lt_i32 s11, s8
	global_store_dword v[6:7], v15, off
	global_store_dword v[8:9], v13, off
	v_cndmask_b32_e32 v11, v11, v14, vcc
	v_cndmask_b32_e64 v14, v12, v2, s[0:1]
	v_cndmask_b32_e64 v15, v3, v12, s[0:1]
	s_cselect_b64 s[0:1], -1, 0
	v_cndmask_b32_e64 v3, v3, v15, s[0:1]
	v_cndmask_b32_e64 v2, v2, v14, s[0:1]
	v_add_co_u32_e64 v4, s[0:1], 4, v4
	v_addc_co_u32_e64 v5, s[0:1], 0, v5, s[0:1]
	v_add_co_u32_e64 v6, s[0:1], 4, v6
	v_addc_co_u32_e64 v7, s[0:1], 0, v7, s[0:1]
	v_add_co_u32_e64 v8, s[0:1], 4, v8
	v_add_u32_e32 v13, s16, v13
	s_cmp_eq_u32 s8, s11
	v_addc_co_u32_e64 v9, s[0:1], 0, v9, s[0:1]
	s_cbranch_scc0 .LBB26_8
; %bb.9:
	s_and_b64 vcc, exec, vcc
	s_cbranch_vccnz .LBB26_11
	s_branch .LBB26_19
.LBB26_10:
	v_mov_b32_e32 v11, 0
	s_and_b64 vcc, exec, vcc
	s_cbranch_vccz .LBB26_19
.LBB26_11:
	s_andn2_b64 vcc, exec, s[14:15]
	s_cbranch_vccnz .LBB26_19
; %bb.12:
	v_cmp_lt_f32_e32 vcc, 0, v11
	s_mov_b32 s2, 0
	v_cndmask_b32_e32 v0, 1.0, v11, vcc
	v_mul_lo_u32 v4, v10, s8
	s_cmp_eq_u32 s8, 1
	s_mov_b64 s[0:1], -1
	s_cbranch_scc1 .LBB26_16
; %bb.13:
	s_and_b32 s2, s8, 0x7ffffffe
	v_mov_b32_e32 v1, v0
	v_mov_b32_e32 v5, s7
	s_mov_b32 s3, s2
	v_mov_b32_e32 v2, v4
.LBB26_14:                              ; =>This Inner Loop Header: Depth=1
	v_ashrrev_i32_e32 v3, 31, v2
	v_lshlrev_b64 v[6:7], 2, v[2:3]
	v_add_co_u32_e32 v6, vcc, s6, v6
	v_addc_co_u32_e32 v7, vcc, v5, v7, vcc
	global_load_dwordx2 v[8:9], v[6:7], off
	s_add_i32 s3, s3, -2
	s_cmp_lg_u32 s3, 0
	v_add_u32_e32 v2, 2, v2
	s_waitcnt vmcnt(0)
	v_div_scale_f32 v3, s[0:1], v1, v1, v9
	v_div_scale_f32 v11, s[0:1], v0, v0, v8
	v_rcp_f32_e32 v12, v3
	v_rcp_f32_e32 v13, v11
	v_div_scale_f32 v10, vcc, v9, v1, v9
	v_fma_f32 v15, -v3, v12, 1.0
	v_fma_f32 v16, -v11, v13, 1.0
	v_fmac_f32_e32 v12, v15, v12
	v_div_scale_f32 v14, s[0:1], v8, v0, v8
	v_fmac_f32_e32 v13, v16, v13
	v_mul_f32_e32 v15, v10, v12
	v_mul_f32_e32 v16, v14, v13
	v_fma_f32 v17, -v3, v15, v10
	v_fma_f32 v18, -v11, v16, v14
	v_fmac_f32_e32 v15, v17, v12
	v_fmac_f32_e32 v16, v18, v13
	v_fma_f32 v3, -v3, v15, v10
	v_fma_f32 v10, -v11, v16, v14
	v_div_fmas_f32 v3, v3, v12, v15
	s_mov_b64 vcc, s[0:1]
	v_div_fixup_f32 v9, v3, v1, v9
	v_div_fmas_f32 v3, v10, v13, v16
	v_div_fixup_f32 v8, v3, v0, v8
	global_store_dwordx2 v[6:7], v[8:9], off
	s_cbranch_scc1 .LBB26_14
; %bb.15:
	s_cmp_lg_u32 s2, s8
	s_cselect_b64 s[0:1], -1, 0
.LBB26_16:
	s_and_b64 vcc, exec, s[0:1]
	s_cbranch_vccz .LBB26_19
; %bb.17:
	v_ashrrev_i32_e32 v1, 31, v4
	v_add_co_u32_e32 v2, vcc, s2, v4
	v_addc_co_u32_e32 v3, vcc, 0, v1, vcc
	v_lshlrev_b64 v[2:3], 2, v[2:3]
	v_mov_b32_e32 v1, s7
	v_add_co_u32_e32 v2, vcc, s6, v2
	s_sub_i32 s0, s8, s2
	v_addc_co_u32_e32 v3, vcc, v1, v3, vcc
.LBB26_18:                              ; =>This Inner Loop Header: Depth=1
	global_load_dword v1, v[2:3], off
	s_add_i32 s0, s0, -1
	s_cmp_lg_u32 s0, 0
	s_waitcnt vmcnt(0)
	v_div_scale_f32 v4, s[2:3], v0, v0, v1
	v_rcp_f32_e32 v5, v4
	v_div_scale_f32 v6, vcc, v1, v0, v1
	v_fma_f32 v7, -v4, v5, 1.0
	v_fmac_f32_e32 v5, v7, v5
	v_mul_f32_e32 v7, v6, v5
	v_fma_f32 v8, -v4, v7, v6
	v_fmac_f32_e32 v7, v8, v5
	v_fma_f32 v4, -v4, v7, v6
	v_div_fmas_f32 v4, v4, v5, v7
	v_div_fixup_f32 v1, v4, v0, v1
	global_store_dword v[2:3], v1, off
	v_add_co_u32_e32 v2, vcc, 4, v2
	v_addc_co_u32_e32 v3, vcc, 0, v3, vcc
	s_cbranch_scc1 .LBB26_18
.LBB26_19:
	s_endpgm
	.section	.rodata,"a",@progbits
	.p2align	6, 0x0
	.amdhsa_kernel _ZN4vllm3moe10topkGatingILi2ELi2ELi4ELi8ELi64EjfLNS0_11ScoringFuncE0EEEvPKT5_PKbPfiPT4_PiiiibPKf
		.amdhsa_group_segment_fixed_size 0
		.amdhsa_private_segment_fixed_size 0
		.amdhsa_kernarg_size 72
		.amdhsa_user_sgpr_count 6
		.amdhsa_user_sgpr_private_segment_buffer 1
		.amdhsa_user_sgpr_dispatch_ptr 0
		.amdhsa_user_sgpr_queue_ptr 0
		.amdhsa_user_sgpr_kernarg_segment_ptr 1
		.amdhsa_user_sgpr_dispatch_id 0
		.amdhsa_user_sgpr_flat_scratch_init 0
		.amdhsa_user_sgpr_kernarg_preload_length 0
		.amdhsa_user_sgpr_kernarg_preload_offset 0
		.amdhsa_user_sgpr_private_segment_size 0
		.amdhsa_uses_dynamic_stack 0
		.amdhsa_system_sgpr_private_segment_wavefront_offset 0
		.amdhsa_system_sgpr_workgroup_id_x 1
		.amdhsa_system_sgpr_workgroup_id_y 0
		.amdhsa_system_sgpr_workgroup_id_z 0
		.amdhsa_system_sgpr_workgroup_info 0
		.amdhsa_system_vgpr_workitem_id 1
		.amdhsa_next_free_vgpr 19
		.amdhsa_next_free_sgpr 24
		.amdhsa_accum_offset 20
		.amdhsa_reserve_vcc 1
		.amdhsa_reserve_flat_scratch 0
		.amdhsa_float_round_mode_32 0
		.amdhsa_float_round_mode_16_64 0
		.amdhsa_float_denorm_mode_32 3
		.amdhsa_float_denorm_mode_16_64 3
		.amdhsa_dx10_clamp 1
		.amdhsa_ieee_mode 1
		.amdhsa_fp16_overflow 0
		.amdhsa_tg_split 0
		.amdhsa_exception_fp_ieee_invalid_op 0
		.amdhsa_exception_fp_denorm_src 0
		.amdhsa_exception_fp_ieee_div_zero 0
		.amdhsa_exception_fp_ieee_overflow 0
		.amdhsa_exception_fp_ieee_underflow 0
		.amdhsa_exception_fp_ieee_inexact 0
		.amdhsa_exception_int_div_zero 0
	.end_amdhsa_kernel
	.section	.text._ZN4vllm3moe10topkGatingILi2ELi2ELi4ELi8ELi64EjfLNS0_11ScoringFuncE0EEEvPKT5_PKbPfiPT4_PiiiibPKf,"axG",@progbits,_ZN4vllm3moe10topkGatingILi2ELi2ELi4ELi8ELi64EjfLNS0_11ScoringFuncE0EEEvPKT5_PKbPfiPT4_PiiiibPKf,comdat
.Lfunc_end26:
	.size	_ZN4vllm3moe10topkGatingILi2ELi2ELi4ELi8ELi64EjfLNS0_11ScoringFuncE0EEEvPKT5_PKbPfiPT4_PiiiibPKf, .Lfunc_end26-_ZN4vllm3moe10topkGatingILi2ELi2ELi4ELi8ELi64EjfLNS0_11ScoringFuncE0EEEvPKT5_PKbPfiPT4_PiiiibPKf
                                        ; -- End function
	.section	.AMDGPU.csdata,"",@progbits
; Kernel info:
; codeLenInByte = 1344
; NumSgprs: 28
; NumVgprs: 19
; NumAgprs: 0
; TotalNumVgprs: 19
; ScratchSize: 0
; MemoryBound: 1
; FloatMode: 240
; IeeeMode: 1
; LDSByteSize: 0 bytes/workgroup (compile time only)
; SGPRBlocks: 3
; VGPRBlocks: 2
; NumSGPRsForWavesPerEU: 28
; NumVGPRsForWavesPerEU: 19
; AccumOffset: 20
; Occupancy: 8
; WaveLimiterHint : 0
; COMPUTE_PGM_RSRC2:SCRATCH_EN: 0
; COMPUTE_PGM_RSRC2:USER_SGPR: 6
; COMPUTE_PGM_RSRC2:TRAP_HANDLER: 0
; COMPUTE_PGM_RSRC2:TGID_X_EN: 1
; COMPUTE_PGM_RSRC2:TGID_Y_EN: 0
; COMPUTE_PGM_RSRC2:TGID_Z_EN: 0
; COMPUTE_PGM_RSRC2:TIDIG_COMP_CNT: 1
; COMPUTE_PGM_RSRC3_GFX90A:ACCUM_OFFSET: 4
; COMPUTE_PGM_RSRC3_GFX90A:TG_SPLIT: 0
	.section	.text._ZN4vllm3moe10topkGatingILi2ELi2ELi4ELi8ELi32EjfLNS0_11ScoringFuncE0EEEvPKT5_PKbPfiPT4_PiiiibPKf,"axG",@progbits,_ZN4vllm3moe10topkGatingILi2ELi2ELi4ELi8ELi32EjfLNS0_11ScoringFuncE0EEEvPKT5_PKbPfiPT4_PiiiibPKf,comdat
	.protected	_ZN4vllm3moe10topkGatingILi2ELi2ELi4ELi8ELi32EjfLNS0_11ScoringFuncE0EEEvPKT5_PKbPfiPT4_PiiiibPKf ; -- Begin function _ZN4vllm3moe10topkGatingILi2ELi2ELi4ELi8ELi32EjfLNS0_11ScoringFuncE0EEEvPKT5_PKbPfiPT4_PiiiibPKf
	.globl	_ZN4vllm3moe10topkGatingILi2ELi2ELi4ELi8ELi32EjfLNS0_11ScoringFuncE0EEEvPKT5_PKbPfiPT4_PiiiibPKf
	.p2align	8
	.type	_ZN4vllm3moe10topkGatingILi2ELi2ELi4ELi8ELi32EjfLNS0_11ScoringFuncE0EEEvPKT5_PKbPfiPT4_PiiiibPKf,@function
_ZN4vllm3moe10topkGatingILi2ELi2ELi4ELi8ELi32EjfLNS0_11ScoringFuncE0EEEvPKT5_PKbPfiPT4_PiiiibPKf: ; @_ZN4vllm3moe10topkGatingILi2ELi2ELi4ELi8ELi32EjfLNS0_11ScoringFuncE0EEEvPKT5_PKbPfiPT4_PiiiibPKf
; %bb.0:
	s_load_dword s16, s[4:5], 0x18
	v_bfe_u32 v1, v0, 10, 10
	s_lshl_b32 s0, s6, 7
	v_lshlrev_b32_e32 v1, 5, v1
	v_and_b32_e32 v0, 0x3ff, v0
	v_add3_u32 v10, v1, v0, s0
	s_waitcnt lgkmcnt(0)
	v_cmp_gt_i32_e32 vcc, s16, v10
	s_and_saveexec_b64 s[0:1], vcc
	s_cbranch_execz .LBB27_19
; %bb.1:
	s_load_dwordx4 s[0:3], s[4:5], 0x0
	s_load_dwordx2 s[6:7], s[4:5], 0x10
	s_waitcnt lgkmcnt(0)
	s_cmp_eq_u64 s[2:3], 0
	s_cbranch_scc1 .LBB27_3
; %bb.2:
	v_ashrrev_i32_e32 v1, 31, v10
	v_mov_b32_e32 v2, s3
	v_add_co_u32_e32 v0, vcc, s2, v10
	v_addc_co_u32_e32 v1, vcc, v2, v1, vcc
	global_load_ubyte v0, v[0:1], off
	s_waitcnt vmcnt(0)
	v_and_b32_e32 v0, 1, v0
	v_cmp_eq_u32_e32 vcc, 1, v0
	s_xor_b64 s[2:3], vcc, -1
	s_orn2_b64 s[12:13], s[2:3], exec
	s_branch .LBB27_4
.LBB27_3:
	s_mov_b64 s[12:13], -1
.LBB27_4:
	v_lshlrev_b32_e32 v0, 1, v10
	v_ashrrev_i32_e32 v1, 31, v0
	v_lshlrev_b64 v[0:1], 2, v[0:1]
	v_mov_b32_e32 v2, s1
	v_add_co_u32_e32 v0, vcc, s0, v0
	v_addc_co_u32_e32 v1, vcc, v2, v1, vcc
	global_load_dwordx2 v[0:1], v[0:1], off
	s_mov_b32 s2, 0x3fb8aa3b
	s_mov_b32 s3, 0xc2ce8ed0
	;; [unrolled: 1-line block ×3, first 2 shown]
	s_load_dwordx2 s[0:1], s[4:5], 0x40
	s_mov_b32 s9, 0x7f800000
	s_waitcnt lgkmcnt(0)
	s_cmp_eq_u64 s[0:1], 0
	s_waitcnt vmcnt(0)
	v_max_f32_e32 v2, v1, v1
	v_max_f32_e32 v3, v0, v0
	;; [unrolled: 1-line block ×3, first 2 shown]
	v_pk_add_f32 v[0:1], v[0:1], v[2:3] op_sel_hi:[1,0] neg_lo:[0,1] neg_hi:[0,1]
	v_mul_f32_e32 v2, 0x3fb8aa3b, v1
	v_mul_f32_e32 v3, 0x3fb8aa3b, v0
	v_fma_f32 v4, v1, s2, -v2
	v_rndne_f32_e32 v5, v2
	v_fma_f32 v6, v0, s2, -v3
	v_rndne_f32_e32 v7, v3
	v_fmac_f32_e32 v4, 0x32a5705f, v1
	v_sub_f32_e32 v2, v2, v5
	v_fmac_f32_e32 v6, 0x32a5705f, v0
	v_sub_f32_e32 v3, v3, v7
	v_add_f32_e32 v2, v2, v4
	v_cvt_i32_f32_e32 v5, v5
	v_add_f32_e32 v3, v3, v6
	v_exp_f32_e32 v2, v2
	v_cvt_i32_f32_e32 v7, v7
	v_exp_f32_e32 v3, v3
	v_cmp_ngt_f32_e32 vcc, s3, v1
	v_ldexp_f32 v2, v2, v5
	v_cndmask_b32_e32 v2, 0, v2, vcc
	v_ldexp_f32 v3, v3, v7
	v_cmp_ngt_f32_e32 vcc, s3, v0
	v_mov_b32_e32 v4, 0x7f800000
	v_cndmask_b32_e32 v3, 0, v3, vcc
	v_cmp_nlt_f32_e32 vcc, s8, v1
	v_cndmask_b32_e32 v1, v4, v2, vcc
	v_cmp_nlt_f32_e32 vcc, s8, v0
	v_cndmask_b32_e32 v0, v4, v3, vcc
	v_add_f32_e32 v2, v0, v1
	v_div_scale_f32 v3, s[2:3], v2, v2, 1.0
	v_rcp_f32_e32 v4, v3
	v_div_scale_f32 v5, vcc, 1.0, v2, 1.0
	s_movk_i32 s2, 0x1f8
	v_fma_f32 v6, -v3, v4, 1.0
	v_fmac_f32_e32 v4, v6, v4
	v_mul_f32_e32 v6, v5, v4
	v_fma_f32 v7, -v3, v6, v5
	v_fmac_f32_e32 v6, v7, v4
	v_fma_f32 v3, -v3, v6, v5
	v_div_fmas_f32 v3, v3, v4, v6
	v_div_fixup_f32 v2, v3, v2, 1.0
	v_pk_mul_f32 v[0:1], v[2:3], v[0:1] op_sel_hi:[0,1]
	v_cmp_nlg_f32_e64 vcc, |v0|, s9
	v_cndmask_b32_e32 v1, v1, v1, vcc
	v_cndmask_b32_e64 v0, v0, 0, vcc
	v_cmp_class_f32_e64 vcc, v1, s2
	v_cndmask_b32_e32 v1, 0, v1, vcc
	v_pk_mov_b32 v[2:3], v[0:1], v[0:1] op_sel:[0,1]
	s_cbranch_scc1 .LBB27_6
; %bb.5:
	s_load_dwordx2 s[0:1], s[0:1], 0x0
	s_waitcnt lgkmcnt(0)
	v_pk_add_f32 v[2:3], v[0:1], s[0:1]
.LBB27_6:
	s_load_dwordx4 s[8:11], s[4:5], 0x30
	s_waitcnt lgkmcnt(0)
	s_bitcmp1_b32 s11, 0
	s_cselect_b64 vcc, -1, 0
	s_cmp_gt_i32 s8, 0
	s_cselect_b64 s[14:15], -1, 0
	s_cmp_lt_i32 s8, 1
	s_cbranch_scc1 .LBB27_10
; %bb.7:
	s_load_dwordx4 s[20:23], s[4:5], 0x20
	v_mul_lo_u32 v4, v10, s8
	v_ashrrev_i32_e32 v5, 31, v4
	v_lshlrev_b64 v[8:9], 2, v[4:5]
	v_mov_b32_e32 v5, s7
	v_add_co_u32_e64 v4, s[0:1], s6, v8
	v_addc_co_u32_e64 v5, s[0:1], v5, v9, s[0:1]
	s_waitcnt lgkmcnt(0)
	v_mov_b32_e32 v7, s21
	v_add_co_u32_e64 v6, s[0:1], s20, v8
	v_addc_co_u32_e64 v7, s[0:1], v7, v9, s[0:1]
	v_mov_b32_e32 v11, s23
	v_add_co_u32_e64 v8, s[0:1], s22, v8
	v_addc_co_u32_e64 v9, s[0:1], v11, v9, s[0:1]
	s_mov_b32 s11, 0
	v_mov_b32_e32 v11, 0
	v_mov_b32_e32 v12, 0xc61c4000
	;; [unrolled: 1-line block ×3, first 2 shown]
.LBB27_8:                               ; =>This Inner Loop Header: Depth=1
	v_cmp_gt_f32_e64 s[0:1], v3, v2
	v_cndmask_b32_e64 v15, 0, 1, s[0:1]
	v_cmp_le_i32_e64 s[2:3], s9, v15
	v_cmp_gt_i32_e64 s[4:5], s10, v15
	s_and_b64 s[2:3], s[2:3], s[4:5]
	v_cndmask_b32_e64 v14, v0, v1, s[0:1]
	v_subrev_u32_e32 v15, s9, v15
	s_and_b64 s[2:3], s[12:13], s[2:3]
	s_add_i32 s11, s11, 1
	global_store_dword v[4:5], v14, off
	v_cndmask_b32_e64 v15, 2, v15, s[2:3]
	v_add_f32_e32 v14, v11, v14
	s_cmp_lt_i32 s11, s8
	global_store_dword v[6:7], v15, off
	global_store_dword v[8:9], v13, off
	v_cndmask_b32_e32 v11, v11, v14, vcc
	v_cndmask_b32_e64 v14, v12, v2, s[0:1]
	v_cndmask_b32_e64 v15, v3, v12, s[0:1]
	s_cselect_b64 s[0:1], -1, 0
	v_cndmask_b32_e64 v3, v3, v15, s[0:1]
	v_cndmask_b32_e64 v2, v2, v14, s[0:1]
	v_add_co_u32_e64 v4, s[0:1], 4, v4
	v_addc_co_u32_e64 v5, s[0:1], 0, v5, s[0:1]
	v_add_co_u32_e64 v6, s[0:1], 4, v6
	v_addc_co_u32_e64 v7, s[0:1], 0, v7, s[0:1]
	v_add_co_u32_e64 v8, s[0:1], 4, v8
	v_add_u32_e32 v13, s16, v13
	s_cmp_eq_u32 s8, s11
	v_addc_co_u32_e64 v9, s[0:1], 0, v9, s[0:1]
	s_cbranch_scc0 .LBB27_8
; %bb.9:
	s_and_b64 vcc, exec, vcc
	s_cbranch_vccnz .LBB27_11
	s_branch .LBB27_19
.LBB27_10:
	v_mov_b32_e32 v11, 0
	s_and_b64 vcc, exec, vcc
	s_cbranch_vccz .LBB27_19
.LBB27_11:
	s_andn2_b64 vcc, exec, s[14:15]
	s_cbranch_vccnz .LBB27_19
; %bb.12:
	v_cmp_lt_f32_e32 vcc, 0, v11
	s_mov_b32 s2, 0
	v_cndmask_b32_e32 v0, 1.0, v11, vcc
	v_mul_lo_u32 v4, v10, s8
	s_cmp_eq_u32 s8, 1
	s_mov_b64 s[0:1], -1
	s_cbranch_scc1 .LBB27_16
; %bb.13:
	s_and_b32 s2, s8, 0x7ffffffe
	v_mov_b32_e32 v1, v0
	v_mov_b32_e32 v5, s7
	s_mov_b32 s3, s2
	v_mov_b32_e32 v2, v4
.LBB27_14:                              ; =>This Inner Loop Header: Depth=1
	v_ashrrev_i32_e32 v3, 31, v2
	v_lshlrev_b64 v[6:7], 2, v[2:3]
	v_add_co_u32_e32 v6, vcc, s6, v6
	v_addc_co_u32_e32 v7, vcc, v5, v7, vcc
	global_load_dwordx2 v[8:9], v[6:7], off
	s_add_i32 s3, s3, -2
	s_cmp_lg_u32 s3, 0
	v_add_u32_e32 v2, 2, v2
	s_waitcnt vmcnt(0)
	v_div_scale_f32 v3, s[0:1], v1, v1, v9
	v_div_scale_f32 v11, s[0:1], v0, v0, v8
	v_rcp_f32_e32 v12, v3
	v_rcp_f32_e32 v13, v11
	v_div_scale_f32 v10, vcc, v9, v1, v9
	v_fma_f32 v15, -v3, v12, 1.0
	v_fma_f32 v16, -v11, v13, 1.0
	v_fmac_f32_e32 v12, v15, v12
	v_div_scale_f32 v14, s[0:1], v8, v0, v8
	v_fmac_f32_e32 v13, v16, v13
	v_mul_f32_e32 v15, v10, v12
	v_mul_f32_e32 v16, v14, v13
	v_fma_f32 v17, -v3, v15, v10
	v_fma_f32 v18, -v11, v16, v14
	v_fmac_f32_e32 v15, v17, v12
	v_fmac_f32_e32 v16, v18, v13
	v_fma_f32 v3, -v3, v15, v10
	v_fma_f32 v10, -v11, v16, v14
	v_div_fmas_f32 v3, v3, v12, v15
	s_mov_b64 vcc, s[0:1]
	v_div_fixup_f32 v9, v3, v1, v9
	v_div_fmas_f32 v3, v10, v13, v16
	v_div_fixup_f32 v8, v3, v0, v8
	global_store_dwordx2 v[6:7], v[8:9], off
	s_cbranch_scc1 .LBB27_14
; %bb.15:
	s_cmp_lg_u32 s2, s8
	s_cselect_b64 s[0:1], -1, 0
.LBB27_16:
	s_and_b64 vcc, exec, s[0:1]
	s_cbranch_vccz .LBB27_19
; %bb.17:
	v_ashrrev_i32_e32 v1, 31, v4
	v_add_co_u32_e32 v2, vcc, s2, v4
	v_addc_co_u32_e32 v3, vcc, 0, v1, vcc
	v_lshlrev_b64 v[2:3], 2, v[2:3]
	v_mov_b32_e32 v1, s7
	v_add_co_u32_e32 v2, vcc, s6, v2
	s_sub_i32 s0, s8, s2
	v_addc_co_u32_e32 v3, vcc, v1, v3, vcc
.LBB27_18:                              ; =>This Inner Loop Header: Depth=1
	global_load_dword v1, v[2:3], off
	s_add_i32 s0, s0, -1
	s_cmp_lg_u32 s0, 0
	s_waitcnt vmcnt(0)
	v_div_scale_f32 v4, s[2:3], v0, v0, v1
	v_rcp_f32_e32 v5, v4
	v_div_scale_f32 v6, vcc, v1, v0, v1
	v_fma_f32 v7, -v4, v5, 1.0
	v_fmac_f32_e32 v5, v7, v5
	v_mul_f32_e32 v7, v6, v5
	v_fma_f32 v8, -v4, v7, v6
	v_fmac_f32_e32 v7, v8, v5
	v_fma_f32 v4, -v4, v7, v6
	v_div_fmas_f32 v4, v4, v5, v7
	v_div_fixup_f32 v1, v4, v0, v1
	global_store_dword v[2:3], v1, off
	v_add_co_u32_e32 v2, vcc, 4, v2
	v_addc_co_u32_e32 v3, vcc, 0, v3, vcc
	s_cbranch_scc1 .LBB27_18
.LBB27_19:
	s_endpgm
	.section	.rodata,"a",@progbits
	.p2align	6, 0x0
	.amdhsa_kernel _ZN4vllm3moe10topkGatingILi2ELi2ELi4ELi8ELi32EjfLNS0_11ScoringFuncE0EEEvPKT5_PKbPfiPT4_PiiiibPKf
		.amdhsa_group_segment_fixed_size 0
		.amdhsa_private_segment_fixed_size 0
		.amdhsa_kernarg_size 72
		.amdhsa_user_sgpr_count 6
		.amdhsa_user_sgpr_private_segment_buffer 1
		.amdhsa_user_sgpr_dispatch_ptr 0
		.amdhsa_user_sgpr_queue_ptr 0
		.amdhsa_user_sgpr_kernarg_segment_ptr 1
		.amdhsa_user_sgpr_dispatch_id 0
		.amdhsa_user_sgpr_flat_scratch_init 0
		.amdhsa_user_sgpr_kernarg_preload_length 0
		.amdhsa_user_sgpr_kernarg_preload_offset 0
		.amdhsa_user_sgpr_private_segment_size 0
		.amdhsa_uses_dynamic_stack 0
		.amdhsa_system_sgpr_private_segment_wavefront_offset 0
		.amdhsa_system_sgpr_workgroup_id_x 1
		.amdhsa_system_sgpr_workgroup_id_y 0
		.amdhsa_system_sgpr_workgroup_id_z 0
		.amdhsa_system_sgpr_workgroup_info 0
		.amdhsa_system_vgpr_workitem_id 1
		.amdhsa_next_free_vgpr 19
		.amdhsa_next_free_sgpr 24
		.amdhsa_accum_offset 20
		.amdhsa_reserve_vcc 1
		.amdhsa_reserve_flat_scratch 0
		.amdhsa_float_round_mode_32 0
		.amdhsa_float_round_mode_16_64 0
		.amdhsa_float_denorm_mode_32 3
		.amdhsa_float_denorm_mode_16_64 3
		.amdhsa_dx10_clamp 1
		.amdhsa_ieee_mode 1
		.amdhsa_fp16_overflow 0
		.amdhsa_tg_split 0
		.amdhsa_exception_fp_ieee_invalid_op 0
		.amdhsa_exception_fp_denorm_src 0
		.amdhsa_exception_fp_ieee_div_zero 0
		.amdhsa_exception_fp_ieee_overflow 0
		.amdhsa_exception_fp_ieee_underflow 0
		.amdhsa_exception_fp_ieee_inexact 0
		.amdhsa_exception_int_div_zero 0
	.end_amdhsa_kernel
	.section	.text._ZN4vllm3moe10topkGatingILi2ELi2ELi4ELi8ELi32EjfLNS0_11ScoringFuncE0EEEvPKT5_PKbPfiPT4_PiiiibPKf,"axG",@progbits,_ZN4vllm3moe10topkGatingILi2ELi2ELi4ELi8ELi32EjfLNS0_11ScoringFuncE0EEEvPKT5_PKbPfiPT4_PiiiibPKf,comdat
.Lfunc_end27:
	.size	_ZN4vllm3moe10topkGatingILi2ELi2ELi4ELi8ELi32EjfLNS0_11ScoringFuncE0EEEvPKT5_PKbPfiPT4_PiiiibPKf, .Lfunc_end27-_ZN4vllm3moe10topkGatingILi2ELi2ELi4ELi8ELi32EjfLNS0_11ScoringFuncE0EEEvPKT5_PKbPfiPT4_PiiiibPKf
                                        ; -- End function
	.section	.AMDGPU.csdata,"",@progbits
; Kernel info:
; codeLenInByte = 1344
; NumSgprs: 28
; NumVgprs: 19
; NumAgprs: 0
; TotalNumVgprs: 19
; ScratchSize: 0
; MemoryBound: 1
; FloatMode: 240
; IeeeMode: 1
; LDSByteSize: 0 bytes/workgroup (compile time only)
; SGPRBlocks: 3
; VGPRBlocks: 2
; NumSGPRsForWavesPerEU: 28
; NumVGPRsForWavesPerEU: 19
; AccumOffset: 20
; Occupancy: 8
; WaveLimiterHint : 0
; COMPUTE_PGM_RSRC2:SCRATCH_EN: 0
; COMPUTE_PGM_RSRC2:USER_SGPR: 6
; COMPUTE_PGM_RSRC2:TRAP_HANDLER: 0
; COMPUTE_PGM_RSRC2:TGID_X_EN: 1
; COMPUTE_PGM_RSRC2:TGID_Y_EN: 0
; COMPUTE_PGM_RSRC2:TGID_Z_EN: 0
; COMPUTE_PGM_RSRC2:TIDIG_COMP_CNT: 1
; COMPUTE_PGM_RSRC3_GFX90A:ACCUM_OFFSET: 4
; COMPUTE_PGM_RSRC3_GFX90A:TG_SPLIT: 0
	.section	.text._ZN4vllm3moe10topkGatingILi4ELi4ELi4ELi16ELi64EjfLNS0_11ScoringFuncE0EEEvPKT5_PKbPfiPT4_PiiiibPKf,"axG",@progbits,_ZN4vllm3moe10topkGatingILi4ELi4ELi4ELi16ELi64EjfLNS0_11ScoringFuncE0EEEvPKT5_PKbPfiPT4_PiiiibPKf,comdat
	.protected	_ZN4vllm3moe10topkGatingILi4ELi4ELi4ELi16ELi64EjfLNS0_11ScoringFuncE0EEEvPKT5_PKbPfiPT4_PiiiibPKf ; -- Begin function _ZN4vllm3moe10topkGatingILi4ELi4ELi4ELi16ELi64EjfLNS0_11ScoringFuncE0EEEvPKT5_PKbPfiPT4_PiiiibPKf
	.globl	_ZN4vllm3moe10topkGatingILi4ELi4ELi4ELi16ELi64EjfLNS0_11ScoringFuncE0EEEvPKT5_PKbPfiPT4_PiiiibPKf
	.p2align	8
	.type	_ZN4vllm3moe10topkGatingILi4ELi4ELi4ELi16ELi64EjfLNS0_11ScoringFuncE0EEEvPKT5_PKbPfiPT4_PiiiibPKf,@function
_ZN4vllm3moe10topkGatingILi4ELi4ELi4ELi16ELi64EjfLNS0_11ScoringFuncE0EEEvPKT5_PKbPfiPT4_PiiiibPKf: ; @_ZN4vllm3moe10topkGatingILi4ELi4ELi4ELi16ELi64EjfLNS0_11ScoringFuncE0EEEvPKT5_PKbPfiPT4_PiiiibPKf
; %bb.0:
	s_load_dword s16, s[4:5], 0x18
	v_bfe_u32 v1, v0, 10, 10
	s_lshl_b32 s0, s6, 8
	v_lshlrev_b32_e32 v1, 6, v1
	v_and_b32_e32 v0, 0x3ff, v0
	v_add3_u32 v14, v1, v0, s0
	s_waitcnt lgkmcnt(0)
	v_cmp_gt_i32_e32 vcc, s16, v14
	s_and_saveexec_b64 s[0:1], vcc
	s_cbranch_execz .LBB28_20
; %bb.1:
	s_load_dwordx4 s[0:3], s[4:5], 0x0
	s_load_dwordx2 s[6:7], s[4:5], 0x10
	s_mov_b64 s[8:9], -1
	s_mov_b64 s[12:13], -1
	s_waitcnt lgkmcnt(0)
	s_cmp_eq_u64 s[2:3], 0
	s_cbranch_scc1 .LBB28_3
; %bb.2:
	v_ashrrev_i32_e32 v1, 31, v14
	v_mov_b32_e32 v2, s3
	v_add_co_u32_e32 v0, vcc, s2, v14
	v_addc_co_u32_e32 v1, vcc, v2, v1, vcc
	global_load_ubyte v0, v[0:1], off
	s_waitcnt vmcnt(0)
	v_and_b32_e32 v0, 1, v0
	v_cmp_eq_u32_e32 vcc, 1, v0
	s_xor_b64 s[2:3], vcc, -1
	s_orn2_b64 s[12:13], s[2:3], exec
.LBB28_3:
	v_lshlrev_b32_e32 v0, 2, v14
	v_ashrrev_i32_e32 v1, 31, v0
	v_lshlrev_b64 v[0:1], 2, v[0:1]
	v_mov_b32_e32 v2, s1
	v_add_co_u32_e32 v0, vcc, s0, v0
	v_addc_co_u32_e32 v1, vcc, v2, v1, vcc
	global_load_dwordx4 v[0:3], v[0:1], off
	v_mov_b32_e32 v5, 0x7f800000
	s_mov_b32 s2, 0x3fb8aa3b
	s_mov_b32 s3, 0xc2ce8ed0
	;; [unrolled: 1-line block ×3, first 2 shown]
	s_load_dwordx2 s[0:1], s[4:5], 0x40
	v_mov_b32_e32 v6, 0x207
	s_waitcnt lgkmcnt(0)
	s_cmp_eq_u64 s[0:1], 0
	s_waitcnt vmcnt(0)
	v_max_f32_e32 v4, v1, v1
	v_max_f32_e32 v7, v0, v0
	;; [unrolled: 1-line block ×3, first 2 shown]
	v_max3_f32 v4, v4, v2, v3
	v_pk_add_f32 v[0:1], v[0:1], v[4:5] op_sel_hi:[1,0] neg_lo:[0,1] neg_hi:[0,1]
	v_pk_add_f32 v[2:3], v[2:3], v[4:5] op_sel_hi:[1,0] neg_lo:[0,1] neg_hi:[0,1]
	v_mul_f32_e32 v4, 0x3fb8aa3b, v1
	v_mul_f32_e32 v7, 0x3fb8aa3b, v0
	v_fma_f32 v10, v1, s2, -v4
	v_rndne_f32_e32 v11, v4
	v_mul_f32_e32 v8, 0x3fb8aa3b, v3
	v_fma_f32 v12, v0, s2, -v7
	v_rndne_f32_e32 v13, v7
	v_fmac_f32_e32 v10, 0x32a5705f, v1
	v_sub_f32_e32 v4, v4, v11
	v_mul_f32_e32 v9, 0x3fb8aa3b, v2
	v_fma_f32 v15, v3, s2, -v8
	v_rndne_f32_e32 v16, v8
	v_fmac_f32_e32 v12, 0x32a5705f, v0
	v_sub_f32_e32 v7, v7, v13
	v_add_f32_e32 v4, v4, v10
	v_fma_f32 v17, v2, s2, -v9
	v_rndne_f32_e32 v18, v9
	v_cvt_i32_f32_e32 v11, v11
	v_fmac_f32_e32 v15, 0x32a5705f, v3
	v_sub_f32_e32 v8, v8, v16
	v_add_f32_e32 v7, v7, v12
	v_exp_f32_e32 v4, v4
	v_cvt_i32_f32_e32 v13, v13
	v_fmac_f32_e32 v17, 0x32a5705f, v2
	v_sub_f32_e32 v9, v9, v18
	v_add_f32_e32 v8, v8, v15
	v_exp_f32_e32 v7, v7
	v_cvt_i32_f32_e32 v16, v16
	v_add_f32_e32 v9, v9, v17
	v_exp_f32_e32 v8, v8
	v_cvt_i32_f32_e32 v18, v18
	v_exp_f32_e32 v9, v9
	v_ldexp_f32 v4, v4, v11
	v_cmp_ngt_f32_e32 vcc, s3, v1
	v_ldexp_f32 v7, v7, v13
	v_cndmask_b32_e32 v4, 0, v4, vcc
	v_cmp_ngt_f32_e32 vcc, s3, v0
	v_ldexp_f32 v8, v8, v16
	v_cndmask_b32_e32 v7, 0, v7, vcc
	;; [unrolled: 3-line block ×3, first 2 shown]
	v_cmp_ngt_f32_e32 vcc, s3, v2
	v_cndmask_b32_e32 v9, 0, v9, vcc
	v_cmp_nlt_f32_e32 vcc, s10, v1
	v_cndmask_b32_e32 v1, v5, v4, vcc
	v_cmp_nlt_f32_e32 vcc, s10, v0
	;; [unrolled: 2-line block ×4, first 2 shown]
	v_cndmask_b32_e32 v2, v5, v9, vcc
	v_add_f32_e32 v4, v0, v1
	v_add_f32_e32 v4, v4, v2
	;; [unrolled: 1-line block ×3, first 2 shown]
	v_div_scale_f32 v5, s[2:3], v4, v4, 1.0
	v_rcp_f32_e32 v7, v5
	v_div_scale_f32 v8, vcc, 1.0, v4, 1.0
	v_fma_f32 v9, -v5, v7, 1.0
	v_fmac_f32_e32 v7, v9, v7
	v_mul_f32_e32 v9, v8, v7
	v_fma_f32 v10, -v5, v9, v8
	v_fmac_f32_e32 v9, v10, v7
	v_fma_f32 v5, -v5, v9, v8
	v_div_fmas_f32 v5, v5, v7, v9
	v_div_fixup_f32 v4, v5, v4, 1.0
	v_pk_mul_f32 v[0:1], v[4:5], v[0:1] op_sel_hi:[0,1]
	v_cmp_class_f32_e32 vcc, v1, v6
	v_pk_mul_f32 v[2:3], v[4:5], v[2:3] op_sel_hi:[0,1]
	v_cndmask_b32_e64 v1, v1, 0, vcc
	v_cmp_class_f32_e32 vcc, v0, v6
	v_cndmask_b32_e64 v0, v0, 0, vcc
	v_cmp_class_f32_e32 vcc, v3, v6
	;; [unrolled: 2-line block ×3, first 2 shown]
	v_cndmask_b32_e64 v2, v2, 0, vcc
	s_cbranch_scc1 .LBB28_10
; %bb.4:
	s_load_dwordx4 s[0:3], s[0:1], 0x0
	s_waitcnt lgkmcnt(0)
	v_pk_add_f32 v[4:5], s[0:1], v[0:1]
	v_pk_add_f32 v[6:7], s[2:3], v[2:3]
	s_cbranch_execnz .LBB28_6
.LBB28_5:
	v_pk_mov_b32 v[6:7], v[2:3], v[2:3] op_sel:[0,1]
	v_pk_mov_b32 v[4:5], v[0:1], v[0:1] op_sel:[0,1]
.LBB28_6:
	s_load_dwordx4 s[8:11], s[4:5], 0x30
	s_waitcnt lgkmcnt(0)
	s_bitcmp1_b32 s11, 0
	s_cselect_b64 vcc, -1, 0
	s_cmp_gt_i32 s8, 0
	s_cselect_b64 s[14:15], -1, 0
	s_cmp_lt_i32 s8, 1
	s_mov_b32 s11, 0
	s_cbranch_scc1 .LBB28_11
; %bb.7:
	s_load_dwordx4 s[20:23], s[4:5], 0x20
	v_mul_lo_u32 v8, v14, s8
	v_ashrrev_i32_e32 v9, 31, v8
	v_lshlrev_b64 v[12:13], 2, v[8:9]
	v_mov_b32_e32 v9, s7
	v_add_co_u32_e64 v8, s[0:1], s6, v12
	v_addc_co_u32_e64 v9, s[0:1], v9, v13, s[0:1]
	s_waitcnt lgkmcnt(0)
	v_mov_b32_e32 v11, s21
	v_add_co_u32_e64 v10, s[0:1], s20, v12
	v_addc_co_u32_e64 v11, s[0:1], v11, v13, s[0:1]
	v_mov_b32_e32 v15, s23
	v_add_co_u32_e64 v12, s[0:1], s22, v12
	v_addc_co_u32_e64 v13, s[0:1], v15, v13, s[0:1]
	v_mov_b32_e32 v15, 0
	v_mov_b32_e32 v16, 0xc61c4000
	;; [unrolled: 1-line block ×3, first 2 shown]
.LBB28_8:                               ; =>This Inner Loop Header: Depth=1
	v_cmp_gt_f32_e64 s[0:1], v5, v4
	v_cndmask_b32_e64 v18, v4, v5, s[0:1]
	v_cndmask_b32_e64 v19, v0, v1, s[0:1]
	v_cndmask_b32_e64 v20, 0, 1, s[0:1]
	v_cmp_gt_f32_e64 s[0:1], v6, v18
	v_cndmask_b32_e64 v18, v18, v6, s[0:1]
	v_cndmask_b32_e64 v19, v19, v2, s[0:1]
	;; [unrolled: 1-line block ×3, first 2 shown]
	v_cmp_gt_f32_e64 s[0:1], v7, v18
	v_cndmask_b32_e64 v18, v19, v3, s[0:1]
	v_cndmask_b32_e64 v19, v20, 3, s[0:1]
	v_cmp_le_i32_e64 s[0:1], s9, v19
	v_cmp_gt_i32_e64 s[2:3], s10, v19
	s_and_b64 s[0:1], s[0:1], s[2:3]
	v_subrev_u32_e32 v20, s9, v19
	s_and_b64 s[0:1], s[12:13], s[0:1]
	global_store_dword v[8:9], v18, off
	v_cndmask_b32_e64 v20, 4, v20, s[0:1]
	v_add_f32_e32 v18, v15, v18
	v_cmp_ne_u32_e64 s[0:1], 0, v19
	v_cndmask_b32_e32 v15, v15, v18, vcc
	v_cndmask_b32_e64 v18, v16, v4, s[0:1]
	v_cmp_ne_u32_e64 s[0:1], 1, v19
	global_store_dword v[10:11], v20, off
	global_store_dword v[12:13], v17, off
	s_add_i32 s11, s11, 1
	v_cndmask_b32_e64 v20, v16, v5, s[0:1]
	v_cmp_ne_u32_e64 s[0:1], 2, v19
	s_cmp_lt_i32 s11, s8
	v_cndmask_b32_e64 v21, v16, v6, s[0:1]
	v_cmp_ne_u32_e64 s[0:1], 3, v19
	v_cndmask_b32_e64 v19, v16, v7, s[0:1]
	s_cselect_b64 s[0:1], -1, 0
	v_cndmask_b32_e64 v7, v7, v19, s[0:1]
	v_cndmask_b32_e64 v6, v6, v21, s[0:1]
	;; [unrolled: 1-line block ×4, first 2 shown]
	v_add_co_u32_e64 v8, s[0:1], 4, v8
	v_addc_co_u32_e64 v9, s[0:1], 0, v9, s[0:1]
	v_add_co_u32_e64 v10, s[0:1], 4, v10
	v_addc_co_u32_e64 v11, s[0:1], 0, v11, s[0:1]
	v_add_co_u32_e64 v12, s[0:1], 4, v12
	v_add_u32_e32 v17, s16, v17
	s_cmp_eq_u32 s8, s11
	v_addc_co_u32_e64 v13, s[0:1], 0, v13, s[0:1]
	s_cbranch_scc0 .LBB28_8
; %bb.9:
	s_and_b64 vcc, exec, vcc
	s_cbranch_vccnz .LBB28_12
	s_branch .LBB28_20
.LBB28_10:
                                        ; implicit-def: $vgpr4_vgpr5_vgpr6_vgpr7
	s_andn2_b64 vcc, exec, s[8:9]
	s_cbranch_vccz .LBB28_5
	s_branch .LBB28_6
.LBB28_11:
	v_mov_b32_e32 v15, 0
	s_and_b64 vcc, exec, vcc
	s_cbranch_vccz .LBB28_20
.LBB28_12:
	s_andn2_b64 vcc, exec, s[14:15]
	s_cbranch_vccnz .LBB28_20
; %bb.13:
	v_cmp_lt_f32_e32 vcc, 0, v15
	s_mov_b32 s2, 0
	v_cndmask_b32_e32 v0, 1.0, v15, vcc
	v_mul_lo_u32 v4, v14, s8
	s_cmp_eq_u32 s8, 1
	s_mov_b64 s[0:1], -1
	s_cbranch_scc1 .LBB28_17
; %bb.14:
	s_and_b32 s2, s8, 0x7ffffffe
	v_mov_b32_e32 v1, v0
	v_mov_b32_e32 v5, s7
	s_mov_b32 s3, s2
	v_mov_b32_e32 v2, v4
.LBB28_15:                              ; =>This Inner Loop Header: Depth=1
	v_ashrrev_i32_e32 v3, 31, v2
	v_lshlrev_b64 v[6:7], 2, v[2:3]
	v_add_co_u32_e32 v6, vcc, s6, v6
	v_addc_co_u32_e32 v7, vcc, v5, v7, vcc
	global_load_dwordx2 v[8:9], v[6:7], off
	s_add_i32 s3, s3, -2
	s_cmp_lg_u32 s3, 0
	v_add_u32_e32 v2, 2, v2
	s_waitcnt vmcnt(0)
	v_div_scale_f32 v3, s[0:1], v1, v1, v9
	v_div_scale_f32 v11, s[0:1], v0, v0, v8
	v_rcp_f32_e32 v12, v3
	v_rcp_f32_e32 v13, v11
	v_div_scale_f32 v10, vcc, v9, v1, v9
	v_fma_f32 v15, -v3, v12, 1.0
	v_fma_f32 v16, -v11, v13, 1.0
	v_fmac_f32_e32 v12, v15, v12
	v_div_scale_f32 v14, s[0:1], v8, v0, v8
	v_fmac_f32_e32 v13, v16, v13
	v_mul_f32_e32 v15, v10, v12
	v_mul_f32_e32 v16, v14, v13
	v_fma_f32 v17, -v3, v15, v10
	v_fma_f32 v18, -v11, v16, v14
	v_fmac_f32_e32 v15, v17, v12
	v_fmac_f32_e32 v16, v18, v13
	v_fma_f32 v3, -v3, v15, v10
	v_fma_f32 v10, -v11, v16, v14
	v_div_fmas_f32 v3, v3, v12, v15
	s_mov_b64 vcc, s[0:1]
	v_div_fixup_f32 v9, v3, v1, v9
	v_div_fmas_f32 v3, v10, v13, v16
	v_div_fixup_f32 v8, v3, v0, v8
	global_store_dwordx2 v[6:7], v[8:9], off
	s_cbranch_scc1 .LBB28_15
; %bb.16:
	s_cmp_lg_u32 s2, s8
	s_cselect_b64 s[0:1], -1, 0
.LBB28_17:
	s_and_b64 vcc, exec, s[0:1]
	s_cbranch_vccz .LBB28_20
; %bb.18:
	v_ashrrev_i32_e32 v1, 31, v4
	v_add_co_u32_e32 v2, vcc, s2, v4
	v_addc_co_u32_e32 v3, vcc, 0, v1, vcc
	v_lshlrev_b64 v[2:3], 2, v[2:3]
	v_mov_b32_e32 v1, s7
	v_add_co_u32_e32 v2, vcc, s6, v2
	s_sub_i32 s0, s8, s2
	v_addc_co_u32_e32 v3, vcc, v1, v3, vcc
.LBB28_19:                              ; =>This Inner Loop Header: Depth=1
	global_load_dword v1, v[2:3], off
	s_add_i32 s0, s0, -1
	s_cmp_lg_u32 s0, 0
	s_waitcnt vmcnt(0)
	v_div_scale_f32 v4, s[2:3], v0, v0, v1
	v_rcp_f32_e32 v5, v4
	v_div_scale_f32 v6, vcc, v1, v0, v1
	v_fma_f32 v7, -v4, v5, 1.0
	v_fmac_f32_e32 v5, v7, v5
	v_mul_f32_e32 v7, v6, v5
	v_fma_f32 v8, -v4, v7, v6
	v_fmac_f32_e32 v7, v8, v5
	v_fma_f32 v4, -v4, v7, v6
	v_div_fmas_f32 v4, v4, v5, v7
	v_div_fixup_f32 v1, v4, v0, v1
	global_store_dword v[2:3], v1, off
	v_add_co_u32_e32 v2, vcc, 4, v2
	v_addc_co_u32_e32 v3, vcc, 0, v3, vcc
	s_cbranch_scc1 .LBB28_19
.LBB28_20:
	s_endpgm
	.section	.rodata,"a",@progbits
	.p2align	6, 0x0
	.amdhsa_kernel _ZN4vllm3moe10topkGatingILi4ELi4ELi4ELi16ELi64EjfLNS0_11ScoringFuncE0EEEvPKT5_PKbPfiPT4_PiiiibPKf
		.amdhsa_group_segment_fixed_size 0
		.amdhsa_private_segment_fixed_size 0
		.amdhsa_kernarg_size 72
		.amdhsa_user_sgpr_count 6
		.amdhsa_user_sgpr_private_segment_buffer 1
		.amdhsa_user_sgpr_dispatch_ptr 0
		.amdhsa_user_sgpr_queue_ptr 0
		.amdhsa_user_sgpr_kernarg_segment_ptr 1
		.amdhsa_user_sgpr_dispatch_id 0
		.amdhsa_user_sgpr_flat_scratch_init 0
		.amdhsa_user_sgpr_kernarg_preload_length 0
		.amdhsa_user_sgpr_kernarg_preload_offset 0
		.amdhsa_user_sgpr_private_segment_size 0
		.amdhsa_uses_dynamic_stack 0
		.amdhsa_system_sgpr_private_segment_wavefront_offset 0
		.amdhsa_system_sgpr_workgroup_id_x 1
		.amdhsa_system_sgpr_workgroup_id_y 0
		.amdhsa_system_sgpr_workgroup_id_z 0
		.amdhsa_system_sgpr_workgroup_info 0
		.amdhsa_system_vgpr_workitem_id 1
		.amdhsa_next_free_vgpr 22
		.amdhsa_next_free_sgpr 24
		.amdhsa_accum_offset 24
		.amdhsa_reserve_vcc 1
		.amdhsa_reserve_flat_scratch 0
		.amdhsa_float_round_mode_32 0
		.amdhsa_float_round_mode_16_64 0
		.amdhsa_float_denorm_mode_32 3
		.amdhsa_float_denorm_mode_16_64 3
		.amdhsa_dx10_clamp 1
		.amdhsa_ieee_mode 1
		.amdhsa_fp16_overflow 0
		.amdhsa_tg_split 0
		.amdhsa_exception_fp_ieee_invalid_op 0
		.amdhsa_exception_fp_denorm_src 0
		.amdhsa_exception_fp_ieee_div_zero 0
		.amdhsa_exception_fp_ieee_overflow 0
		.amdhsa_exception_fp_ieee_underflow 0
		.amdhsa_exception_fp_ieee_inexact 0
		.amdhsa_exception_int_div_zero 0
	.end_amdhsa_kernel
	.section	.text._ZN4vllm3moe10topkGatingILi4ELi4ELi4ELi16ELi64EjfLNS0_11ScoringFuncE0EEEvPKT5_PKbPfiPT4_PiiiibPKf,"axG",@progbits,_ZN4vllm3moe10topkGatingILi4ELi4ELi4ELi16ELi64EjfLNS0_11ScoringFuncE0EEEvPKT5_PKbPfiPT4_PiiiibPKf,comdat
.Lfunc_end28:
	.size	_ZN4vllm3moe10topkGatingILi4ELi4ELi4ELi16ELi64EjfLNS0_11ScoringFuncE0EEEvPKT5_PKbPfiPT4_PiiiibPKf, .Lfunc_end28-_ZN4vllm3moe10topkGatingILi4ELi4ELi4ELi16ELi64EjfLNS0_11ScoringFuncE0EEEvPKT5_PKbPfiPT4_PiiiibPKf
                                        ; -- End function
	.section	.AMDGPU.csdata,"",@progbits
; Kernel info:
; codeLenInByte = 1684
; NumSgprs: 28
; NumVgprs: 22
; NumAgprs: 0
; TotalNumVgprs: 22
; ScratchSize: 0
; MemoryBound: 1
; FloatMode: 240
; IeeeMode: 1
; LDSByteSize: 0 bytes/workgroup (compile time only)
; SGPRBlocks: 3
; VGPRBlocks: 2
; NumSGPRsForWavesPerEU: 28
; NumVGPRsForWavesPerEU: 22
; AccumOffset: 24
; Occupancy: 8
; WaveLimiterHint : 0
; COMPUTE_PGM_RSRC2:SCRATCH_EN: 0
; COMPUTE_PGM_RSRC2:USER_SGPR: 6
; COMPUTE_PGM_RSRC2:TRAP_HANDLER: 0
; COMPUTE_PGM_RSRC2:TGID_X_EN: 1
; COMPUTE_PGM_RSRC2:TGID_Y_EN: 0
; COMPUTE_PGM_RSRC2:TGID_Z_EN: 0
; COMPUTE_PGM_RSRC2:TIDIG_COMP_CNT: 1
; COMPUTE_PGM_RSRC3_GFX90A:ACCUM_OFFSET: 5
; COMPUTE_PGM_RSRC3_GFX90A:TG_SPLIT: 0
	.section	.text._ZN4vllm3moe10topkGatingILi4ELi4ELi4ELi16ELi32EjfLNS0_11ScoringFuncE0EEEvPKT5_PKbPfiPT4_PiiiibPKf,"axG",@progbits,_ZN4vllm3moe10topkGatingILi4ELi4ELi4ELi16ELi32EjfLNS0_11ScoringFuncE0EEEvPKT5_PKbPfiPT4_PiiiibPKf,comdat
	.protected	_ZN4vllm3moe10topkGatingILi4ELi4ELi4ELi16ELi32EjfLNS0_11ScoringFuncE0EEEvPKT5_PKbPfiPT4_PiiiibPKf ; -- Begin function _ZN4vllm3moe10topkGatingILi4ELi4ELi4ELi16ELi32EjfLNS0_11ScoringFuncE0EEEvPKT5_PKbPfiPT4_PiiiibPKf
	.globl	_ZN4vllm3moe10topkGatingILi4ELi4ELi4ELi16ELi32EjfLNS0_11ScoringFuncE0EEEvPKT5_PKbPfiPT4_PiiiibPKf
	.p2align	8
	.type	_ZN4vllm3moe10topkGatingILi4ELi4ELi4ELi16ELi32EjfLNS0_11ScoringFuncE0EEEvPKT5_PKbPfiPT4_PiiiibPKf,@function
_ZN4vllm3moe10topkGatingILi4ELi4ELi4ELi16ELi32EjfLNS0_11ScoringFuncE0EEEvPKT5_PKbPfiPT4_PiiiibPKf: ; @_ZN4vllm3moe10topkGatingILi4ELi4ELi4ELi16ELi32EjfLNS0_11ScoringFuncE0EEEvPKT5_PKbPfiPT4_PiiiibPKf
; %bb.0:
	s_load_dword s16, s[4:5], 0x18
	v_bfe_u32 v1, v0, 10, 10
	s_lshl_b32 s0, s6, 7
	v_lshlrev_b32_e32 v1, 5, v1
	v_and_b32_e32 v0, 0x3ff, v0
	v_add3_u32 v14, v1, v0, s0
	s_waitcnt lgkmcnt(0)
	v_cmp_gt_i32_e32 vcc, s16, v14
	s_and_saveexec_b64 s[0:1], vcc
	s_cbranch_execz .LBB29_20
; %bb.1:
	s_load_dwordx4 s[0:3], s[4:5], 0x0
	s_load_dwordx2 s[6:7], s[4:5], 0x10
	s_mov_b64 s[8:9], -1
	s_mov_b64 s[12:13], -1
	s_waitcnt lgkmcnt(0)
	s_cmp_eq_u64 s[2:3], 0
	s_cbranch_scc1 .LBB29_3
; %bb.2:
	v_ashrrev_i32_e32 v1, 31, v14
	v_mov_b32_e32 v2, s3
	v_add_co_u32_e32 v0, vcc, s2, v14
	v_addc_co_u32_e32 v1, vcc, v2, v1, vcc
	global_load_ubyte v0, v[0:1], off
	s_waitcnt vmcnt(0)
	v_and_b32_e32 v0, 1, v0
	v_cmp_eq_u32_e32 vcc, 1, v0
	s_xor_b64 s[2:3], vcc, -1
	s_orn2_b64 s[12:13], s[2:3], exec
.LBB29_3:
	v_lshlrev_b32_e32 v0, 2, v14
	v_ashrrev_i32_e32 v1, 31, v0
	v_lshlrev_b64 v[0:1], 2, v[0:1]
	v_mov_b32_e32 v2, s1
	v_add_co_u32_e32 v0, vcc, s0, v0
	v_addc_co_u32_e32 v1, vcc, v2, v1, vcc
	global_load_dwordx4 v[0:3], v[0:1], off
	v_mov_b32_e32 v5, 0x7f800000
	s_mov_b32 s2, 0x3fb8aa3b
	s_mov_b32 s3, 0xc2ce8ed0
	;; [unrolled: 1-line block ×3, first 2 shown]
	s_load_dwordx2 s[0:1], s[4:5], 0x40
	v_mov_b32_e32 v6, 0x207
	s_waitcnt lgkmcnt(0)
	s_cmp_eq_u64 s[0:1], 0
	s_waitcnt vmcnt(0)
	v_max_f32_e32 v4, v1, v1
	v_max_f32_e32 v7, v0, v0
	;; [unrolled: 1-line block ×3, first 2 shown]
	v_max3_f32 v4, v4, v2, v3
	v_pk_add_f32 v[0:1], v[0:1], v[4:5] op_sel_hi:[1,0] neg_lo:[0,1] neg_hi:[0,1]
	v_pk_add_f32 v[2:3], v[2:3], v[4:5] op_sel_hi:[1,0] neg_lo:[0,1] neg_hi:[0,1]
	v_mul_f32_e32 v4, 0x3fb8aa3b, v1
	v_mul_f32_e32 v7, 0x3fb8aa3b, v0
	v_fma_f32 v10, v1, s2, -v4
	v_rndne_f32_e32 v11, v4
	v_mul_f32_e32 v8, 0x3fb8aa3b, v3
	v_fma_f32 v12, v0, s2, -v7
	v_rndne_f32_e32 v13, v7
	v_fmac_f32_e32 v10, 0x32a5705f, v1
	v_sub_f32_e32 v4, v4, v11
	v_mul_f32_e32 v9, 0x3fb8aa3b, v2
	v_fma_f32 v15, v3, s2, -v8
	v_rndne_f32_e32 v16, v8
	v_fmac_f32_e32 v12, 0x32a5705f, v0
	v_sub_f32_e32 v7, v7, v13
	v_add_f32_e32 v4, v4, v10
	v_fma_f32 v17, v2, s2, -v9
	v_rndne_f32_e32 v18, v9
	v_cvt_i32_f32_e32 v11, v11
	v_fmac_f32_e32 v15, 0x32a5705f, v3
	v_sub_f32_e32 v8, v8, v16
	v_add_f32_e32 v7, v7, v12
	v_exp_f32_e32 v4, v4
	v_cvt_i32_f32_e32 v13, v13
	v_fmac_f32_e32 v17, 0x32a5705f, v2
	v_sub_f32_e32 v9, v9, v18
	v_add_f32_e32 v8, v8, v15
	v_exp_f32_e32 v7, v7
	v_cvt_i32_f32_e32 v16, v16
	v_add_f32_e32 v9, v9, v17
	v_exp_f32_e32 v8, v8
	v_cvt_i32_f32_e32 v18, v18
	v_exp_f32_e32 v9, v9
	v_ldexp_f32 v4, v4, v11
	v_cmp_ngt_f32_e32 vcc, s3, v1
	v_ldexp_f32 v7, v7, v13
	v_cndmask_b32_e32 v4, 0, v4, vcc
	v_cmp_ngt_f32_e32 vcc, s3, v0
	v_ldexp_f32 v8, v8, v16
	v_cndmask_b32_e32 v7, 0, v7, vcc
	;; [unrolled: 3-line block ×3, first 2 shown]
	v_cmp_ngt_f32_e32 vcc, s3, v2
	v_cndmask_b32_e32 v9, 0, v9, vcc
	v_cmp_nlt_f32_e32 vcc, s10, v1
	v_cndmask_b32_e32 v1, v5, v4, vcc
	v_cmp_nlt_f32_e32 vcc, s10, v0
	;; [unrolled: 2-line block ×4, first 2 shown]
	v_cndmask_b32_e32 v2, v5, v9, vcc
	v_add_f32_e32 v4, v0, v1
	v_add_f32_e32 v4, v4, v2
	;; [unrolled: 1-line block ×3, first 2 shown]
	v_div_scale_f32 v5, s[2:3], v4, v4, 1.0
	v_rcp_f32_e32 v7, v5
	v_div_scale_f32 v8, vcc, 1.0, v4, 1.0
	v_fma_f32 v9, -v5, v7, 1.0
	v_fmac_f32_e32 v7, v9, v7
	v_mul_f32_e32 v9, v8, v7
	v_fma_f32 v10, -v5, v9, v8
	v_fmac_f32_e32 v9, v10, v7
	v_fma_f32 v5, -v5, v9, v8
	v_div_fmas_f32 v5, v5, v7, v9
	v_div_fixup_f32 v4, v5, v4, 1.0
	v_pk_mul_f32 v[0:1], v[4:5], v[0:1] op_sel_hi:[0,1]
	v_cmp_class_f32_e32 vcc, v1, v6
	v_pk_mul_f32 v[2:3], v[4:5], v[2:3] op_sel_hi:[0,1]
	v_cndmask_b32_e64 v1, v1, 0, vcc
	v_cmp_class_f32_e32 vcc, v0, v6
	v_cndmask_b32_e64 v0, v0, 0, vcc
	v_cmp_class_f32_e32 vcc, v3, v6
	;; [unrolled: 2-line block ×3, first 2 shown]
	v_cndmask_b32_e64 v2, v2, 0, vcc
	s_cbranch_scc1 .LBB29_10
; %bb.4:
	s_load_dwordx4 s[0:3], s[0:1], 0x0
	s_waitcnt lgkmcnt(0)
	v_pk_add_f32 v[4:5], s[0:1], v[0:1]
	v_pk_add_f32 v[6:7], s[2:3], v[2:3]
	s_cbranch_execnz .LBB29_6
.LBB29_5:
	v_pk_mov_b32 v[6:7], v[2:3], v[2:3] op_sel:[0,1]
	v_pk_mov_b32 v[4:5], v[0:1], v[0:1] op_sel:[0,1]
.LBB29_6:
	s_load_dwordx4 s[8:11], s[4:5], 0x30
	s_waitcnt lgkmcnt(0)
	s_bitcmp1_b32 s11, 0
	s_cselect_b64 vcc, -1, 0
	s_cmp_gt_i32 s8, 0
	s_cselect_b64 s[14:15], -1, 0
	s_cmp_lt_i32 s8, 1
	s_mov_b32 s11, 0
	s_cbranch_scc1 .LBB29_11
; %bb.7:
	s_load_dwordx4 s[20:23], s[4:5], 0x20
	v_mul_lo_u32 v8, v14, s8
	v_ashrrev_i32_e32 v9, 31, v8
	v_lshlrev_b64 v[12:13], 2, v[8:9]
	v_mov_b32_e32 v9, s7
	v_add_co_u32_e64 v8, s[0:1], s6, v12
	v_addc_co_u32_e64 v9, s[0:1], v9, v13, s[0:1]
	s_waitcnt lgkmcnt(0)
	v_mov_b32_e32 v11, s21
	v_add_co_u32_e64 v10, s[0:1], s20, v12
	v_addc_co_u32_e64 v11, s[0:1], v11, v13, s[0:1]
	v_mov_b32_e32 v15, s23
	v_add_co_u32_e64 v12, s[0:1], s22, v12
	v_addc_co_u32_e64 v13, s[0:1], v15, v13, s[0:1]
	v_mov_b32_e32 v15, 0
	v_mov_b32_e32 v16, 0xc61c4000
	;; [unrolled: 1-line block ×3, first 2 shown]
.LBB29_8:                               ; =>This Inner Loop Header: Depth=1
	v_cmp_gt_f32_e64 s[0:1], v5, v4
	v_cndmask_b32_e64 v18, v4, v5, s[0:1]
	v_cndmask_b32_e64 v19, v0, v1, s[0:1]
	;; [unrolled: 1-line block ×3, first 2 shown]
	v_cmp_gt_f32_e64 s[0:1], v6, v18
	v_cndmask_b32_e64 v18, v18, v6, s[0:1]
	v_cndmask_b32_e64 v19, v19, v2, s[0:1]
	;; [unrolled: 1-line block ×3, first 2 shown]
	v_cmp_gt_f32_e64 s[0:1], v7, v18
	v_cndmask_b32_e64 v18, v19, v3, s[0:1]
	v_cndmask_b32_e64 v19, v20, 3, s[0:1]
	v_cmp_le_i32_e64 s[0:1], s9, v19
	v_cmp_gt_i32_e64 s[2:3], s10, v19
	s_and_b64 s[0:1], s[0:1], s[2:3]
	v_subrev_u32_e32 v20, s9, v19
	s_and_b64 s[0:1], s[12:13], s[0:1]
	global_store_dword v[8:9], v18, off
	v_cndmask_b32_e64 v20, 4, v20, s[0:1]
	v_add_f32_e32 v18, v15, v18
	v_cmp_ne_u32_e64 s[0:1], 0, v19
	v_cndmask_b32_e32 v15, v15, v18, vcc
	v_cndmask_b32_e64 v18, v16, v4, s[0:1]
	v_cmp_ne_u32_e64 s[0:1], 1, v19
	global_store_dword v[10:11], v20, off
	global_store_dword v[12:13], v17, off
	s_add_i32 s11, s11, 1
	v_cndmask_b32_e64 v20, v16, v5, s[0:1]
	v_cmp_ne_u32_e64 s[0:1], 2, v19
	s_cmp_lt_i32 s11, s8
	v_cndmask_b32_e64 v21, v16, v6, s[0:1]
	v_cmp_ne_u32_e64 s[0:1], 3, v19
	v_cndmask_b32_e64 v19, v16, v7, s[0:1]
	s_cselect_b64 s[0:1], -1, 0
	v_cndmask_b32_e64 v7, v7, v19, s[0:1]
	v_cndmask_b32_e64 v6, v6, v21, s[0:1]
	v_cndmask_b32_e64 v5, v5, v20, s[0:1]
	v_cndmask_b32_e64 v4, v4, v18, s[0:1]
	v_add_co_u32_e64 v8, s[0:1], 4, v8
	v_addc_co_u32_e64 v9, s[0:1], 0, v9, s[0:1]
	v_add_co_u32_e64 v10, s[0:1], 4, v10
	v_addc_co_u32_e64 v11, s[0:1], 0, v11, s[0:1]
	v_add_co_u32_e64 v12, s[0:1], 4, v12
	v_add_u32_e32 v17, s16, v17
	s_cmp_eq_u32 s8, s11
	v_addc_co_u32_e64 v13, s[0:1], 0, v13, s[0:1]
	s_cbranch_scc0 .LBB29_8
; %bb.9:
	s_and_b64 vcc, exec, vcc
	s_cbranch_vccnz .LBB29_12
	s_branch .LBB29_20
.LBB29_10:
                                        ; implicit-def: $vgpr4_vgpr5_vgpr6_vgpr7
	s_andn2_b64 vcc, exec, s[8:9]
	s_cbranch_vccz .LBB29_5
	s_branch .LBB29_6
.LBB29_11:
	v_mov_b32_e32 v15, 0
	s_and_b64 vcc, exec, vcc
	s_cbranch_vccz .LBB29_20
.LBB29_12:
	s_andn2_b64 vcc, exec, s[14:15]
	s_cbranch_vccnz .LBB29_20
; %bb.13:
	v_cmp_lt_f32_e32 vcc, 0, v15
	s_mov_b32 s2, 0
	v_cndmask_b32_e32 v0, 1.0, v15, vcc
	v_mul_lo_u32 v4, v14, s8
	s_cmp_eq_u32 s8, 1
	s_mov_b64 s[0:1], -1
	s_cbranch_scc1 .LBB29_17
; %bb.14:
	s_and_b32 s2, s8, 0x7ffffffe
	v_mov_b32_e32 v1, v0
	v_mov_b32_e32 v5, s7
	s_mov_b32 s3, s2
	v_mov_b32_e32 v2, v4
.LBB29_15:                              ; =>This Inner Loop Header: Depth=1
	v_ashrrev_i32_e32 v3, 31, v2
	v_lshlrev_b64 v[6:7], 2, v[2:3]
	v_add_co_u32_e32 v6, vcc, s6, v6
	v_addc_co_u32_e32 v7, vcc, v5, v7, vcc
	global_load_dwordx2 v[8:9], v[6:7], off
	s_add_i32 s3, s3, -2
	s_cmp_lg_u32 s3, 0
	v_add_u32_e32 v2, 2, v2
	s_waitcnt vmcnt(0)
	v_div_scale_f32 v3, s[0:1], v1, v1, v9
	v_div_scale_f32 v11, s[0:1], v0, v0, v8
	v_rcp_f32_e32 v12, v3
	v_rcp_f32_e32 v13, v11
	v_div_scale_f32 v10, vcc, v9, v1, v9
	v_fma_f32 v15, -v3, v12, 1.0
	v_fma_f32 v16, -v11, v13, 1.0
	v_fmac_f32_e32 v12, v15, v12
	v_div_scale_f32 v14, s[0:1], v8, v0, v8
	v_fmac_f32_e32 v13, v16, v13
	v_mul_f32_e32 v15, v10, v12
	v_mul_f32_e32 v16, v14, v13
	v_fma_f32 v17, -v3, v15, v10
	v_fma_f32 v18, -v11, v16, v14
	v_fmac_f32_e32 v15, v17, v12
	v_fmac_f32_e32 v16, v18, v13
	v_fma_f32 v3, -v3, v15, v10
	v_fma_f32 v10, -v11, v16, v14
	v_div_fmas_f32 v3, v3, v12, v15
	s_mov_b64 vcc, s[0:1]
	v_div_fixup_f32 v9, v3, v1, v9
	v_div_fmas_f32 v3, v10, v13, v16
	v_div_fixup_f32 v8, v3, v0, v8
	global_store_dwordx2 v[6:7], v[8:9], off
	s_cbranch_scc1 .LBB29_15
; %bb.16:
	s_cmp_lg_u32 s2, s8
	s_cselect_b64 s[0:1], -1, 0
.LBB29_17:
	s_and_b64 vcc, exec, s[0:1]
	s_cbranch_vccz .LBB29_20
; %bb.18:
	v_ashrrev_i32_e32 v1, 31, v4
	v_add_co_u32_e32 v2, vcc, s2, v4
	v_addc_co_u32_e32 v3, vcc, 0, v1, vcc
	v_lshlrev_b64 v[2:3], 2, v[2:3]
	v_mov_b32_e32 v1, s7
	v_add_co_u32_e32 v2, vcc, s6, v2
	s_sub_i32 s0, s8, s2
	v_addc_co_u32_e32 v3, vcc, v1, v3, vcc
.LBB29_19:                              ; =>This Inner Loop Header: Depth=1
	global_load_dword v1, v[2:3], off
	s_add_i32 s0, s0, -1
	s_cmp_lg_u32 s0, 0
	s_waitcnt vmcnt(0)
	v_div_scale_f32 v4, s[2:3], v0, v0, v1
	v_rcp_f32_e32 v5, v4
	v_div_scale_f32 v6, vcc, v1, v0, v1
	v_fma_f32 v7, -v4, v5, 1.0
	v_fmac_f32_e32 v5, v7, v5
	v_mul_f32_e32 v7, v6, v5
	v_fma_f32 v8, -v4, v7, v6
	v_fmac_f32_e32 v7, v8, v5
	v_fma_f32 v4, -v4, v7, v6
	v_div_fmas_f32 v4, v4, v5, v7
	v_div_fixup_f32 v1, v4, v0, v1
	global_store_dword v[2:3], v1, off
	v_add_co_u32_e32 v2, vcc, 4, v2
	v_addc_co_u32_e32 v3, vcc, 0, v3, vcc
	s_cbranch_scc1 .LBB29_19
.LBB29_20:
	s_endpgm
	.section	.rodata,"a",@progbits
	.p2align	6, 0x0
	.amdhsa_kernel _ZN4vllm3moe10topkGatingILi4ELi4ELi4ELi16ELi32EjfLNS0_11ScoringFuncE0EEEvPKT5_PKbPfiPT4_PiiiibPKf
		.amdhsa_group_segment_fixed_size 0
		.amdhsa_private_segment_fixed_size 0
		.amdhsa_kernarg_size 72
		.amdhsa_user_sgpr_count 6
		.amdhsa_user_sgpr_private_segment_buffer 1
		.amdhsa_user_sgpr_dispatch_ptr 0
		.amdhsa_user_sgpr_queue_ptr 0
		.amdhsa_user_sgpr_kernarg_segment_ptr 1
		.amdhsa_user_sgpr_dispatch_id 0
		.amdhsa_user_sgpr_flat_scratch_init 0
		.amdhsa_user_sgpr_kernarg_preload_length 0
		.amdhsa_user_sgpr_kernarg_preload_offset 0
		.amdhsa_user_sgpr_private_segment_size 0
		.amdhsa_uses_dynamic_stack 0
		.amdhsa_system_sgpr_private_segment_wavefront_offset 0
		.amdhsa_system_sgpr_workgroup_id_x 1
		.amdhsa_system_sgpr_workgroup_id_y 0
		.amdhsa_system_sgpr_workgroup_id_z 0
		.amdhsa_system_sgpr_workgroup_info 0
		.amdhsa_system_vgpr_workitem_id 1
		.amdhsa_next_free_vgpr 22
		.amdhsa_next_free_sgpr 24
		.amdhsa_accum_offset 24
		.amdhsa_reserve_vcc 1
		.amdhsa_reserve_flat_scratch 0
		.amdhsa_float_round_mode_32 0
		.amdhsa_float_round_mode_16_64 0
		.amdhsa_float_denorm_mode_32 3
		.amdhsa_float_denorm_mode_16_64 3
		.amdhsa_dx10_clamp 1
		.amdhsa_ieee_mode 1
		.amdhsa_fp16_overflow 0
		.amdhsa_tg_split 0
		.amdhsa_exception_fp_ieee_invalid_op 0
		.amdhsa_exception_fp_denorm_src 0
		.amdhsa_exception_fp_ieee_div_zero 0
		.amdhsa_exception_fp_ieee_overflow 0
		.amdhsa_exception_fp_ieee_underflow 0
		.amdhsa_exception_fp_ieee_inexact 0
		.amdhsa_exception_int_div_zero 0
	.end_amdhsa_kernel
	.section	.text._ZN4vllm3moe10topkGatingILi4ELi4ELi4ELi16ELi32EjfLNS0_11ScoringFuncE0EEEvPKT5_PKbPfiPT4_PiiiibPKf,"axG",@progbits,_ZN4vllm3moe10topkGatingILi4ELi4ELi4ELi16ELi32EjfLNS0_11ScoringFuncE0EEEvPKT5_PKbPfiPT4_PiiiibPKf,comdat
.Lfunc_end29:
	.size	_ZN4vllm3moe10topkGatingILi4ELi4ELi4ELi16ELi32EjfLNS0_11ScoringFuncE0EEEvPKT5_PKbPfiPT4_PiiiibPKf, .Lfunc_end29-_ZN4vllm3moe10topkGatingILi4ELi4ELi4ELi16ELi32EjfLNS0_11ScoringFuncE0EEEvPKT5_PKbPfiPT4_PiiiibPKf
                                        ; -- End function
	.section	.AMDGPU.csdata,"",@progbits
; Kernel info:
; codeLenInByte = 1684
; NumSgprs: 28
; NumVgprs: 22
; NumAgprs: 0
; TotalNumVgprs: 22
; ScratchSize: 0
; MemoryBound: 1
; FloatMode: 240
; IeeeMode: 1
; LDSByteSize: 0 bytes/workgroup (compile time only)
; SGPRBlocks: 3
; VGPRBlocks: 2
; NumSGPRsForWavesPerEU: 28
; NumVGPRsForWavesPerEU: 22
; AccumOffset: 24
; Occupancy: 8
; WaveLimiterHint : 0
; COMPUTE_PGM_RSRC2:SCRATCH_EN: 0
; COMPUTE_PGM_RSRC2:USER_SGPR: 6
; COMPUTE_PGM_RSRC2:TRAP_HANDLER: 0
; COMPUTE_PGM_RSRC2:TGID_X_EN: 1
; COMPUTE_PGM_RSRC2:TGID_Y_EN: 0
; COMPUTE_PGM_RSRC2:TGID_Z_EN: 0
; COMPUTE_PGM_RSRC2:TIDIG_COMP_CNT: 1
; COMPUTE_PGM_RSRC3_GFX90A:ACCUM_OFFSET: 5
; COMPUTE_PGM_RSRC3_GFX90A:TG_SPLIT: 0
	.section	.text._ZN4vllm3moe10topkGatingILi4ELi8ELi4ELi16ELi64EjfLNS0_11ScoringFuncE0EEEvPKT5_PKbPfiPT4_PiiiibPKf,"axG",@progbits,_ZN4vllm3moe10topkGatingILi4ELi8ELi4ELi16ELi64EjfLNS0_11ScoringFuncE0EEEvPKT5_PKbPfiPT4_PiiiibPKf,comdat
	.protected	_ZN4vllm3moe10topkGatingILi4ELi8ELi4ELi16ELi64EjfLNS0_11ScoringFuncE0EEEvPKT5_PKbPfiPT4_PiiiibPKf ; -- Begin function _ZN4vllm3moe10topkGatingILi4ELi8ELi4ELi16ELi64EjfLNS0_11ScoringFuncE0EEEvPKT5_PKbPfiPT4_PiiiibPKf
	.globl	_ZN4vllm3moe10topkGatingILi4ELi8ELi4ELi16ELi64EjfLNS0_11ScoringFuncE0EEEvPKT5_PKbPfiPT4_PiiiibPKf
	.p2align	8
	.type	_ZN4vllm3moe10topkGatingILi4ELi8ELi4ELi16ELi64EjfLNS0_11ScoringFuncE0EEEvPKT5_PKbPfiPT4_PiiiibPKf,@function
_ZN4vllm3moe10topkGatingILi4ELi8ELi4ELi16ELi64EjfLNS0_11ScoringFuncE0EEEvPKT5_PKbPfiPT4_PiiiibPKf: ; @_ZN4vllm3moe10topkGatingILi4ELi8ELi4ELi16ELi64EjfLNS0_11ScoringFuncE0EEEvPKT5_PKbPfiPT4_PiiiibPKf
; %bb.0:
	s_load_dword s24, s[4:5], 0x18
	v_bfe_u32 v1, v0, 10, 10
	v_and_b32_e32 v0, 0x3ff, v0
	s_lshl_b32 s0, s6, 7
	v_lshlrev_b32_e32 v1, 5, v1
	v_lshrrev_b32_e32 v2, 1, v0
	v_add3_u32 v8, s0, v1, v2
	s_waitcnt lgkmcnt(0)
	v_cmp_gt_i32_e32 vcc, s24, v8
	s_and_saveexec_b64 s[0:1], vcc
	s_cbranch_execz .LBB30_30
; %bb.1:
	s_load_dwordx4 s[0:3], s[4:5], 0x0
	s_load_dwordx2 s[6:7], s[4:5], 0x10
	s_mov_b64 s[8:9], -1
	s_mov_b64 s[16:17], -1
	s_waitcnt lgkmcnt(0)
	s_cmp_eq_u64 s[2:3], 0
	s_cbranch_scc1 .LBB30_3
; %bb.2:
	v_ashrrev_i32_e32 v1, 31, v8
	v_mov_b32_e32 v3, s3
	v_add_co_u32_e32 v2, vcc, s2, v8
	v_addc_co_u32_e32 v3, vcc, v3, v1, vcc
	global_load_ubyte v1, v[2:3], off
	s_waitcnt vmcnt(0)
	v_and_b32_e32 v1, 1, v1
	v_cmp_eq_u32_e32 vcc, 1, v1
	s_xor_b64 s[2:3], vcc, -1
	s_orn2_b64 s[16:17], s[2:3], exec
.LBB30_3:
	v_lshlrev_b32_e32 v2, 3, v8
	v_ashrrev_i32_e32 v3, 31, v2
	v_lshlrev_b64 v[2:3], 2, v[2:3]
	v_mov_b32_e32 v1, s1
	v_add_co_u32_e32 v2, vcc, s0, v2
	v_and_b32_e32 v9, 1, v0
	v_addc_co_u32_e32 v1, vcc, v1, v3, vcc
	v_lshlrev_b32_e32 v0, 4, v9
	v_add_co_u32_e32 v0, vcc, v2, v0
	v_addc_co_u32_e32 v1, vcc, 0, v1, vcc
	global_load_dwordx4 v[0:3], v[0:1], off
	v_mbcnt_lo_u32_b32 v4, -1, 0
	v_mbcnt_hi_u32_b32 v4, -1, v4
	v_and_b32_e32 v6, 0x7e, v4
	v_xor_b32_e32 v5, 1, v4
	v_add_u32_e32 v6, 2, v6
	v_cmp_lt_i32_e32 vcc, v5, v6
	v_cndmask_b32_e32 v4, v4, v5, vcc
	v_lshlrev_b32_e32 v10, 2, v4
	s_mov_b32 s0, 0x3fb8aa3b
	s_mov_b32 s1, 0xc2ce8ed0
	;; [unrolled: 1-line block ×3, first 2 shown]
	v_mov_b32_e32 v6, 0x7f800000
	s_movk_i32 s10, 0x1f8
	s_waitcnt vmcnt(0)
	v_max_f32_e32 v4, v1, v1
	v_max_f32_e32 v5, v0, v0
	;; [unrolled: 1-line block ×3, first 2 shown]
	v_max3_f32 v4, v4, v2, v3
	ds_bpermute_b32 v5, v10, v4
	s_waitcnt lgkmcnt(0)
	v_max_f32_e32 v5, v5, v5
	v_max_f32_e32 v4, v4, v5
	v_pk_add_f32 v[0:1], v[0:1], v[4:5] op_sel_hi:[1,0] neg_lo:[0,1] neg_hi:[0,1]
	v_sub_f32_e32 v2, v2, v4
	v_sub_f32_e32 v3, v3, v4
	v_mul_f32_e32 v4, 0x3fb8aa3b, v1
	v_mul_f32_e32 v5, 0x3fb8aa3b, v0
	v_fma_f32 v12, v1, s0, -v4
	v_rndne_f32_e32 v13, v4
	v_mul_f32_e32 v7, 0x3fb8aa3b, v2
	v_fma_f32 v14, v0, s0, -v5
	v_rndne_f32_e32 v15, v5
	v_fmac_f32_e32 v12, 0x32a5705f, v1
	v_sub_f32_e32 v4, v4, v13
	v_mul_f32_e32 v11, 0x3fb8aa3b, v3
	v_fma_f32 v16, v2, s0, -v7
	v_rndne_f32_e32 v17, v7
	v_fmac_f32_e32 v14, 0x32a5705f, v0
	v_sub_f32_e32 v5, v5, v15
	v_add_f32_e32 v4, v4, v12
	v_fma_f32 v18, v3, s0, -v11
	v_rndne_f32_e32 v19, v11
	v_cvt_i32_f32_e32 v13, v13
	v_fmac_f32_e32 v16, 0x32a5705f, v2
	v_sub_f32_e32 v7, v7, v17
	v_add_f32_e32 v5, v5, v14
	v_exp_f32_e32 v4, v4
	v_cvt_i32_f32_e32 v15, v15
	v_fmac_f32_e32 v18, 0x32a5705f, v3
	v_sub_f32_e32 v11, v11, v19
	v_add_f32_e32 v7, v7, v16
	v_exp_f32_e32 v5, v5
	v_cvt_i32_f32_e32 v17, v17
	v_add_f32_e32 v11, v11, v18
	v_exp_f32_e32 v7, v7
	v_cvt_i32_f32_e32 v19, v19
	v_exp_f32_e32 v11, v11
	v_ldexp_f32 v4, v4, v13
	v_cmp_ngt_f32_e32 vcc, s1, v1
	v_ldexp_f32 v5, v5, v15
	v_cndmask_b32_e32 v4, 0, v4, vcc
	v_cmp_ngt_f32_e32 vcc, s1, v0
	v_ldexp_f32 v7, v7, v17
	v_cndmask_b32_e32 v5, 0, v5, vcc
	;; [unrolled: 3-line block ×3, first 2 shown]
	v_cmp_ngt_f32_e32 vcc, s1, v3
	v_cndmask_b32_e32 v11, 0, v11, vcc
	v_cmp_nlt_f32_e32 vcc, s2, v1
	v_cndmask_b32_e32 v1, v6, v4, vcc
	v_cmp_nlt_f32_e32 vcc, s2, v0
	;; [unrolled: 2-line block ×4, first 2 shown]
	v_add_f32_e32 v4, v0, v1
	v_cndmask_b32_e32 v3, v6, v11, vcc
	v_add_f32_e32 v4, v4, v2
	v_add_f32_e32 v4, v4, v3
	ds_bpermute_b32 v5, v10, v4
	s_load_dwordx2 s[0:1], s[4:5], 0x40
	v_lshlrev_b32_e32 v11, 2, v9
	s_waitcnt lgkmcnt(0)
	v_add_f32_e32 v4, v4, v5
	v_div_scale_f32 v5, s[2:3], v4, v4, 1.0
	v_rcp_f32_e32 v6, v5
	v_div_scale_f32 v7, vcc, 1.0, v4, 1.0
	s_cmp_eq_u64 s[0:1], 0
	v_fma_f32 v12, -v5, v6, 1.0
	v_fmac_f32_e32 v6, v12, v6
	v_mul_f32_e32 v12, v7, v6
	v_fma_f32 v13, -v5, v12, v7
	v_fmac_f32_e32 v12, v13, v6
	v_fma_f32 v5, -v5, v12, v7
	v_div_fmas_f32 v5, v5, v6, v12
	v_div_fixup_f32 v4, v5, v4, 1.0
	v_mul_f32_e32 v0, v4, v0
	v_mul_f32_e32 v1, v4, v1
	v_cmp_class_f32_e64 vcc, v0, s10
	v_mul_f32_e32 v2, v4, v2
	v_cndmask_b32_e32 v0, 0, v0, vcc
	v_cmp_class_f32_e64 vcc, v1, s10
	v_mul_f32_e32 v3, v4, v3
	v_cndmask_b32_e32 v1, 0, v1, vcc
	v_cmp_class_f32_e64 vcc, v2, s10
	v_cndmask_b32_e32 v2, 0, v2, vcc
	v_cmp_class_f32_e64 vcc, v3, s10
	v_cndmask_b32_e32 v3, 0, v3, vcc
	s_cbranch_scc1 .LBB30_19
; %bb.4:
	v_lshlrev_b32_e32 v4, 2, v11
	global_load_dwordx4 v[4:7], v4, s[0:1]
	s_waitcnt vmcnt(0)
	v_pk_add_f32 v[4:5], v[4:5], v[0:1]
	v_pk_add_f32 v[6:7], v[6:7], v[2:3]
	s_cbranch_execnz .LBB30_6
.LBB30_5:
	v_pk_mov_b32 v[6:7], v[2:3], v[2:3] op_sel:[0,1]
	v_pk_mov_b32 v[4:5], v[0:1], v[0:1] op_sel:[0,1]
.LBB30_6:
	s_load_dwordx4 s[8:11], s[4:5], 0x30
	s_mov_b32 s25, 0
	v_cmp_eq_u32_e64 s[0:1], 0, v9
	s_waitcnt lgkmcnt(0)
	s_bitcmp1_b32 s11, 0
	s_cselect_b64 vcc, -1, 0
	s_cmp_gt_i32 s8, 0
	s_cselect_b64 s[18:19], -1, 0
	s_cmp_lt_i32 s8, 1
	s_cbranch_scc1 .LBB30_20
; %bb.7:
	s_load_dwordx4 s[12:15], s[4:5], 0x20
	v_mul_lo_u32 v13, v8, s8
	v_mov_b32_e32 v12, 0
	v_mov_b32_e32 v14, 0xc61c4000
	;; [unrolled: 1-line block ×3, first 2 shown]
	s_branch .LBB30_10
.LBB30_8:                               ;   in Loop: Header=BB30_10 Depth=1
	s_or_b64 exec, exec, s[4:5]
.LBB30_9:                               ;   in Loop: Header=BB30_10 Depth=1
	s_cmp_eq_u32 s8, s25
	v_add_u32_e32 v15, s24, v15
	s_cbranch_scc1 .LBB30_21
.LBB30_10:                              ; =>This Inner Loop Header: Depth=1
	v_cmp_gt_f32_e64 s[2:3], v5, v4
	v_cndmask_b32_e64 v16, v4, v5, s[2:3]
	v_cndmask_b32_e64 v17, v0, v1, s[2:3]
	v_cndmask_b32_e64 v18, 0, 1, s[2:3]
	v_cmp_gt_f32_e64 s[2:3], v6, v16
	v_cndmask_b32_e64 v16, v16, v6, s[2:3]
	v_cndmask_b32_e64 v17, v17, v2, s[2:3]
	v_cndmask_b32_e64 v18, v18, 2, s[2:3]
	;; [unrolled: 4-line block ×3, first 2 shown]
	v_or_b32_e32 v16, v11, v16
	ds_bpermute_b32 v21, v10, v20
	ds_bpermute_b32 v19, v10, v17
	;; [unrolled: 1-line block ×3, first 2 shown]
	s_waitcnt lgkmcnt(0)
	v_cmp_lt_f32_e64 s[20:21], v20, v21
	v_cmp_nlt_f32_e64 s[2:3], v20, v21
	s_and_saveexec_b64 s[22:23], s[2:3]
	s_cbranch_execnz .LBB30_14
; %bb.11:                               ;   in Loop: Header=BB30_10 Depth=1
	s_or_b64 exec, exec, s[22:23]
	s_and_saveexec_b64 s[2:3], s[20:21]
	s_cbranch_execnz .LBB30_15
.LBB30_12:                              ;   in Loop: Header=BB30_10 Depth=1
	s_or_b64 exec, exec, s[2:3]
	s_and_saveexec_b64 s[20:21], s[0:1]
	s_cbranch_execnz .LBB30_16
.LBB30_13:                              ;   in Loop: Header=BB30_10 Depth=1
	s_or_b64 exec, exec, s[20:21]
	s_add_i32 s25, s25, 1
	s_cmp_ge_i32 s25, s8
	s_cbranch_scc1 .LBB30_9
	s_branch .LBB30_17
.LBB30_14:                              ;   in Loop: Header=BB30_10 Depth=1
	v_cmp_eq_f32_e64 s[2:3], v20, v21
	v_cmp_lt_i32_e64 s[4:5], v18, v16
	s_and_b64 s[2:3], s[2:3], s[4:5]
	s_andn2_b64 s[4:5], s[20:21], exec
	s_and_b64 s[2:3], s[2:3], exec
	s_or_b64 s[20:21], s[4:5], s[2:3]
	s_or_b64 exec, exec, s[22:23]
	s_and_saveexec_b64 s[2:3], s[20:21]
	s_cbranch_execz .LBB30_12
.LBB30_15:                              ;   in Loop: Header=BB30_10 Depth=1
	v_mov_b32_e32 v17, v19
	v_mov_b32_e32 v16, v18
	s_or_b64 exec, exec, s[2:3]
	s_and_saveexec_b64 s[20:21], s[0:1]
	s_cbranch_execz .LBB30_13
.LBB30_16:                              ;   in Loop: Header=BB30_10 Depth=1
	v_add_u32_e32 v18, s25, v13
	v_ashrrev_i32_e32 v19, 31, v18
	v_cmp_le_i32_e64 s[2:3], s9, v16
	v_cmp_gt_i32_e64 s[4:5], s10, v16
	v_lshlrev_b64 v[18:19], 2, v[18:19]
	s_and_b64 s[4:5], s[2:3], s[4:5]
	v_mov_b32_e32 v21, s7
	v_add_co_u32_e64 v20, s[2:3], s6, v18
	v_addc_co_u32_e64 v21, s[2:3], v21, v19, s[2:3]
	global_store_dword v[20:21], v17, off
	v_subrev_u32_e32 v20, s9, v16
	s_and_b64 s[2:3], s[16:17], s[4:5]
	v_cndmask_b32_e64 v22, 8, v20, s[2:3]
	v_mov_b32_e32 v21, s13
	v_add_co_u32_e64 v20, s[2:3], s12, v18
	v_addc_co_u32_e64 v21, s[2:3], v21, v19, s[2:3]
	global_store_dword v[20:21], v22, off
	v_mov_b32_e32 v20, s15
	v_add_co_u32_e64 v18, s[2:3], s14, v18
	v_add_f32_e32 v17, v12, v17
	v_addc_co_u32_e64 v19, s[2:3], v20, v19, s[2:3]
	v_cndmask_b32_e32 v12, v12, v17, vcc
	global_store_dword v[18:19], v15, off
	s_or_b64 exec, exec, s[20:21]
	s_add_i32 s25, s25, 1
	s_cmp_ge_i32 s25, s8
	s_cbranch_scc1 .LBB30_9
.LBB30_17:                              ;   in Loop: Header=BB30_10 Depth=1
	v_ashrrev_i32_e32 v18, 31, v16
	v_lshrrev_b32_e32 v17, 30, v18
	v_add_u32_e32 v19, v16, v17
	v_ashrrev_i32_e32 v17, 2, v19
	v_lshrrev_b32_e32 v19, 31, v19
	v_add_u32_e32 v19, v17, v19
	v_and_b32_e32 v19, -2, v19
	v_sub_u32_e32 v19, v17, v19
	v_cmp_eq_u32_e64 s[2:3], v9, v19
	s_and_saveexec_b64 s[4:5], s[2:3]
	s_cbranch_execz .LBB30_8
; %bb.18:                               ;   in Loop: Header=BB30_10 Depth=1
	v_lshrrev_b32_e32 v18, 29, v18
	v_add_u32_e32 v18, v16, v18
	v_lshlrev_b32_e32 v17, 2, v17
	v_ashrrev_i32_e32 v18, 3, v18
	v_sub_u32_e32 v16, v16, v17
	v_lshl_add_u32 v16, v18, 2, v16
	v_cmp_ne_u32_e64 s[2:3], 3, v16
	v_cndmask_b32_e64 v7, v14, v7, s[2:3]
	v_cmp_ne_u32_e64 s[2:3], 2, v16
	v_cndmask_b32_e64 v6, v14, v6, s[2:3]
	;; [unrolled: 2-line block ×4, first 2 shown]
	s_branch .LBB30_8
.LBB30_19:
                                        ; implicit-def: $vgpr4_vgpr5_vgpr6_vgpr7
	s_andn2_b64 vcc, exec, s[8:9]
	s_cbranch_vccz .LBB30_5
	s_branch .LBB30_6
.LBB30_20:
	v_mov_b32_e32 v12, 0
.LBB30_21:
	v_cmp_eq_u32_e64 s[0:1], 0, v9
	s_and_b64 s[0:1], s[0:1], vcc
	s_and_b64 exec, exec, s[0:1]
	s_cbranch_execz .LBB30_30
; %bb.22:
	s_andn2_b64 vcc, exec, s[18:19]
	s_cbranch_vccnz .LBB30_30
; %bb.23:
	v_cmp_lt_f32_e32 vcc, 0, v12
	s_mov_b32 s2, 0
	v_cndmask_b32_e32 v0, 1.0, v12, vcc
	v_mul_lo_u32 v4, v8, s8
	s_cmp_eq_u32 s8, 1
	s_mov_b64 s[0:1], -1
	s_cbranch_scc1 .LBB30_27
; %bb.24:
	s_and_b32 s2, s8, 0x7ffffffe
	v_mov_b32_e32 v1, v0
	v_mov_b32_e32 v5, s7
	s_mov_b32 s3, s2
	v_mov_b32_e32 v2, v4
.LBB30_25:                              ; =>This Inner Loop Header: Depth=1
	v_ashrrev_i32_e32 v3, 31, v2
	v_lshlrev_b64 v[6:7], 2, v[2:3]
	v_add_co_u32_e32 v6, vcc, s6, v6
	v_addc_co_u32_e32 v7, vcc, v5, v7, vcc
	global_load_dwordx2 v[8:9], v[6:7], off
	s_add_i32 s3, s3, -2
	s_cmp_lg_u32 s3, 0
	v_add_u32_e32 v2, 2, v2
	s_waitcnt vmcnt(0)
	v_div_scale_f32 v3, s[0:1], v1, v1, v9
	v_div_scale_f32 v11, s[0:1], v0, v0, v8
	v_rcp_f32_e32 v12, v3
	v_rcp_f32_e32 v13, v11
	v_div_scale_f32 v10, vcc, v9, v1, v9
	v_fma_f32 v15, -v3, v12, 1.0
	v_fma_f32 v16, -v11, v13, 1.0
	v_fmac_f32_e32 v12, v15, v12
	v_div_scale_f32 v14, s[0:1], v8, v0, v8
	v_fmac_f32_e32 v13, v16, v13
	v_mul_f32_e32 v15, v10, v12
	v_mul_f32_e32 v16, v14, v13
	v_fma_f32 v17, -v3, v15, v10
	v_fma_f32 v18, -v11, v16, v14
	v_fmac_f32_e32 v15, v17, v12
	v_fmac_f32_e32 v16, v18, v13
	v_fma_f32 v3, -v3, v15, v10
	v_fma_f32 v10, -v11, v16, v14
	v_div_fmas_f32 v3, v3, v12, v15
	s_mov_b64 vcc, s[0:1]
	v_div_fixup_f32 v9, v3, v1, v9
	v_div_fmas_f32 v3, v10, v13, v16
	v_div_fixup_f32 v8, v3, v0, v8
	global_store_dwordx2 v[6:7], v[8:9], off
	s_cbranch_scc1 .LBB30_25
; %bb.26:
	s_cmp_lg_u32 s2, s8
	s_cselect_b64 s[0:1], -1, 0
.LBB30_27:
	s_and_b64 vcc, exec, s[0:1]
	s_cbranch_vccz .LBB30_30
; %bb.28:
	v_ashrrev_i32_e32 v1, 31, v4
	v_add_co_u32_e32 v2, vcc, s2, v4
	v_addc_co_u32_e32 v3, vcc, 0, v1, vcc
	v_lshlrev_b64 v[2:3], 2, v[2:3]
	v_mov_b32_e32 v1, s7
	v_add_co_u32_e32 v2, vcc, s6, v2
	s_sub_i32 s0, s8, s2
	v_addc_co_u32_e32 v3, vcc, v1, v3, vcc
.LBB30_29:                              ; =>This Inner Loop Header: Depth=1
	global_load_dword v1, v[2:3], off
	s_add_i32 s0, s0, -1
	s_cmp_lg_u32 s0, 0
	s_waitcnt vmcnt(0)
	v_div_scale_f32 v4, s[2:3], v0, v0, v1
	v_rcp_f32_e32 v5, v4
	v_div_scale_f32 v6, vcc, v1, v0, v1
	v_fma_f32 v7, -v4, v5, 1.0
	v_fmac_f32_e32 v5, v7, v5
	v_mul_f32_e32 v7, v6, v5
	v_fma_f32 v8, -v4, v7, v6
	v_fmac_f32_e32 v7, v8, v5
	v_fma_f32 v4, -v4, v7, v6
	v_div_fmas_f32 v4, v4, v5, v7
	v_div_fixup_f32 v1, v4, v0, v1
	global_store_dword v[2:3], v1, off
	v_add_co_u32_e32 v2, vcc, 4, v2
	v_addc_co_u32_e32 v3, vcc, 0, v3, vcc
	s_cbranch_scc1 .LBB30_29
.LBB30_30:
	s_endpgm
	.section	.rodata,"a",@progbits
	.p2align	6, 0x0
	.amdhsa_kernel _ZN4vllm3moe10topkGatingILi4ELi8ELi4ELi16ELi64EjfLNS0_11ScoringFuncE0EEEvPKT5_PKbPfiPT4_PiiiibPKf
		.amdhsa_group_segment_fixed_size 0
		.amdhsa_private_segment_fixed_size 0
		.amdhsa_kernarg_size 72
		.amdhsa_user_sgpr_count 6
		.amdhsa_user_sgpr_private_segment_buffer 1
		.amdhsa_user_sgpr_dispatch_ptr 0
		.amdhsa_user_sgpr_queue_ptr 0
		.amdhsa_user_sgpr_kernarg_segment_ptr 1
		.amdhsa_user_sgpr_dispatch_id 0
		.amdhsa_user_sgpr_flat_scratch_init 0
		.amdhsa_user_sgpr_kernarg_preload_length 0
		.amdhsa_user_sgpr_kernarg_preload_offset 0
		.amdhsa_user_sgpr_private_segment_size 0
		.amdhsa_uses_dynamic_stack 0
		.amdhsa_system_sgpr_private_segment_wavefront_offset 0
		.amdhsa_system_sgpr_workgroup_id_x 1
		.amdhsa_system_sgpr_workgroup_id_y 0
		.amdhsa_system_sgpr_workgroup_id_z 0
		.amdhsa_system_sgpr_workgroup_info 0
		.amdhsa_system_vgpr_workitem_id 1
		.amdhsa_next_free_vgpr 23
		.amdhsa_next_free_sgpr 26
		.amdhsa_accum_offset 24
		.amdhsa_reserve_vcc 1
		.amdhsa_reserve_flat_scratch 0
		.amdhsa_float_round_mode_32 0
		.amdhsa_float_round_mode_16_64 0
		.amdhsa_float_denorm_mode_32 3
		.amdhsa_float_denorm_mode_16_64 3
		.amdhsa_dx10_clamp 1
		.amdhsa_ieee_mode 1
		.amdhsa_fp16_overflow 0
		.amdhsa_tg_split 0
		.amdhsa_exception_fp_ieee_invalid_op 0
		.amdhsa_exception_fp_denorm_src 0
		.amdhsa_exception_fp_ieee_div_zero 0
		.amdhsa_exception_fp_ieee_overflow 0
		.amdhsa_exception_fp_ieee_underflow 0
		.amdhsa_exception_fp_ieee_inexact 0
		.amdhsa_exception_int_div_zero 0
	.end_amdhsa_kernel
	.section	.text._ZN4vllm3moe10topkGatingILi4ELi8ELi4ELi16ELi64EjfLNS0_11ScoringFuncE0EEEvPKT5_PKbPfiPT4_PiiiibPKf,"axG",@progbits,_ZN4vllm3moe10topkGatingILi4ELi8ELi4ELi16ELi64EjfLNS0_11ScoringFuncE0EEEvPKT5_PKbPfiPT4_PiiiibPKf,comdat
.Lfunc_end30:
	.size	_ZN4vllm3moe10topkGatingILi4ELi8ELi4ELi16ELi64EjfLNS0_11ScoringFuncE0EEEvPKT5_PKbPfiPT4_PiiiibPKf, .Lfunc_end30-_ZN4vllm3moe10topkGatingILi4ELi8ELi4ELi16ELi64EjfLNS0_11ScoringFuncE0EEEvPKT5_PKbPfiPT4_PiiiibPKf
                                        ; -- End function
	.section	.AMDGPU.csdata,"",@progbits
; Kernel info:
; codeLenInByte = 1976
; NumSgprs: 30
; NumVgprs: 23
; NumAgprs: 0
; TotalNumVgprs: 23
; ScratchSize: 0
; MemoryBound: 0
; FloatMode: 240
; IeeeMode: 1
; LDSByteSize: 0 bytes/workgroup (compile time only)
; SGPRBlocks: 3
; VGPRBlocks: 2
; NumSGPRsForWavesPerEU: 30
; NumVGPRsForWavesPerEU: 23
; AccumOffset: 24
; Occupancy: 8
; WaveLimiterHint : 0
; COMPUTE_PGM_RSRC2:SCRATCH_EN: 0
; COMPUTE_PGM_RSRC2:USER_SGPR: 6
; COMPUTE_PGM_RSRC2:TRAP_HANDLER: 0
; COMPUTE_PGM_RSRC2:TGID_X_EN: 1
; COMPUTE_PGM_RSRC2:TGID_Y_EN: 0
; COMPUTE_PGM_RSRC2:TGID_Z_EN: 0
; COMPUTE_PGM_RSRC2:TIDIG_COMP_CNT: 1
; COMPUTE_PGM_RSRC3_GFX90A:ACCUM_OFFSET: 5
; COMPUTE_PGM_RSRC3_GFX90A:TG_SPLIT: 0
	.section	.text._ZN4vllm3moe10topkGatingILi4ELi8ELi4ELi16ELi32EjfLNS0_11ScoringFuncE0EEEvPKT5_PKbPfiPT4_PiiiibPKf,"axG",@progbits,_ZN4vllm3moe10topkGatingILi4ELi8ELi4ELi16ELi32EjfLNS0_11ScoringFuncE0EEEvPKT5_PKbPfiPT4_PiiiibPKf,comdat
	.protected	_ZN4vllm3moe10topkGatingILi4ELi8ELi4ELi16ELi32EjfLNS0_11ScoringFuncE0EEEvPKT5_PKbPfiPT4_PiiiibPKf ; -- Begin function _ZN4vllm3moe10topkGatingILi4ELi8ELi4ELi16ELi32EjfLNS0_11ScoringFuncE0EEEvPKT5_PKbPfiPT4_PiiiibPKf
	.globl	_ZN4vllm3moe10topkGatingILi4ELi8ELi4ELi16ELi32EjfLNS0_11ScoringFuncE0EEEvPKT5_PKbPfiPT4_PiiiibPKf
	.p2align	8
	.type	_ZN4vllm3moe10topkGatingILi4ELi8ELi4ELi16ELi32EjfLNS0_11ScoringFuncE0EEEvPKT5_PKbPfiPT4_PiiiibPKf,@function
_ZN4vllm3moe10topkGatingILi4ELi8ELi4ELi16ELi32EjfLNS0_11ScoringFuncE0EEEvPKT5_PKbPfiPT4_PiiiibPKf: ; @_ZN4vllm3moe10topkGatingILi4ELi8ELi4ELi16ELi32EjfLNS0_11ScoringFuncE0EEEvPKT5_PKbPfiPT4_PiiiibPKf
; %bb.0:
	s_load_dword s24, s[4:5], 0x18
	v_bfe_u32 v1, v0, 10, 10
	v_and_b32_e32 v0, 0x3ff, v0
	s_lshl_b32 s0, s6, 6
	v_lshlrev_b32_e32 v1, 4, v1
	v_lshrrev_b32_e32 v2, 1, v0
	v_add3_u32 v8, s0, v1, v2
	s_waitcnt lgkmcnt(0)
	v_cmp_gt_i32_e32 vcc, s24, v8
	s_and_saveexec_b64 s[0:1], vcc
	s_cbranch_execz .LBB31_30
; %bb.1:
	s_load_dwordx4 s[0:3], s[4:5], 0x0
	s_load_dwordx2 s[6:7], s[4:5], 0x10
	s_mov_b64 s[8:9], -1
	s_mov_b64 s[16:17], -1
	s_waitcnt lgkmcnt(0)
	s_cmp_eq_u64 s[2:3], 0
	s_cbranch_scc1 .LBB31_3
; %bb.2:
	v_ashrrev_i32_e32 v1, 31, v8
	v_mov_b32_e32 v3, s3
	v_add_co_u32_e32 v2, vcc, s2, v8
	v_addc_co_u32_e32 v3, vcc, v3, v1, vcc
	global_load_ubyte v1, v[2:3], off
	s_waitcnt vmcnt(0)
	v_and_b32_e32 v1, 1, v1
	v_cmp_eq_u32_e32 vcc, 1, v1
	s_xor_b64 s[2:3], vcc, -1
	s_orn2_b64 s[16:17], s[2:3], exec
.LBB31_3:
	v_lshlrev_b32_e32 v2, 3, v8
	v_ashrrev_i32_e32 v3, 31, v2
	v_lshlrev_b64 v[2:3], 2, v[2:3]
	v_mov_b32_e32 v1, s1
	v_add_co_u32_e32 v2, vcc, s0, v2
	v_and_b32_e32 v9, 1, v0
	v_addc_co_u32_e32 v1, vcc, v1, v3, vcc
	v_lshlrev_b32_e32 v0, 4, v9
	v_add_co_u32_e32 v0, vcc, v2, v0
	v_addc_co_u32_e32 v1, vcc, 0, v1, vcc
	global_load_dwordx4 v[0:3], v[0:1], off
	v_mbcnt_lo_u32_b32 v4, -1, 0
	v_mbcnt_hi_u32_b32 v4, -1, v4
	v_and_b32_e32 v6, 0x7e, v4
	v_xor_b32_e32 v5, 1, v4
	v_add_u32_e32 v6, 2, v6
	v_cmp_lt_i32_e32 vcc, v5, v6
	v_cndmask_b32_e32 v4, v4, v5, vcc
	v_lshlrev_b32_e32 v10, 2, v4
	s_mov_b32 s0, 0x3fb8aa3b
	s_mov_b32 s1, 0xc2ce8ed0
	;; [unrolled: 1-line block ×3, first 2 shown]
	v_mov_b32_e32 v6, 0x7f800000
	s_movk_i32 s10, 0x1f8
	s_waitcnt vmcnt(0)
	v_max_f32_e32 v4, v1, v1
	v_max_f32_e32 v5, v0, v0
	;; [unrolled: 1-line block ×3, first 2 shown]
	v_max3_f32 v4, v4, v2, v3
	ds_bpermute_b32 v5, v10, v4
	s_waitcnt lgkmcnt(0)
	v_max_f32_e32 v5, v5, v5
	v_max_f32_e32 v4, v4, v5
	v_pk_add_f32 v[0:1], v[0:1], v[4:5] op_sel_hi:[1,0] neg_lo:[0,1] neg_hi:[0,1]
	v_sub_f32_e32 v2, v2, v4
	v_sub_f32_e32 v3, v3, v4
	v_mul_f32_e32 v4, 0x3fb8aa3b, v1
	v_mul_f32_e32 v5, 0x3fb8aa3b, v0
	v_fma_f32 v12, v1, s0, -v4
	v_rndne_f32_e32 v13, v4
	v_mul_f32_e32 v7, 0x3fb8aa3b, v2
	v_fma_f32 v14, v0, s0, -v5
	v_rndne_f32_e32 v15, v5
	v_fmac_f32_e32 v12, 0x32a5705f, v1
	v_sub_f32_e32 v4, v4, v13
	v_mul_f32_e32 v11, 0x3fb8aa3b, v3
	v_fma_f32 v16, v2, s0, -v7
	v_rndne_f32_e32 v17, v7
	v_fmac_f32_e32 v14, 0x32a5705f, v0
	v_sub_f32_e32 v5, v5, v15
	v_add_f32_e32 v4, v4, v12
	v_fma_f32 v18, v3, s0, -v11
	v_rndne_f32_e32 v19, v11
	v_cvt_i32_f32_e32 v13, v13
	v_fmac_f32_e32 v16, 0x32a5705f, v2
	v_sub_f32_e32 v7, v7, v17
	v_add_f32_e32 v5, v5, v14
	v_exp_f32_e32 v4, v4
	v_cvt_i32_f32_e32 v15, v15
	v_fmac_f32_e32 v18, 0x32a5705f, v3
	v_sub_f32_e32 v11, v11, v19
	v_add_f32_e32 v7, v7, v16
	v_exp_f32_e32 v5, v5
	v_cvt_i32_f32_e32 v17, v17
	v_add_f32_e32 v11, v11, v18
	v_exp_f32_e32 v7, v7
	v_cvt_i32_f32_e32 v19, v19
	v_exp_f32_e32 v11, v11
	v_ldexp_f32 v4, v4, v13
	v_cmp_ngt_f32_e32 vcc, s1, v1
	v_ldexp_f32 v5, v5, v15
	v_cndmask_b32_e32 v4, 0, v4, vcc
	v_cmp_ngt_f32_e32 vcc, s1, v0
	v_ldexp_f32 v7, v7, v17
	v_cndmask_b32_e32 v5, 0, v5, vcc
	;; [unrolled: 3-line block ×3, first 2 shown]
	v_cmp_ngt_f32_e32 vcc, s1, v3
	v_cndmask_b32_e32 v11, 0, v11, vcc
	v_cmp_nlt_f32_e32 vcc, s2, v1
	v_cndmask_b32_e32 v1, v6, v4, vcc
	v_cmp_nlt_f32_e32 vcc, s2, v0
	;; [unrolled: 2-line block ×4, first 2 shown]
	v_add_f32_e32 v4, v0, v1
	v_cndmask_b32_e32 v3, v6, v11, vcc
	v_add_f32_e32 v4, v4, v2
	v_add_f32_e32 v4, v4, v3
	ds_bpermute_b32 v5, v10, v4
	s_load_dwordx2 s[0:1], s[4:5], 0x40
	v_lshlrev_b32_e32 v11, 2, v9
	s_waitcnt lgkmcnt(0)
	v_add_f32_e32 v4, v4, v5
	v_div_scale_f32 v5, s[2:3], v4, v4, 1.0
	v_rcp_f32_e32 v6, v5
	v_div_scale_f32 v7, vcc, 1.0, v4, 1.0
	s_cmp_eq_u64 s[0:1], 0
	v_fma_f32 v12, -v5, v6, 1.0
	v_fmac_f32_e32 v6, v12, v6
	v_mul_f32_e32 v12, v7, v6
	v_fma_f32 v13, -v5, v12, v7
	v_fmac_f32_e32 v12, v13, v6
	v_fma_f32 v5, -v5, v12, v7
	v_div_fmas_f32 v5, v5, v6, v12
	v_div_fixup_f32 v4, v5, v4, 1.0
	v_mul_f32_e32 v0, v4, v0
	v_mul_f32_e32 v1, v4, v1
	v_cmp_class_f32_e64 vcc, v0, s10
	v_mul_f32_e32 v2, v4, v2
	v_cndmask_b32_e32 v0, 0, v0, vcc
	v_cmp_class_f32_e64 vcc, v1, s10
	v_mul_f32_e32 v3, v4, v3
	v_cndmask_b32_e32 v1, 0, v1, vcc
	v_cmp_class_f32_e64 vcc, v2, s10
	v_cndmask_b32_e32 v2, 0, v2, vcc
	v_cmp_class_f32_e64 vcc, v3, s10
	v_cndmask_b32_e32 v3, 0, v3, vcc
	s_cbranch_scc1 .LBB31_19
; %bb.4:
	v_lshlrev_b32_e32 v4, 2, v11
	global_load_dwordx4 v[4:7], v4, s[0:1]
	s_waitcnt vmcnt(0)
	v_pk_add_f32 v[4:5], v[4:5], v[0:1]
	v_pk_add_f32 v[6:7], v[6:7], v[2:3]
	s_cbranch_execnz .LBB31_6
.LBB31_5:
	v_pk_mov_b32 v[6:7], v[2:3], v[2:3] op_sel:[0,1]
	v_pk_mov_b32 v[4:5], v[0:1], v[0:1] op_sel:[0,1]
.LBB31_6:
	s_load_dwordx4 s[8:11], s[4:5], 0x30
	s_mov_b32 s25, 0
	v_cmp_eq_u32_e64 s[0:1], 0, v9
	s_waitcnt lgkmcnt(0)
	s_bitcmp1_b32 s11, 0
	s_cselect_b64 vcc, -1, 0
	s_cmp_gt_i32 s8, 0
	s_cselect_b64 s[18:19], -1, 0
	s_cmp_lt_i32 s8, 1
	s_cbranch_scc1 .LBB31_20
; %bb.7:
	s_load_dwordx4 s[12:15], s[4:5], 0x20
	v_mul_lo_u32 v13, v8, s8
	v_mov_b32_e32 v12, 0
	v_mov_b32_e32 v14, 0xc61c4000
	;; [unrolled: 1-line block ×3, first 2 shown]
	s_branch .LBB31_10
.LBB31_8:                               ;   in Loop: Header=BB31_10 Depth=1
	s_or_b64 exec, exec, s[4:5]
.LBB31_9:                               ;   in Loop: Header=BB31_10 Depth=1
	s_cmp_eq_u32 s8, s25
	v_add_u32_e32 v15, s24, v15
	s_cbranch_scc1 .LBB31_21
.LBB31_10:                              ; =>This Inner Loop Header: Depth=1
	v_cmp_gt_f32_e64 s[2:3], v5, v4
	v_cndmask_b32_e64 v16, v4, v5, s[2:3]
	v_cndmask_b32_e64 v17, v0, v1, s[2:3]
	v_cndmask_b32_e64 v18, 0, 1, s[2:3]
	v_cmp_gt_f32_e64 s[2:3], v6, v16
	v_cndmask_b32_e64 v16, v16, v6, s[2:3]
	v_cndmask_b32_e64 v17, v17, v2, s[2:3]
	v_cndmask_b32_e64 v18, v18, 2, s[2:3]
	;; [unrolled: 4-line block ×3, first 2 shown]
	v_or_b32_e32 v16, v11, v16
	ds_bpermute_b32 v21, v10, v20
	ds_bpermute_b32 v19, v10, v17
	;; [unrolled: 1-line block ×3, first 2 shown]
	s_waitcnt lgkmcnt(0)
	v_cmp_lt_f32_e64 s[20:21], v20, v21
	v_cmp_nlt_f32_e64 s[2:3], v20, v21
	s_and_saveexec_b64 s[22:23], s[2:3]
	s_cbranch_execnz .LBB31_14
; %bb.11:                               ;   in Loop: Header=BB31_10 Depth=1
	s_or_b64 exec, exec, s[22:23]
	s_and_saveexec_b64 s[2:3], s[20:21]
	s_cbranch_execnz .LBB31_15
.LBB31_12:                              ;   in Loop: Header=BB31_10 Depth=1
	s_or_b64 exec, exec, s[2:3]
	s_and_saveexec_b64 s[20:21], s[0:1]
	s_cbranch_execnz .LBB31_16
.LBB31_13:                              ;   in Loop: Header=BB31_10 Depth=1
	s_or_b64 exec, exec, s[20:21]
	s_add_i32 s25, s25, 1
	s_cmp_ge_i32 s25, s8
	s_cbranch_scc1 .LBB31_9
	s_branch .LBB31_17
.LBB31_14:                              ;   in Loop: Header=BB31_10 Depth=1
	v_cmp_eq_f32_e64 s[2:3], v20, v21
	v_cmp_lt_i32_e64 s[4:5], v18, v16
	s_and_b64 s[2:3], s[2:3], s[4:5]
	s_andn2_b64 s[4:5], s[20:21], exec
	s_and_b64 s[2:3], s[2:3], exec
	s_or_b64 s[20:21], s[4:5], s[2:3]
	s_or_b64 exec, exec, s[22:23]
	s_and_saveexec_b64 s[2:3], s[20:21]
	s_cbranch_execz .LBB31_12
.LBB31_15:                              ;   in Loop: Header=BB31_10 Depth=1
	v_mov_b32_e32 v17, v19
	v_mov_b32_e32 v16, v18
	s_or_b64 exec, exec, s[2:3]
	s_and_saveexec_b64 s[20:21], s[0:1]
	s_cbranch_execz .LBB31_13
.LBB31_16:                              ;   in Loop: Header=BB31_10 Depth=1
	v_add_u32_e32 v18, s25, v13
	v_ashrrev_i32_e32 v19, 31, v18
	v_cmp_le_i32_e64 s[2:3], s9, v16
	v_cmp_gt_i32_e64 s[4:5], s10, v16
	v_lshlrev_b64 v[18:19], 2, v[18:19]
	s_and_b64 s[4:5], s[2:3], s[4:5]
	v_mov_b32_e32 v21, s7
	v_add_co_u32_e64 v20, s[2:3], s6, v18
	v_addc_co_u32_e64 v21, s[2:3], v21, v19, s[2:3]
	global_store_dword v[20:21], v17, off
	v_subrev_u32_e32 v20, s9, v16
	s_and_b64 s[2:3], s[16:17], s[4:5]
	v_cndmask_b32_e64 v22, 8, v20, s[2:3]
	v_mov_b32_e32 v21, s13
	v_add_co_u32_e64 v20, s[2:3], s12, v18
	v_addc_co_u32_e64 v21, s[2:3], v21, v19, s[2:3]
	global_store_dword v[20:21], v22, off
	v_mov_b32_e32 v20, s15
	v_add_co_u32_e64 v18, s[2:3], s14, v18
	v_add_f32_e32 v17, v12, v17
	v_addc_co_u32_e64 v19, s[2:3], v20, v19, s[2:3]
	v_cndmask_b32_e32 v12, v12, v17, vcc
	global_store_dword v[18:19], v15, off
	s_or_b64 exec, exec, s[20:21]
	s_add_i32 s25, s25, 1
	s_cmp_ge_i32 s25, s8
	s_cbranch_scc1 .LBB31_9
.LBB31_17:                              ;   in Loop: Header=BB31_10 Depth=1
	v_ashrrev_i32_e32 v18, 31, v16
	v_lshrrev_b32_e32 v17, 30, v18
	v_add_u32_e32 v19, v16, v17
	v_ashrrev_i32_e32 v17, 2, v19
	v_lshrrev_b32_e32 v19, 31, v19
	v_add_u32_e32 v19, v17, v19
	v_and_b32_e32 v19, -2, v19
	v_sub_u32_e32 v19, v17, v19
	v_cmp_eq_u32_e64 s[2:3], v9, v19
	s_and_saveexec_b64 s[4:5], s[2:3]
	s_cbranch_execz .LBB31_8
; %bb.18:                               ;   in Loop: Header=BB31_10 Depth=1
	v_lshrrev_b32_e32 v18, 29, v18
	v_add_u32_e32 v18, v16, v18
	v_lshlrev_b32_e32 v17, 2, v17
	v_ashrrev_i32_e32 v18, 3, v18
	v_sub_u32_e32 v16, v16, v17
	v_lshl_add_u32 v16, v18, 2, v16
	v_cmp_ne_u32_e64 s[2:3], 3, v16
	v_cndmask_b32_e64 v7, v14, v7, s[2:3]
	v_cmp_ne_u32_e64 s[2:3], 2, v16
	v_cndmask_b32_e64 v6, v14, v6, s[2:3]
	;; [unrolled: 2-line block ×4, first 2 shown]
	s_branch .LBB31_8
.LBB31_19:
                                        ; implicit-def: $vgpr4_vgpr5_vgpr6_vgpr7
	s_andn2_b64 vcc, exec, s[8:9]
	s_cbranch_vccz .LBB31_5
	s_branch .LBB31_6
.LBB31_20:
	v_mov_b32_e32 v12, 0
.LBB31_21:
	v_cmp_eq_u32_e64 s[0:1], 0, v9
	s_and_b64 s[0:1], s[0:1], vcc
	s_and_b64 exec, exec, s[0:1]
	s_cbranch_execz .LBB31_30
; %bb.22:
	s_andn2_b64 vcc, exec, s[18:19]
	s_cbranch_vccnz .LBB31_30
; %bb.23:
	v_cmp_lt_f32_e32 vcc, 0, v12
	s_mov_b32 s2, 0
	v_cndmask_b32_e32 v0, 1.0, v12, vcc
	v_mul_lo_u32 v4, v8, s8
	s_cmp_eq_u32 s8, 1
	s_mov_b64 s[0:1], -1
	s_cbranch_scc1 .LBB31_27
; %bb.24:
	s_and_b32 s2, s8, 0x7ffffffe
	v_mov_b32_e32 v1, v0
	v_mov_b32_e32 v5, s7
	s_mov_b32 s3, s2
	v_mov_b32_e32 v2, v4
.LBB31_25:                              ; =>This Inner Loop Header: Depth=1
	v_ashrrev_i32_e32 v3, 31, v2
	v_lshlrev_b64 v[6:7], 2, v[2:3]
	v_add_co_u32_e32 v6, vcc, s6, v6
	v_addc_co_u32_e32 v7, vcc, v5, v7, vcc
	global_load_dwordx2 v[8:9], v[6:7], off
	s_add_i32 s3, s3, -2
	s_cmp_lg_u32 s3, 0
	v_add_u32_e32 v2, 2, v2
	s_waitcnt vmcnt(0)
	v_div_scale_f32 v3, s[0:1], v1, v1, v9
	v_div_scale_f32 v11, s[0:1], v0, v0, v8
	v_rcp_f32_e32 v12, v3
	v_rcp_f32_e32 v13, v11
	v_div_scale_f32 v10, vcc, v9, v1, v9
	v_fma_f32 v15, -v3, v12, 1.0
	v_fma_f32 v16, -v11, v13, 1.0
	v_fmac_f32_e32 v12, v15, v12
	v_div_scale_f32 v14, s[0:1], v8, v0, v8
	v_fmac_f32_e32 v13, v16, v13
	v_mul_f32_e32 v15, v10, v12
	v_mul_f32_e32 v16, v14, v13
	v_fma_f32 v17, -v3, v15, v10
	v_fma_f32 v18, -v11, v16, v14
	v_fmac_f32_e32 v15, v17, v12
	v_fmac_f32_e32 v16, v18, v13
	v_fma_f32 v3, -v3, v15, v10
	v_fma_f32 v10, -v11, v16, v14
	v_div_fmas_f32 v3, v3, v12, v15
	s_mov_b64 vcc, s[0:1]
	v_div_fixup_f32 v9, v3, v1, v9
	v_div_fmas_f32 v3, v10, v13, v16
	v_div_fixup_f32 v8, v3, v0, v8
	global_store_dwordx2 v[6:7], v[8:9], off
	s_cbranch_scc1 .LBB31_25
; %bb.26:
	s_cmp_lg_u32 s2, s8
	s_cselect_b64 s[0:1], -1, 0
.LBB31_27:
	s_and_b64 vcc, exec, s[0:1]
	s_cbranch_vccz .LBB31_30
; %bb.28:
	v_ashrrev_i32_e32 v1, 31, v4
	v_add_co_u32_e32 v2, vcc, s2, v4
	v_addc_co_u32_e32 v3, vcc, 0, v1, vcc
	v_lshlrev_b64 v[2:3], 2, v[2:3]
	v_mov_b32_e32 v1, s7
	v_add_co_u32_e32 v2, vcc, s6, v2
	s_sub_i32 s0, s8, s2
	v_addc_co_u32_e32 v3, vcc, v1, v3, vcc
.LBB31_29:                              ; =>This Inner Loop Header: Depth=1
	global_load_dword v1, v[2:3], off
	s_add_i32 s0, s0, -1
	s_cmp_lg_u32 s0, 0
	s_waitcnt vmcnt(0)
	v_div_scale_f32 v4, s[2:3], v0, v0, v1
	v_rcp_f32_e32 v5, v4
	v_div_scale_f32 v6, vcc, v1, v0, v1
	v_fma_f32 v7, -v4, v5, 1.0
	v_fmac_f32_e32 v5, v7, v5
	v_mul_f32_e32 v7, v6, v5
	v_fma_f32 v8, -v4, v7, v6
	v_fmac_f32_e32 v7, v8, v5
	v_fma_f32 v4, -v4, v7, v6
	v_div_fmas_f32 v4, v4, v5, v7
	v_div_fixup_f32 v1, v4, v0, v1
	global_store_dword v[2:3], v1, off
	v_add_co_u32_e32 v2, vcc, 4, v2
	v_addc_co_u32_e32 v3, vcc, 0, v3, vcc
	s_cbranch_scc1 .LBB31_29
.LBB31_30:
	s_endpgm
	.section	.rodata,"a",@progbits
	.p2align	6, 0x0
	.amdhsa_kernel _ZN4vllm3moe10topkGatingILi4ELi8ELi4ELi16ELi32EjfLNS0_11ScoringFuncE0EEEvPKT5_PKbPfiPT4_PiiiibPKf
		.amdhsa_group_segment_fixed_size 0
		.amdhsa_private_segment_fixed_size 0
		.amdhsa_kernarg_size 72
		.amdhsa_user_sgpr_count 6
		.amdhsa_user_sgpr_private_segment_buffer 1
		.amdhsa_user_sgpr_dispatch_ptr 0
		.amdhsa_user_sgpr_queue_ptr 0
		.amdhsa_user_sgpr_kernarg_segment_ptr 1
		.amdhsa_user_sgpr_dispatch_id 0
		.amdhsa_user_sgpr_flat_scratch_init 0
		.amdhsa_user_sgpr_kernarg_preload_length 0
		.amdhsa_user_sgpr_kernarg_preload_offset 0
		.amdhsa_user_sgpr_private_segment_size 0
		.amdhsa_uses_dynamic_stack 0
		.amdhsa_system_sgpr_private_segment_wavefront_offset 0
		.amdhsa_system_sgpr_workgroup_id_x 1
		.amdhsa_system_sgpr_workgroup_id_y 0
		.amdhsa_system_sgpr_workgroup_id_z 0
		.amdhsa_system_sgpr_workgroup_info 0
		.amdhsa_system_vgpr_workitem_id 1
		.amdhsa_next_free_vgpr 23
		.amdhsa_next_free_sgpr 26
		.amdhsa_accum_offset 24
		.amdhsa_reserve_vcc 1
		.amdhsa_reserve_flat_scratch 0
		.amdhsa_float_round_mode_32 0
		.amdhsa_float_round_mode_16_64 0
		.amdhsa_float_denorm_mode_32 3
		.amdhsa_float_denorm_mode_16_64 3
		.amdhsa_dx10_clamp 1
		.amdhsa_ieee_mode 1
		.amdhsa_fp16_overflow 0
		.amdhsa_tg_split 0
		.amdhsa_exception_fp_ieee_invalid_op 0
		.amdhsa_exception_fp_denorm_src 0
		.amdhsa_exception_fp_ieee_div_zero 0
		.amdhsa_exception_fp_ieee_overflow 0
		.amdhsa_exception_fp_ieee_underflow 0
		.amdhsa_exception_fp_ieee_inexact 0
		.amdhsa_exception_int_div_zero 0
	.end_amdhsa_kernel
	.section	.text._ZN4vllm3moe10topkGatingILi4ELi8ELi4ELi16ELi32EjfLNS0_11ScoringFuncE0EEEvPKT5_PKbPfiPT4_PiiiibPKf,"axG",@progbits,_ZN4vllm3moe10topkGatingILi4ELi8ELi4ELi16ELi32EjfLNS0_11ScoringFuncE0EEEvPKT5_PKbPfiPT4_PiiiibPKf,comdat
.Lfunc_end31:
	.size	_ZN4vllm3moe10topkGatingILi4ELi8ELi4ELi16ELi32EjfLNS0_11ScoringFuncE0EEEvPKT5_PKbPfiPT4_PiiiibPKf, .Lfunc_end31-_ZN4vllm3moe10topkGatingILi4ELi8ELi4ELi16ELi32EjfLNS0_11ScoringFuncE0EEEvPKT5_PKbPfiPT4_PiiiibPKf
                                        ; -- End function
	.section	.AMDGPU.csdata,"",@progbits
; Kernel info:
; codeLenInByte = 1976
; NumSgprs: 30
; NumVgprs: 23
; NumAgprs: 0
; TotalNumVgprs: 23
; ScratchSize: 0
; MemoryBound: 0
; FloatMode: 240
; IeeeMode: 1
; LDSByteSize: 0 bytes/workgroup (compile time only)
; SGPRBlocks: 3
; VGPRBlocks: 2
; NumSGPRsForWavesPerEU: 30
; NumVGPRsForWavesPerEU: 23
; AccumOffset: 24
; Occupancy: 8
; WaveLimiterHint : 0
; COMPUTE_PGM_RSRC2:SCRATCH_EN: 0
; COMPUTE_PGM_RSRC2:USER_SGPR: 6
; COMPUTE_PGM_RSRC2:TRAP_HANDLER: 0
; COMPUTE_PGM_RSRC2:TGID_X_EN: 1
; COMPUTE_PGM_RSRC2:TGID_Y_EN: 0
; COMPUTE_PGM_RSRC2:TGID_Z_EN: 0
; COMPUTE_PGM_RSRC2:TIDIG_COMP_CNT: 1
; COMPUTE_PGM_RSRC3_GFX90A:ACCUM_OFFSET: 5
; COMPUTE_PGM_RSRC3_GFX90A:TG_SPLIT: 0
	.section	.text._ZN4vllm3moe10topkGatingILi4ELi16ELi4ELi16ELi64EjfLNS0_11ScoringFuncE0EEEvPKT5_PKbPfiPT4_PiiiibPKf,"axG",@progbits,_ZN4vllm3moe10topkGatingILi4ELi16ELi4ELi16ELi64EjfLNS0_11ScoringFuncE0EEEvPKT5_PKbPfiPT4_PiiiibPKf,comdat
	.protected	_ZN4vllm3moe10topkGatingILi4ELi16ELi4ELi16ELi64EjfLNS0_11ScoringFuncE0EEEvPKT5_PKbPfiPT4_PiiiibPKf ; -- Begin function _ZN4vllm3moe10topkGatingILi4ELi16ELi4ELi16ELi64EjfLNS0_11ScoringFuncE0EEEvPKT5_PKbPfiPT4_PiiiibPKf
	.globl	_ZN4vllm3moe10topkGatingILi4ELi16ELi4ELi16ELi64EjfLNS0_11ScoringFuncE0EEEvPKT5_PKbPfiPT4_PiiiibPKf
	.p2align	8
	.type	_ZN4vllm3moe10topkGatingILi4ELi16ELi4ELi16ELi64EjfLNS0_11ScoringFuncE0EEEvPKT5_PKbPfiPT4_PiiiibPKf,@function
_ZN4vllm3moe10topkGatingILi4ELi16ELi4ELi16ELi64EjfLNS0_11ScoringFuncE0EEEvPKT5_PKbPfiPT4_PiiiibPKf: ; @_ZN4vllm3moe10topkGatingILi4ELi16ELi4ELi16ELi64EjfLNS0_11ScoringFuncE0EEEvPKT5_PKbPfiPT4_PiiiibPKf
; %bb.0:
	s_load_dword s22, s[4:5], 0x18
	v_bfe_u32 v1, v0, 10, 10
	v_and_b32_e32 v0, 0x3ff, v0
	s_lshl_b32 s0, s6, 6
	v_lshlrev_b32_e32 v1, 4, v1
	v_lshrrev_b32_e32 v2, 2, v0
	v_add3_u32 v8, s0, v1, v2
	s_waitcnt lgkmcnt(0)
	v_cmp_gt_i32_e32 vcc, s22, v8
	s_and_saveexec_b64 s[0:1], vcc
	s_cbranch_execz .LBB32_26
; %bb.1:
	s_load_dwordx4 s[0:3], s[4:5], 0x0
	s_load_dwordx2 s[16:17], s[4:5], 0x10
	s_mov_b64 s[6:7], -1
	s_mov_b64 s[18:19], -1
	s_waitcnt lgkmcnt(0)
	s_cmp_eq_u64 s[2:3], 0
	s_cbranch_scc1 .LBB32_3
; %bb.2:
	v_ashrrev_i32_e32 v1, 31, v8
	v_mov_b32_e32 v3, s3
	v_add_co_u32_e32 v2, vcc, s2, v8
	v_addc_co_u32_e32 v3, vcc, v3, v1, vcc
	global_load_ubyte v1, v[2:3], off
	s_waitcnt vmcnt(0)
	v_and_b32_e32 v1, 1, v1
	v_cmp_eq_u32_e32 vcc, 1, v1
	s_xor_b64 s[2:3], vcc, -1
	s_orn2_b64 s[18:19], s[2:3], exec
.LBB32_3:
	v_lshlrev_b32_e32 v2, 4, v8
	v_ashrrev_i32_e32 v3, 31, v2
	v_lshlrev_b64 v[2:3], 2, v[2:3]
	v_mov_b32_e32 v1, s1
	v_add_co_u32_e32 v2, vcc, s0, v2
	v_and_b32_e32 v9, 3, v0
	v_addc_co_u32_e32 v1, vcc, v1, v3, vcc
	v_lshlrev_b32_e32 v0, 4, v9
	v_add_co_u32_e32 v0, vcc, v2, v0
	v_addc_co_u32_e32 v1, vcc, 0, v1, vcc
	global_load_dwordx4 v[0:3], v[0:1], off
	v_mbcnt_lo_u32_b32 v4, -1, 0
	v_mbcnt_hi_u32_b32 v4, -1, v4
	v_and_b32_e32 v5, 0x7c, v4
	v_xor_b32_e32 v6, 2, v4
	v_add_u32_e32 v5, 4, v5
	v_cmp_lt_i32_e32 vcc, v6, v5
	v_cndmask_b32_e32 v6, v4, v6, vcc
	v_lshlrev_b32_e32 v10, 2, v6
	v_xor_b32_e32 v11, 1, v4
	v_cmp_lt_i32_e32 vcc, v11, v5
	v_cndmask_b32_e32 v4, v4, v11, vcc
	v_lshlrev_b32_e32 v11, 2, v4
	s_mov_b32 s0, 0x3fb8aa3b
	s_mov_b32 s1, 0xc2ce8ed0
	;; [unrolled: 1-line block ×3, first 2 shown]
	s_movk_i32 s8, 0x1f8
	s_waitcnt vmcnt(0)
	v_max_f32_e32 v6, v1, v1
	v_max_f32_e32 v7, v0, v0
	;; [unrolled: 1-line block ×3, first 2 shown]
	v_max3_f32 v6, v6, v2, v3
	ds_bpermute_b32 v7, v10, v6
	s_waitcnt lgkmcnt(0)
	v_max_f32_e32 v4, v7, v7
	v_max_f32_e32 v4, v6, v4
	ds_bpermute_b32 v5, v11, v4
	v_mov_b32_e32 v6, 0x7f800000
	s_waitcnt lgkmcnt(0)
	v_max_f32_e32 v5, v5, v5
	v_max_f32_e32 v4, v4, v5
	v_pk_add_f32 v[0:1], v[0:1], v[4:5] op_sel_hi:[1,0] neg_lo:[0,1] neg_hi:[0,1]
	v_sub_f32_e32 v2, v2, v4
	v_sub_f32_e32 v3, v3, v4
	v_mul_f32_e32 v4, 0x3fb8aa3b, v1
	v_mul_f32_e32 v5, 0x3fb8aa3b, v0
	v_fma_f32 v13, v1, s0, -v4
	v_rndne_f32_e32 v14, v4
	v_mul_f32_e32 v7, 0x3fb8aa3b, v2
	v_fma_f32 v15, v0, s0, -v5
	v_rndne_f32_e32 v16, v5
	v_fmac_f32_e32 v13, 0x32a5705f, v1
	v_sub_f32_e32 v4, v4, v14
	v_mul_f32_e32 v12, 0x3fb8aa3b, v3
	v_fma_f32 v17, v2, s0, -v7
	v_rndne_f32_e32 v18, v7
	v_fmac_f32_e32 v15, 0x32a5705f, v0
	v_sub_f32_e32 v5, v5, v16
	v_add_f32_e32 v4, v4, v13
	v_fma_f32 v19, v3, s0, -v12
	v_rndne_f32_e32 v20, v12
	v_cvt_i32_f32_e32 v14, v14
	v_fmac_f32_e32 v17, 0x32a5705f, v2
	v_sub_f32_e32 v7, v7, v18
	v_add_f32_e32 v5, v5, v15
	v_exp_f32_e32 v4, v4
	v_cvt_i32_f32_e32 v16, v16
	v_fmac_f32_e32 v19, 0x32a5705f, v3
	v_sub_f32_e32 v12, v12, v20
	v_add_f32_e32 v7, v7, v17
	v_exp_f32_e32 v5, v5
	v_cvt_i32_f32_e32 v18, v18
	v_add_f32_e32 v12, v12, v19
	v_exp_f32_e32 v7, v7
	v_cvt_i32_f32_e32 v20, v20
	v_exp_f32_e32 v12, v12
	v_ldexp_f32 v4, v4, v14
	v_cmp_ngt_f32_e32 vcc, s1, v1
	v_ldexp_f32 v5, v5, v16
	v_cndmask_b32_e32 v4, 0, v4, vcc
	v_cmp_ngt_f32_e32 vcc, s1, v0
	v_ldexp_f32 v7, v7, v18
	v_cndmask_b32_e32 v5, 0, v5, vcc
	v_cmp_ngt_f32_e32 vcc, s1, v2
	v_ldexp_f32 v12, v12, v20
	v_cndmask_b32_e32 v7, 0, v7, vcc
	v_cmp_ngt_f32_e32 vcc, s1, v3
	v_cndmask_b32_e32 v12, 0, v12, vcc
	v_cmp_nlt_f32_e32 vcc, s2, v1
	v_cndmask_b32_e32 v1, v6, v4, vcc
	v_cmp_nlt_f32_e32 vcc, s2, v0
	;; [unrolled: 2-line block ×4, first 2 shown]
	v_add_f32_e32 v4, v0, v1
	v_cndmask_b32_e32 v3, v6, v12, vcc
	v_add_f32_e32 v4, v4, v2
	v_add_f32_e32 v4, v4, v3
	ds_bpermute_b32 v5, v10, v4
	s_load_dwordx2 s[0:1], s[4:5], 0x40
	v_lshlrev_b32_e32 v12, 2, v9
	s_waitcnt lgkmcnt(0)
	v_add_f32_e32 v4, v4, v5
	ds_bpermute_b32 v5, v11, v4
	s_cmp_eq_u64 s[0:1], 0
	s_waitcnt lgkmcnt(0)
	v_add_f32_e32 v4, v4, v5
	v_div_scale_f32 v5, s[2:3], v4, v4, 1.0
	v_rcp_f32_e32 v6, v5
	v_div_scale_f32 v7, vcc, 1.0, v4, 1.0
	v_fma_f32 v13, -v5, v6, 1.0
	v_fmac_f32_e32 v6, v13, v6
	v_mul_f32_e32 v13, v7, v6
	v_fma_f32 v14, -v5, v13, v7
	v_fmac_f32_e32 v13, v14, v6
	v_fma_f32 v5, -v5, v13, v7
	v_div_fmas_f32 v5, v5, v6, v13
	v_div_fixup_f32 v4, v5, v4, 1.0
	v_mul_f32_e32 v0, v4, v0
	v_mul_f32_e32 v1, v4, v1
	v_cmp_class_f32_e64 vcc, v0, s8
	v_mul_f32_e32 v2, v4, v2
	v_cndmask_b32_e32 v0, 0, v0, vcc
	v_cmp_class_f32_e64 vcc, v1, s8
	v_mul_f32_e32 v3, v4, v3
	v_cndmask_b32_e32 v1, 0, v1, vcc
	v_cmp_class_f32_e64 vcc, v2, s8
	v_cndmask_b32_e32 v2, 0, v2, vcc
	v_cmp_class_f32_e64 vcc, v3, s8
	v_cndmask_b32_e32 v3, 0, v3, vcc
	s_cbranch_scc1 .LBB32_15
; %bb.4:
	v_lshlrev_b32_e32 v4, 2, v12
	global_load_dwordx4 v[4:7], v4, s[0:1]
	s_waitcnt vmcnt(0)
	v_pk_add_f32 v[4:5], v[4:5], v[0:1]
	v_pk_add_f32 v[6:7], v[6:7], v[2:3]
	s_cbranch_execnz .LBB32_6
.LBB32_5:
	v_pk_mov_b32 v[6:7], v[2:3], v[2:3] op_sel:[0,1]
	v_pk_mov_b32 v[4:5], v[0:1], v[0:1] op_sel:[0,1]
.LBB32_6:
	s_load_dwordx4 s[8:11], s[4:5], 0x30
	s_mov_b32 s23, 0
	v_cmp_eq_u32_e64 s[0:1], 0, v9
	s_waitcnt lgkmcnt(0)
	s_bitcmp1_b32 s11, 0
	s_cselect_b64 vcc, -1, 0
	s_cmp_gt_i32 s8, 0
	s_cselect_b64 s[20:21], -1, 0
	s_cmp_lt_i32 s8, 1
	s_cbranch_scc1 .LBB32_16
; %bb.7:
	s_load_dwordx4 s[12:15], s[4:5], 0x20
	v_mul_lo_u32 v14, v8, s8
	v_mov_b32_e32 v13, 0
	v_mov_b32_e32 v15, 0xc61c4000
	;; [unrolled: 1-line block ×3, first 2 shown]
	s_branch .LBB32_10
.LBB32_8:                               ;   in Loop: Header=BB32_10 Depth=1
	s_or_b64 exec, exec, s[4:5]
.LBB32_9:                               ;   in Loop: Header=BB32_10 Depth=1
	s_cmp_eq_u32 s8, s23
	v_add_u32_e32 v16, s22, v16
	s_cbranch_scc1 .LBB32_17
.LBB32_10:                              ; =>This Inner Loop Header: Depth=1
	v_cmp_gt_f32_e64 s[2:3], v5, v4
	v_cndmask_b32_e64 v17, v4, v5, s[2:3]
	v_cndmask_b32_e64 v18, v0, v1, s[2:3]
	s_waitcnt lgkmcnt(0)
	v_cndmask_b32_e64 v19, 0, 1, s[2:3]
	v_cmp_gt_f32_e64 s[2:3], v6, v17
	v_cndmask_b32_e64 v17, v17, v6, s[2:3]
	v_cndmask_b32_e64 v18, v18, v2, s[2:3]
	;; [unrolled: 1-line block ×3, first 2 shown]
	v_cmp_gt_f32_e64 s[2:3], v7, v17
	v_cndmask_b32_e64 v19, v19, 3, s[2:3]
	v_cndmask_b32_e64 v17, v17, v7, s[2:3]
	v_or_b32_e32 v19, v12, v19
	ds_bpermute_b32 v20, v10, v17
	ds_bpermute_b32 v21, v10, v19
	v_cndmask_b32_e64 v18, v18, v3, s[2:3]
	ds_bpermute_b32 v22, v10, v18
	s_waitcnt lgkmcnt(0)
	v_cmp_eq_f32_e64 s[4:5], v17, v20
	v_cmp_lt_i32_e64 s[6:7], v21, v19
	v_cmp_lt_f32_e64 s[2:3], v17, v20
	s_and_b64 s[4:5], s[4:5], s[6:7]
	s_or_b64 s[2:3], s[2:3], s[4:5]
	v_cndmask_b32_e64 v21, v19, v21, s[2:3]
	v_cndmask_b32_e64 v17, v17, v20, s[2:3]
	ds_bpermute_b32 v20, v11, v17
	ds_bpermute_b32 v23, v11, v21
	v_cndmask_b32_e64 v18, v18, v22, s[2:3]
	ds_bpermute_b32 v19, v11, v18
	s_waitcnt lgkmcnt(2)
	v_cmp_eq_f32_e64 s[4:5], v17, v20
	s_waitcnt lgkmcnt(1)
	v_cmp_lt_i32_e64 s[6:7], v23, v21
	v_cmp_lt_f32_e64 s[2:3], v17, v20
	s_and_b64 s[4:5], s[4:5], s[6:7]
	s_or_b64 s[2:3], s[2:3], s[4:5]
	v_cndmask_b32_e64 v17, v21, v23, s[2:3]
	s_and_saveexec_b64 s[6:7], s[0:1]
	s_cbranch_execnz .LBB32_12
; %bb.11:                               ;   in Loop: Header=BB32_10 Depth=1
	s_or_b64 exec, exec, s[6:7]
	s_add_i32 s23, s23, 1
	s_cmp_ge_i32 s23, s8
	s_cbranch_scc1 .LBB32_9
	s_branch .LBB32_13
.LBB32_12:                              ;   in Loop: Header=BB32_10 Depth=1
	s_waitcnt lgkmcnt(0)
	v_cndmask_b32_e64 v22, v18, v19, s[2:3]
	v_add_u32_e32 v18, s23, v14
	v_ashrrev_i32_e32 v19, 31, v18
	v_cmp_le_i32_e64 s[2:3], s9, v17
	v_cmp_gt_i32_e64 s[4:5], s10, v17
	v_lshlrev_b64 v[18:19], 2, v[18:19]
	s_and_b64 s[4:5], s[2:3], s[4:5]
	v_mov_b32_e32 v21, s17
	v_add_co_u32_e64 v20, s[2:3], s16, v18
	v_addc_co_u32_e64 v21, s[2:3], v21, v19, s[2:3]
	global_store_dword v[20:21], v22, off
	v_subrev_u32_e32 v20, s9, v17
	s_and_b64 s[2:3], s[18:19], s[4:5]
	v_cndmask_b32_e64 v23, 16, v20, s[2:3]
	v_mov_b32_e32 v21, s13
	v_add_co_u32_e64 v20, s[2:3], s12, v18
	v_addc_co_u32_e64 v21, s[2:3], v21, v19, s[2:3]
	global_store_dword v[20:21], v23, off
	v_mov_b32_e32 v20, s15
	v_add_co_u32_e64 v18, s[2:3], s14, v18
	v_addc_co_u32_e64 v19, s[2:3], v20, v19, s[2:3]
	global_store_dword v[18:19], v16, off
	v_add_f32_e32 v18, v13, v22
	v_cndmask_b32_e32 v13, v13, v18, vcc
	s_or_b64 exec, exec, s[6:7]
	s_add_i32 s23, s23, 1
	s_cmp_ge_i32 s23, s8
	s_cbranch_scc1 .LBB32_9
.LBB32_13:                              ;   in Loop: Header=BB32_10 Depth=1
	s_waitcnt lgkmcnt(0)
	v_ashrrev_i32_e32 v19, 31, v17
	v_lshrrev_b32_e32 v18, 30, v19
	v_add_u32_e32 v18, v17, v18
	v_ashrrev_i32_e32 v18, 2, v18
	v_lshrrev_b32_e32 v20, 30, v18
	v_add_u32_e32 v20, v18, v20
	v_and_b32_e32 v20, -4, v20
	v_sub_u32_e32 v20, v18, v20
	v_cmp_eq_u32_e64 s[2:3], v9, v20
	s_and_saveexec_b64 s[4:5], s[2:3]
	s_cbranch_execz .LBB32_8
; %bb.14:                               ;   in Loop: Header=BB32_10 Depth=1
	v_lshrrev_b32_e32 v19, 28, v19
	v_add_u32_e32 v19, v17, v19
	v_lshlrev_b32_e32 v18, 2, v18
	v_ashrrev_i32_e32 v19, 4, v19
	v_sub_u32_e32 v17, v17, v18
	v_lshl_add_u32 v17, v19, 2, v17
	v_cmp_ne_u32_e64 s[2:3], 3, v17
	v_cndmask_b32_e64 v7, v15, v7, s[2:3]
	v_cmp_ne_u32_e64 s[2:3], 2, v17
	v_cndmask_b32_e64 v6, v15, v6, s[2:3]
	;; [unrolled: 2-line block ×4, first 2 shown]
	s_branch .LBB32_8
.LBB32_15:
                                        ; implicit-def: $vgpr4_vgpr5_vgpr6_vgpr7
	s_andn2_b64 vcc, exec, s[6:7]
	s_cbranch_vccz .LBB32_5
	s_branch .LBB32_6
.LBB32_16:
	v_mov_b32_e32 v13, 0
.LBB32_17:
	v_cmp_eq_u32_e64 s[0:1], 0, v9
	s_and_b64 s[0:1], s[0:1], vcc
	s_and_b64 exec, exec, s[0:1]
	s_cbranch_execz .LBB32_26
; %bb.18:
	s_andn2_b64 vcc, exec, s[20:21]
	s_cbranch_vccnz .LBB32_26
; %bb.19:
	v_cmp_lt_f32_e32 vcc, 0, v13
	s_mov_b32 s2, 0
	v_cndmask_b32_e32 v0, 1.0, v13, vcc
	v_mul_lo_u32 v4, v8, s8
	s_cmp_eq_u32 s8, 1
	s_mov_b64 s[0:1], -1
	s_cbranch_scc1 .LBB32_23
; %bb.20:
	s_and_b32 s2, s8, 0x7ffffffe
	v_mov_b32_e32 v1, v0
	v_mov_b32_e32 v5, s17
	s_mov_b32 s3, s2
	v_mov_b32_e32 v2, v4
.LBB32_21:                              ; =>This Inner Loop Header: Depth=1
	v_ashrrev_i32_e32 v3, 31, v2
	v_lshlrev_b64 v[6:7], 2, v[2:3]
	v_add_co_u32_e32 v6, vcc, s16, v6
	v_addc_co_u32_e32 v7, vcc, v5, v7, vcc
	global_load_dwordx2 v[8:9], v[6:7], off
	s_add_i32 s3, s3, -2
	s_cmp_lg_u32 s3, 0
	v_add_u32_e32 v2, 2, v2
	s_waitcnt vmcnt(0)
	v_div_scale_f32 v3, s[0:1], v1, v1, v9
	v_div_scale_f32 v11, s[0:1], v0, v0, v8
	v_rcp_f32_e32 v12, v3
	v_rcp_f32_e32 v13, v11
	v_div_scale_f32 v10, vcc, v9, v1, v9
	v_fma_f32 v15, -v3, v12, 1.0
	v_fma_f32 v16, -v11, v13, 1.0
	v_fmac_f32_e32 v12, v15, v12
	v_div_scale_f32 v14, s[0:1], v8, v0, v8
	v_fmac_f32_e32 v13, v16, v13
	v_mul_f32_e32 v15, v10, v12
	v_mul_f32_e32 v16, v14, v13
	v_fma_f32 v17, -v3, v15, v10
	v_fma_f32 v18, -v11, v16, v14
	v_fmac_f32_e32 v15, v17, v12
	v_fmac_f32_e32 v16, v18, v13
	v_fma_f32 v3, -v3, v15, v10
	v_fma_f32 v10, -v11, v16, v14
	v_div_fmas_f32 v3, v3, v12, v15
	s_mov_b64 vcc, s[0:1]
	v_div_fixup_f32 v9, v3, v1, v9
	v_div_fmas_f32 v3, v10, v13, v16
	v_div_fixup_f32 v8, v3, v0, v8
	global_store_dwordx2 v[6:7], v[8:9], off
	s_cbranch_scc1 .LBB32_21
; %bb.22:
	s_cmp_lg_u32 s2, s8
	s_cselect_b64 s[0:1], -1, 0
.LBB32_23:
	s_and_b64 vcc, exec, s[0:1]
	s_cbranch_vccz .LBB32_26
; %bb.24:
	v_ashrrev_i32_e32 v1, 31, v4
	v_add_co_u32_e32 v2, vcc, s2, v4
	v_addc_co_u32_e32 v3, vcc, 0, v1, vcc
	v_lshlrev_b64 v[2:3], 2, v[2:3]
	v_mov_b32_e32 v1, s17
	v_add_co_u32_e32 v2, vcc, s16, v2
	s_sub_i32 s0, s8, s2
	v_addc_co_u32_e32 v3, vcc, v1, v3, vcc
.LBB32_25:                              ; =>This Inner Loop Header: Depth=1
	global_load_dword v1, v[2:3], off
	s_add_i32 s0, s0, -1
	s_cmp_lg_u32 s0, 0
	s_waitcnt vmcnt(0)
	v_div_scale_f32 v4, s[2:3], v0, v0, v1
	v_rcp_f32_e32 v5, v4
	v_div_scale_f32 v6, vcc, v1, v0, v1
	v_fma_f32 v7, -v4, v5, 1.0
	v_fmac_f32_e32 v5, v7, v5
	v_mul_f32_e32 v7, v6, v5
	v_fma_f32 v8, -v4, v7, v6
	v_fmac_f32_e32 v7, v8, v5
	v_fma_f32 v4, -v4, v7, v6
	v_div_fmas_f32 v4, v4, v5, v7
	v_div_fixup_f32 v1, v4, v0, v1
	global_store_dword v[2:3], v1, off
	v_add_co_u32_e32 v2, vcc, 4, v2
	v_addc_co_u32_e32 v3, vcc, 0, v3, vcc
	s_cbranch_scc1 .LBB32_25
.LBB32_26:
	s_endpgm
	.section	.rodata,"a",@progbits
	.p2align	6, 0x0
	.amdhsa_kernel _ZN4vllm3moe10topkGatingILi4ELi16ELi4ELi16ELi64EjfLNS0_11ScoringFuncE0EEEvPKT5_PKbPfiPT4_PiiiibPKf
		.amdhsa_group_segment_fixed_size 0
		.amdhsa_private_segment_fixed_size 0
		.amdhsa_kernarg_size 72
		.amdhsa_user_sgpr_count 6
		.amdhsa_user_sgpr_private_segment_buffer 1
		.amdhsa_user_sgpr_dispatch_ptr 0
		.amdhsa_user_sgpr_queue_ptr 0
		.amdhsa_user_sgpr_kernarg_segment_ptr 1
		.amdhsa_user_sgpr_dispatch_id 0
		.amdhsa_user_sgpr_flat_scratch_init 0
		.amdhsa_user_sgpr_kernarg_preload_length 0
		.amdhsa_user_sgpr_kernarg_preload_offset 0
		.amdhsa_user_sgpr_private_segment_size 0
		.amdhsa_uses_dynamic_stack 0
		.amdhsa_system_sgpr_private_segment_wavefront_offset 0
		.amdhsa_system_sgpr_workgroup_id_x 1
		.amdhsa_system_sgpr_workgroup_id_y 0
		.amdhsa_system_sgpr_workgroup_id_z 0
		.amdhsa_system_sgpr_workgroup_info 0
		.amdhsa_system_vgpr_workitem_id 1
		.amdhsa_next_free_vgpr 24
		.amdhsa_next_free_sgpr 24
		.amdhsa_accum_offset 24
		.amdhsa_reserve_vcc 1
		.amdhsa_reserve_flat_scratch 0
		.amdhsa_float_round_mode_32 0
		.amdhsa_float_round_mode_16_64 0
		.amdhsa_float_denorm_mode_32 3
		.amdhsa_float_denorm_mode_16_64 3
		.amdhsa_dx10_clamp 1
		.amdhsa_ieee_mode 1
		.amdhsa_fp16_overflow 0
		.amdhsa_tg_split 0
		.amdhsa_exception_fp_ieee_invalid_op 0
		.amdhsa_exception_fp_denorm_src 0
		.amdhsa_exception_fp_ieee_div_zero 0
		.amdhsa_exception_fp_ieee_overflow 0
		.amdhsa_exception_fp_ieee_underflow 0
		.amdhsa_exception_fp_ieee_inexact 0
		.amdhsa_exception_int_div_zero 0
	.end_amdhsa_kernel
	.section	.text._ZN4vllm3moe10topkGatingILi4ELi16ELi4ELi16ELi64EjfLNS0_11ScoringFuncE0EEEvPKT5_PKbPfiPT4_PiiiibPKf,"axG",@progbits,_ZN4vllm3moe10topkGatingILi4ELi16ELi4ELi16ELi64EjfLNS0_11ScoringFuncE0EEEvPKT5_PKbPfiPT4_PiiiibPKf,comdat
.Lfunc_end32:
	.size	_ZN4vllm3moe10topkGatingILi4ELi16ELi4ELi16ELi64EjfLNS0_11ScoringFuncE0EEEvPKT5_PKbPfiPT4_PiiiibPKf, .Lfunc_end32-_ZN4vllm3moe10topkGatingILi4ELi16ELi4ELi16ELi64EjfLNS0_11ScoringFuncE0EEEvPKT5_PKbPfiPT4_PiiiibPKf
                                        ; -- End function
	.section	.AMDGPU.csdata,"",@progbits
; Kernel info:
; codeLenInByte = 2072
; NumSgprs: 28
; NumVgprs: 24
; NumAgprs: 0
; TotalNumVgprs: 24
; ScratchSize: 0
; MemoryBound: 0
; FloatMode: 240
; IeeeMode: 1
; LDSByteSize: 0 bytes/workgroup (compile time only)
; SGPRBlocks: 3
; VGPRBlocks: 2
; NumSGPRsForWavesPerEU: 28
; NumVGPRsForWavesPerEU: 24
; AccumOffset: 24
; Occupancy: 8
; WaveLimiterHint : 0
; COMPUTE_PGM_RSRC2:SCRATCH_EN: 0
; COMPUTE_PGM_RSRC2:USER_SGPR: 6
; COMPUTE_PGM_RSRC2:TRAP_HANDLER: 0
; COMPUTE_PGM_RSRC2:TGID_X_EN: 1
; COMPUTE_PGM_RSRC2:TGID_Y_EN: 0
; COMPUTE_PGM_RSRC2:TGID_Z_EN: 0
; COMPUTE_PGM_RSRC2:TIDIG_COMP_CNT: 1
; COMPUTE_PGM_RSRC3_GFX90A:ACCUM_OFFSET: 5
; COMPUTE_PGM_RSRC3_GFX90A:TG_SPLIT: 0
	.section	.text._ZN4vllm3moe10topkGatingILi4ELi16ELi4ELi16ELi32EjfLNS0_11ScoringFuncE0EEEvPKT5_PKbPfiPT4_PiiiibPKf,"axG",@progbits,_ZN4vllm3moe10topkGatingILi4ELi16ELi4ELi16ELi32EjfLNS0_11ScoringFuncE0EEEvPKT5_PKbPfiPT4_PiiiibPKf,comdat
	.protected	_ZN4vllm3moe10topkGatingILi4ELi16ELi4ELi16ELi32EjfLNS0_11ScoringFuncE0EEEvPKT5_PKbPfiPT4_PiiiibPKf ; -- Begin function _ZN4vllm3moe10topkGatingILi4ELi16ELi4ELi16ELi32EjfLNS0_11ScoringFuncE0EEEvPKT5_PKbPfiPT4_PiiiibPKf
	.globl	_ZN4vllm3moe10topkGatingILi4ELi16ELi4ELi16ELi32EjfLNS0_11ScoringFuncE0EEEvPKT5_PKbPfiPT4_PiiiibPKf
	.p2align	8
	.type	_ZN4vllm3moe10topkGatingILi4ELi16ELi4ELi16ELi32EjfLNS0_11ScoringFuncE0EEEvPKT5_PKbPfiPT4_PiiiibPKf,@function
_ZN4vllm3moe10topkGatingILi4ELi16ELi4ELi16ELi32EjfLNS0_11ScoringFuncE0EEEvPKT5_PKbPfiPT4_PiiiibPKf: ; @_ZN4vllm3moe10topkGatingILi4ELi16ELi4ELi16ELi32EjfLNS0_11ScoringFuncE0EEEvPKT5_PKbPfiPT4_PiiiibPKf
; %bb.0:
	s_load_dword s22, s[4:5], 0x18
	v_bfe_u32 v1, v0, 10, 10
	v_and_b32_e32 v0, 0x3ff, v0
	s_lshl_b32 s0, s6, 5
	v_lshlrev_b32_e32 v1, 3, v1
	v_lshrrev_b32_e32 v2, 2, v0
	v_add3_u32 v8, s0, v1, v2
	s_waitcnt lgkmcnt(0)
	v_cmp_gt_i32_e32 vcc, s22, v8
	s_and_saveexec_b64 s[0:1], vcc
	s_cbranch_execz .LBB33_26
; %bb.1:
	s_load_dwordx4 s[0:3], s[4:5], 0x0
	s_load_dwordx2 s[16:17], s[4:5], 0x10
	s_mov_b64 s[6:7], -1
	s_mov_b64 s[18:19], -1
	s_waitcnt lgkmcnt(0)
	s_cmp_eq_u64 s[2:3], 0
	s_cbranch_scc1 .LBB33_3
; %bb.2:
	v_ashrrev_i32_e32 v1, 31, v8
	v_mov_b32_e32 v3, s3
	v_add_co_u32_e32 v2, vcc, s2, v8
	v_addc_co_u32_e32 v3, vcc, v3, v1, vcc
	global_load_ubyte v1, v[2:3], off
	s_waitcnt vmcnt(0)
	v_and_b32_e32 v1, 1, v1
	v_cmp_eq_u32_e32 vcc, 1, v1
	s_xor_b64 s[2:3], vcc, -1
	s_orn2_b64 s[18:19], s[2:3], exec
.LBB33_3:
	v_lshlrev_b32_e32 v2, 4, v8
	v_ashrrev_i32_e32 v3, 31, v2
	v_lshlrev_b64 v[2:3], 2, v[2:3]
	v_mov_b32_e32 v1, s1
	v_add_co_u32_e32 v2, vcc, s0, v2
	v_and_b32_e32 v9, 3, v0
	v_addc_co_u32_e32 v1, vcc, v1, v3, vcc
	v_lshlrev_b32_e32 v0, 4, v9
	v_add_co_u32_e32 v0, vcc, v2, v0
	v_addc_co_u32_e32 v1, vcc, 0, v1, vcc
	global_load_dwordx4 v[0:3], v[0:1], off
	v_mbcnt_lo_u32_b32 v4, -1, 0
	v_mbcnt_hi_u32_b32 v4, -1, v4
	v_and_b32_e32 v5, 0x7c, v4
	v_xor_b32_e32 v6, 2, v4
	v_add_u32_e32 v5, 4, v5
	v_cmp_lt_i32_e32 vcc, v6, v5
	v_cndmask_b32_e32 v6, v4, v6, vcc
	v_lshlrev_b32_e32 v10, 2, v6
	v_xor_b32_e32 v11, 1, v4
	v_cmp_lt_i32_e32 vcc, v11, v5
	v_cndmask_b32_e32 v4, v4, v11, vcc
	v_lshlrev_b32_e32 v11, 2, v4
	s_mov_b32 s0, 0x3fb8aa3b
	s_mov_b32 s1, 0xc2ce8ed0
	;; [unrolled: 1-line block ×3, first 2 shown]
	s_movk_i32 s8, 0x1f8
	s_waitcnt vmcnt(0)
	v_max_f32_e32 v6, v1, v1
	v_max_f32_e32 v7, v0, v0
	;; [unrolled: 1-line block ×3, first 2 shown]
	v_max3_f32 v6, v6, v2, v3
	ds_bpermute_b32 v7, v10, v6
	s_waitcnt lgkmcnt(0)
	v_max_f32_e32 v4, v7, v7
	v_max_f32_e32 v4, v6, v4
	ds_bpermute_b32 v5, v11, v4
	v_mov_b32_e32 v6, 0x7f800000
	s_waitcnt lgkmcnt(0)
	v_max_f32_e32 v5, v5, v5
	v_max_f32_e32 v4, v4, v5
	v_pk_add_f32 v[0:1], v[0:1], v[4:5] op_sel_hi:[1,0] neg_lo:[0,1] neg_hi:[0,1]
	v_sub_f32_e32 v2, v2, v4
	v_sub_f32_e32 v3, v3, v4
	v_mul_f32_e32 v4, 0x3fb8aa3b, v1
	v_mul_f32_e32 v5, 0x3fb8aa3b, v0
	v_fma_f32 v13, v1, s0, -v4
	v_rndne_f32_e32 v14, v4
	v_mul_f32_e32 v7, 0x3fb8aa3b, v2
	v_fma_f32 v15, v0, s0, -v5
	v_rndne_f32_e32 v16, v5
	v_fmac_f32_e32 v13, 0x32a5705f, v1
	v_sub_f32_e32 v4, v4, v14
	v_mul_f32_e32 v12, 0x3fb8aa3b, v3
	v_fma_f32 v17, v2, s0, -v7
	v_rndne_f32_e32 v18, v7
	v_fmac_f32_e32 v15, 0x32a5705f, v0
	v_sub_f32_e32 v5, v5, v16
	v_add_f32_e32 v4, v4, v13
	v_fma_f32 v19, v3, s0, -v12
	v_rndne_f32_e32 v20, v12
	v_cvt_i32_f32_e32 v14, v14
	v_fmac_f32_e32 v17, 0x32a5705f, v2
	v_sub_f32_e32 v7, v7, v18
	v_add_f32_e32 v5, v5, v15
	v_exp_f32_e32 v4, v4
	v_cvt_i32_f32_e32 v16, v16
	v_fmac_f32_e32 v19, 0x32a5705f, v3
	v_sub_f32_e32 v12, v12, v20
	v_add_f32_e32 v7, v7, v17
	v_exp_f32_e32 v5, v5
	v_cvt_i32_f32_e32 v18, v18
	v_add_f32_e32 v12, v12, v19
	v_exp_f32_e32 v7, v7
	v_cvt_i32_f32_e32 v20, v20
	v_exp_f32_e32 v12, v12
	v_ldexp_f32 v4, v4, v14
	v_cmp_ngt_f32_e32 vcc, s1, v1
	v_ldexp_f32 v5, v5, v16
	v_cndmask_b32_e32 v4, 0, v4, vcc
	v_cmp_ngt_f32_e32 vcc, s1, v0
	v_ldexp_f32 v7, v7, v18
	v_cndmask_b32_e32 v5, 0, v5, vcc
	;; [unrolled: 3-line block ×3, first 2 shown]
	v_cmp_ngt_f32_e32 vcc, s1, v3
	v_cndmask_b32_e32 v12, 0, v12, vcc
	v_cmp_nlt_f32_e32 vcc, s2, v1
	v_cndmask_b32_e32 v1, v6, v4, vcc
	v_cmp_nlt_f32_e32 vcc, s2, v0
	;; [unrolled: 2-line block ×4, first 2 shown]
	v_add_f32_e32 v4, v0, v1
	v_cndmask_b32_e32 v3, v6, v12, vcc
	v_add_f32_e32 v4, v4, v2
	v_add_f32_e32 v4, v4, v3
	ds_bpermute_b32 v5, v10, v4
	s_load_dwordx2 s[0:1], s[4:5], 0x40
	v_lshlrev_b32_e32 v12, 2, v9
	s_waitcnt lgkmcnt(0)
	v_add_f32_e32 v4, v4, v5
	ds_bpermute_b32 v5, v11, v4
	s_cmp_eq_u64 s[0:1], 0
	s_waitcnt lgkmcnt(0)
	v_add_f32_e32 v4, v4, v5
	v_div_scale_f32 v5, s[2:3], v4, v4, 1.0
	v_rcp_f32_e32 v6, v5
	v_div_scale_f32 v7, vcc, 1.0, v4, 1.0
	v_fma_f32 v13, -v5, v6, 1.0
	v_fmac_f32_e32 v6, v13, v6
	v_mul_f32_e32 v13, v7, v6
	v_fma_f32 v14, -v5, v13, v7
	v_fmac_f32_e32 v13, v14, v6
	v_fma_f32 v5, -v5, v13, v7
	v_div_fmas_f32 v5, v5, v6, v13
	v_div_fixup_f32 v4, v5, v4, 1.0
	v_mul_f32_e32 v0, v4, v0
	v_mul_f32_e32 v1, v4, v1
	v_cmp_class_f32_e64 vcc, v0, s8
	v_mul_f32_e32 v2, v4, v2
	v_cndmask_b32_e32 v0, 0, v0, vcc
	v_cmp_class_f32_e64 vcc, v1, s8
	v_mul_f32_e32 v3, v4, v3
	v_cndmask_b32_e32 v1, 0, v1, vcc
	v_cmp_class_f32_e64 vcc, v2, s8
	v_cndmask_b32_e32 v2, 0, v2, vcc
	v_cmp_class_f32_e64 vcc, v3, s8
	v_cndmask_b32_e32 v3, 0, v3, vcc
	s_cbranch_scc1 .LBB33_15
; %bb.4:
	v_lshlrev_b32_e32 v4, 2, v12
	global_load_dwordx4 v[4:7], v4, s[0:1]
	s_waitcnt vmcnt(0)
	v_pk_add_f32 v[4:5], v[4:5], v[0:1]
	v_pk_add_f32 v[6:7], v[6:7], v[2:3]
	s_cbranch_execnz .LBB33_6
.LBB33_5:
	v_pk_mov_b32 v[6:7], v[2:3], v[2:3] op_sel:[0,1]
	v_pk_mov_b32 v[4:5], v[0:1], v[0:1] op_sel:[0,1]
.LBB33_6:
	s_load_dwordx4 s[8:11], s[4:5], 0x30
	s_mov_b32 s23, 0
	v_cmp_eq_u32_e64 s[0:1], 0, v9
	s_waitcnt lgkmcnt(0)
	s_bitcmp1_b32 s11, 0
	s_cselect_b64 vcc, -1, 0
	s_cmp_gt_i32 s8, 0
	s_cselect_b64 s[20:21], -1, 0
	s_cmp_lt_i32 s8, 1
	s_cbranch_scc1 .LBB33_16
; %bb.7:
	s_load_dwordx4 s[12:15], s[4:5], 0x20
	v_mul_lo_u32 v14, v8, s8
	v_mov_b32_e32 v13, 0
	v_mov_b32_e32 v15, 0xc61c4000
	;; [unrolled: 1-line block ×3, first 2 shown]
	s_branch .LBB33_10
.LBB33_8:                               ;   in Loop: Header=BB33_10 Depth=1
	s_or_b64 exec, exec, s[4:5]
.LBB33_9:                               ;   in Loop: Header=BB33_10 Depth=1
	s_cmp_eq_u32 s8, s23
	v_add_u32_e32 v16, s22, v16
	s_cbranch_scc1 .LBB33_17
.LBB33_10:                              ; =>This Inner Loop Header: Depth=1
	v_cmp_gt_f32_e64 s[2:3], v5, v4
	v_cndmask_b32_e64 v17, v4, v5, s[2:3]
	v_cndmask_b32_e64 v18, v0, v1, s[2:3]
	s_waitcnt lgkmcnt(0)
	v_cndmask_b32_e64 v19, 0, 1, s[2:3]
	v_cmp_gt_f32_e64 s[2:3], v6, v17
	v_cndmask_b32_e64 v17, v17, v6, s[2:3]
	v_cndmask_b32_e64 v18, v18, v2, s[2:3]
	;; [unrolled: 1-line block ×3, first 2 shown]
	v_cmp_gt_f32_e64 s[2:3], v7, v17
	v_cndmask_b32_e64 v19, v19, 3, s[2:3]
	v_cndmask_b32_e64 v17, v17, v7, s[2:3]
	v_or_b32_e32 v19, v12, v19
	ds_bpermute_b32 v20, v10, v17
	ds_bpermute_b32 v21, v10, v19
	v_cndmask_b32_e64 v18, v18, v3, s[2:3]
	ds_bpermute_b32 v22, v10, v18
	s_waitcnt lgkmcnt(0)
	v_cmp_eq_f32_e64 s[4:5], v17, v20
	v_cmp_lt_i32_e64 s[6:7], v21, v19
	v_cmp_lt_f32_e64 s[2:3], v17, v20
	s_and_b64 s[4:5], s[4:5], s[6:7]
	s_or_b64 s[2:3], s[2:3], s[4:5]
	v_cndmask_b32_e64 v21, v19, v21, s[2:3]
	v_cndmask_b32_e64 v17, v17, v20, s[2:3]
	ds_bpermute_b32 v20, v11, v17
	ds_bpermute_b32 v23, v11, v21
	v_cndmask_b32_e64 v18, v18, v22, s[2:3]
	ds_bpermute_b32 v19, v11, v18
	s_waitcnt lgkmcnt(2)
	v_cmp_eq_f32_e64 s[4:5], v17, v20
	s_waitcnt lgkmcnt(1)
	v_cmp_lt_i32_e64 s[6:7], v23, v21
	v_cmp_lt_f32_e64 s[2:3], v17, v20
	s_and_b64 s[4:5], s[4:5], s[6:7]
	s_or_b64 s[2:3], s[2:3], s[4:5]
	v_cndmask_b32_e64 v17, v21, v23, s[2:3]
	s_and_saveexec_b64 s[6:7], s[0:1]
	s_cbranch_execnz .LBB33_12
; %bb.11:                               ;   in Loop: Header=BB33_10 Depth=1
	s_or_b64 exec, exec, s[6:7]
	s_add_i32 s23, s23, 1
	s_cmp_ge_i32 s23, s8
	s_cbranch_scc1 .LBB33_9
	s_branch .LBB33_13
.LBB33_12:                              ;   in Loop: Header=BB33_10 Depth=1
	s_waitcnt lgkmcnt(0)
	v_cndmask_b32_e64 v22, v18, v19, s[2:3]
	v_add_u32_e32 v18, s23, v14
	v_ashrrev_i32_e32 v19, 31, v18
	v_cmp_le_i32_e64 s[2:3], s9, v17
	v_cmp_gt_i32_e64 s[4:5], s10, v17
	v_lshlrev_b64 v[18:19], 2, v[18:19]
	s_and_b64 s[4:5], s[2:3], s[4:5]
	v_mov_b32_e32 v21, s17
	v_add_co_u32_e64 v20, s[2:3], s16, v18
	v_addc_co_u32_e64 v21, s[2:3], v21, v19, s[2:3]
	global_store_dword v[20:21], v22, off
	v_subrev_u32_e32 v20, s9, v17
	s_and_b64 s[2:3], s[18:19], s[4:5]
	v_cndmask_b32_e64 v23, 16, v20, s[2:3]
	v_mov_b32_e32 v21, s13
	v_add_co_u32_e64 v20, s[2:3], s12, v18
	v_addc_co_u32_e64 v21, s[2:3], v21, v19, s[2:3]
	global_store_dword v[20:21], v23, off
	v_mov_b32_e32 v20, s15
	v_add_co_u32_e64 v18, s[2:3], s14, v18
	v_addc_co_u32_e64 v19, s[2:3], v20, v19, s[2:3]
	global_store_dword v[18:19], v16, off
	v_add_f32_e32 v18, v13, v22
	v_cndmask_b32_e32 v13, v13, v18, vcc
	s_or_b64 exec, exec, s[6:7]
	s_add_i32 s23, s23, 1
	s_cmp_ge_i32 s23, s8
	s_cbranch_scc1 .LBB33_9
.LBB33_13:                              ;   in Loop: Header=BB33_10 Depth=1
	s_waitcnt lgkmcnt(0)
	v_ashrrev_i32_e32 v19, 31, v17
	v_lshrrev_b32_e32 v18, 30, v19
	v_add_u32_e32 v18, v17, v18
	v_ashrrev_i32_e32 v18, 2, v18
	v_lshrrev_b32_e32 v20, 30, v18
	v_add_u32_e32 v20, v18, v20
	v_and_b32_e32 v20, -4, v20
	v_sub_u32_e32 v20, v18, v20
	v_cmp_eq_u32_e64 s[2:3], v9, v20
	s_and_saveexec_b64 s[4:5], s[2:3]
	s_cbranch_execz .LBB33_8
; %bb.14:                               ;   in Loop: Header=BB33_10 Depth=1
	v_lshrrev_b32_e32 v19, 28, v19
	v_add_u32_e32 v19, v17, v19
	v_lshlrev_b32_e32 v18, 2, v18
	v_ashrrev_i32_e32 v19, 4, v19
	v_sub_u32_e32 v17, v17, v18
	v_lshl_add_u32 v17, v19, 2, v17
	v_cmp_ne_u32_e64 s[2:3], 3, v17
	v_cndmask_b32_e64 v7, v15, v7, s[2:3]
	v_cmp_ne_u32_e64 s[2:3], 2, v17
	v_cndmask_b32_e64 v6, v15, v6, s[2:3]
	;; [unrolled: 2-line block ×4, first 2 shown]
	s_branch .LBB33_8
.LBB33_15:
                                        ; implicit-def: $vgpr4_vgpr5_vgpr6_vgpr7
	s_andn2_b64 vcc, exec, s[6:7]
	s_cbranch_vccz .LBB33_5
	s_branch .LBB33_6
.LBB33_16:
	v_mov_b32_e32 v13, 0
.LBB33_17:
	v_cmp_eq_u32_e64 s[0:1], 0, v9
	s_and_b64 s[0:1], s[0:1], vcc
	s_and_b64 exec, exec, s[0:1]
	s_cbranch_execz .LBB33_26
; %bb.18:
	s_andn2_b64 vcc, exec, s[20:21]
	s_cbranch_vccnz .LBB33_26
; %bb.19:
	v_cmp_lt_f32_e32 vcc, 0, v13
	s_mov_b32 s2, 0
	v_cndmask_b32_e32 v0, 1.0, v13, vcc
	v_mul_lo_u32 v4, v8, s8
	s_cmp_eq_u32 s8, 1
	s_mov_b64 s[0:1], -1
	s_cbranch_scc1 .LBB33_23
; %bb.20:
	s_and_b32 s2, s8, 0x7ffffffe
	v_mov_b32_e32 v1, v0
	v_mov_b32_e32 v5, s17
	s_mov_b32 s3, s2
	v_mov_b32_e32 v2, v4
.LBB33_21:                              ; =>This Inner Loop Header: Depth=1
	v_ashrrev_i32_e32 v3, 31, v2
	v_lshlrev_b64 v[6:7], 2, v[2:3]
	v_add_co_u32_e32 v6, vcc, s16, v6
	v_addc_co_u32_e32 v7, vcc, v5, v7, vcc
	global_load_dwordx2 v[8:9], v[6:7], off
	s_add_i32 s3, s3, -2
	s_cmp_lg_u32 s3, 0
	v_add_u32_e32 v2, 2, v2
	s_waitcnt vmcnt(0)
	v_div_scale_f32 v3, s[0:1], v1, v1, v9
	v_div_scale_f32 v11, s[0:1], v0, v0, v8
	v_rcp_f32_e32 v12, v3
	v_rcp_f32_e32 v13, v11
	v_div_scale_f32 v10, vcc, v9, v1, v9
	v_fma_f32 v15, -v3, v12, 1.0
	v_fma_f32 v16, -v11, v13, 1.0
	v_fmac_f32_e32 v12, v15, v12
	v_div_scale_f32 v14, s[0:1], v8, v0, v8
	v_fmac_f32_e32 v13, v16, v13
	v_mul_f32_e32 v15, v10, v12
	v_mul_f32_e32 v16, v14, v13
	v_fma_f32 v17, -v3, v15, v10
	v_fma_f32 v18, -v11, v16, v14
	v_fmac_f32_e32 v15, v17, v12
	v_fmac_f32_e32 v16, v18, v13
	v_fma_f32 v3, -v3, v15, v10
	v_fma_f32 v10, -v11, v16, v14
	v_div_fmas_f32 v3, v3, v12, v15
	s_mov_b64 vcc, s[0:1]
	v_div_fixup_f32 v9, v3, v1, v9
	v_div_fmas_f32 v3, v10, v13, v16
	v_div_fixup_f32 v8, v3, v0, v8
	global_store_dwordx2 v[6:7], v[8:9], off
	s_cbranch_scc1 .LBB33_21
; %bb.22:
	s_cmp_lg_u32 s2, s8
	s_cselect_b64 s[0:1], -1, 0
.LBB33_23:
	s_and_b64 vcc, exec, s[0:1]
	s_cbranch_vccz .LBB33_26
; %bb.24:
	v_ashrrev_i32_e32 v1, 31, v4
	v_add_co_u32_e32 v2, vcc, s2, v4
	v_addc_co_u32_e32 v3, vcc, 0, v1, vcc
	v_lshlrev_b64 v[2:3], 2, v[2:3]
	v_mov_b32_e32 v1, s17
	v_add_co_u32_e32 v2, vcc, s16, v2
	s_sub_i32 s0, s8, s2
	v_addc_co_u32_e32 v3, vcc, v1, v3, vcc
.LBB33_25:                              ; =>This Inner Loop Header: Depth=1
	global_load_dword v1, v[2:3], off
	s_add_i32 s0, s0, -1
	s_cmp_lg_u32 s0, 0
	s_waitcnt vmcnt(0)
	v_div_scale_f32 v4, s[2:3], v0, v0, v1
	v_rcp_f32_e32 v5, v4
	v_div_scale_f32 v6, vcc, v1, v0, v1
	v_fma_f32 v7, -v4, v5, 1.0
	v_fmac_f32_e32 v5, v7, v5
	v_mul_f32_e32 v7, v6, v5
	v_fma_f32 v8, -v4, v7, v6
	v_fmac_f32_e32 v7, v8, v5
	v_fma_f32 v4, -v4, v7, v6
	v_div_fmas_f32 v4, v4, v5, v7
	v_div_fixup_f32 v1, v4, v0, v1
	global_store_dword v[2:3], v1, off
	v_add_co_u32_e32 v2, vcc, 4, v2
	v_addc_co_u32_e32 v3, vcc, 0, v3, vcc
	s_cbranch_scc1 .LBB33_25
.LBB33_26:
	s_endpgm
	.section	.rodata,"a",@progbits
	.p2align	6, 0x0
	.amdhsa_kernel _ZN4vllm3moe10topkGatingILi4ELi16ELi4ELi16ELi32EjfLNS0_11ScoringFuncE0EEEvPKT5_PKbPfiPT4_PiiiibPKf
		.amdhsa_group_segment_fixed_size 0
		.amdhsa_private_segment_fixed_size 0
		.amdhsa_kernarg_size 72
		.amdhsa_user_sgpr_count 6
		.amdhsa_user_sgpr_private_segment_buffer 1
		.amdhsa_user_sgpr_dispatch_ptr 0
		.amdhsa_user_sgpr_queue_ptr 0
		.amdhsa_user_sgpr_kernarg_segment_ptr 1
		.amdhsa_user_sgpr_dispatch_id 0
		.amdhsa_user_sgpr_flat_scratch_init 0
		.amdhsa_user_sgpr_kernarg_preload_length 0
		.amdhsa_user_sgpr_kernarg_preload_offset 0
		.amdhsa_user_sgpr_private_segment_size 0
		.amdhsa_uses_dynamic_stack 0
		.amdhsa_system_sgpr_private_segment_wavefront_offset 0
		.amdhsa_system_sgpr_workgroup_id_x 1
		.amdhsa_system_sgpr_workgroup_id_y 0
		.amdhsa_system_sgpr_workgroup_id_z 0
		.amdhsa_system_sgpr_workgroup_info 0
		.amdhsa_system_vgpr_workitem_id 1
		.amdhsa_next_free_vgpr 24
		.amdhsa_next_free_sgpr 24
		.amdhsa_accum_offset 24
		.amdhsa_reserve_vcc 1
		.amdhsa_reserve_flat_scratch 0
		.amdhsa_float_round_mode_32 0
		.amdhsa_float_round_mode_16_64 0
		.amdhsa_float_denorm_mode_32 3
		.amdhsa_float_denorm_mode_16_64 3
		.amdhsa_dx10_clamp 1
		.amdhsa_ieee_mode 1
		.amdhsa_fp16_overflow 0
		.amdhsa_tg_split 0
		.amdhsa_exception_fp_ieee_invalid_op 0
		.amdhsa_exception_fp_denorm_src 0
		.amdhsa_exception_fp_ieee_div_zero 0
		.amdhsa_exception_fp_ieee_overflow 0
		.amdhsa_exception_fp_ieee_underflow 0
		.amdhsa_exception_fp_ieee_inexact 0
		.amdhsa_exception_int_div_zero 0
	.end_amdhsa_kernel
	.section	.text._ZN4vllm3moe10topkGatingILi4ELi16ELi4ELi16ELi32EjfLNS0_11ScoringFuncE0EEEvPKT5_PKbPfiPT4_PiiiibPKf,"axG",@progbits,_ZN4vllm3moe10topkGatingILi4ELi16ELi4ELi16ELi32EjfLNS0_11ScoringFuncE0EEEvPKT5_PKbPfiPT4_PiiiibPKf,comdat
.Lfunc_end33:
	.size	_ZN4vllm3moe10topkGatingILi4ELi16ELi4ELi16ELi32EjfLNS0_11ScoringFuncE0EEEvPKT5_PKbPfiPT4_PiiiibPKf, .Lfunc_end33-_ZN4vllm3moe10topkGatingILi4ELi16ELi4ELi16ELi32EjfLNS0_11ScoringFuncE0EEEvPKT5_PKbPfiPT4_PiiiibPKf
                                        ; -- End function
	.section	.AMDGPU.csdata,"",@progbits
; Kernel info:
; codeLenInByte = 2072
; NumSgprs: 28
; NumVgprs: 24
; NumAgprs: 0
; TotalNumVgprs: 24
; ScratchSize: 0
; MemoryBound: 0
; FloatMode: 240
; IeeeMode: 1
; LDSByteSize: 0 bytes/workgroup (compile time only)
; SGPRBlocks: 3
; VGPRBlocks: 2
; NumSGPRsForWavesPerEU: 28
; NumVGPRsForWavesPerEU: 24
; AccumOffset: 24
; Occupancy: 8
; WaveLimiterHint : 0
; COMPUTE_PGM_RSRC2:SCRATCH_EN: 0
; COMPUTE_PGM_RSRC2:USER_SGPR: 6
; COMPUTE_PGM_RSRC2:TRAP_HANDLER: 0
; COMPUTE_PGM_RSRC2:TGID_X_EN: 1
; COMPUTE_PGM_RSRC2:TGID_Y_EN: 0
; COMPUTE_PGM_RSRC2:TGID_Z_EN: 0
; COMPUTE_PGM_RSRC2:TIDIG_COMP_CNT: 1
; COMPUTE_PGM_RSRC3_GFX90A:ACCUM_OFFSET: 5
; COMPUTE_PGM_RSRC3_GFX90A:TG_SPLIT: 0
	.section	.text._ZN4vllm3moe10topkGatingILi4ELi32ELi4ELi16ELi64EjfLNS0_11ScoringFuncE0EEEvPKT5_PKbPfiPT4_PiiiibPKf,"axG",@progbits,_ZN4vllm3moe10topkGatingILi4ELi32ELi4ELi16ELi64EjfLNS0_11ScoringFuncE0EEEvPKT5_PKbPfiPT4_PiiiibPKf,comdat
	.protected	_ZN4vllm3moe10topkGatingILi4ELi32ELi4ELi16ELi64EjfLNS0_11ScoringFuncE0EEEvPKT5_PKbPfiPT4_PiiiibPKf ; -- Begin function _ZN4vllm3moe10topkGatingILi4ELi32ELi4ELi16ELi64EjfLNS0_11ScoringFuncE0EEEvPKT5_PKbPfiPT4_PiiiibPKf
	.globl	_ZN4vllm3moe10topkGatingILi4ELi32ELi4ELi16ELi64EjfLNS0_11ScoringFuncE0EEEvPKT5_PKbPfiPT4_PiiiibPKf
	.p2align	8
	.type	_ZN4vllm3moe10topkGatingILi4ELi32ELi4ELi16ELi64EjfLNS0_11ScoringFuncE0EEEvPKT5_PKbPfiPT4_PiiiibPKf,@function
_ZN4vllm3moe10topkGatingILi4ELi32ELi4ELi16ELi64EjfLNS0_11ScoringFuncE0EEEvPKT5_PKbPfiPT4_PiiiibPKf: ; @_ZN4vllm3moe10topkGatingILi4ELi32ELi4ELi16ELi64EjfLNS0_11ScoringFuncE0EEEvPKT5_PKbPfiPT4_PiiiibPKf
; %bb.0:
	s_load_dword s24, s[4:5], 0x18
	v_bfe_u32 v1, v0, 10, 10
	v_and_b32_e32 v0, 0x3ff, v0
	s_lshl_b32 s0, s6, 5
	v_lshlrev_b32_e32 v1, 3, v1
	v_lshrrev_b32_e32 v2, 3, v0
	v_add3_u32 v9, s0, v1, v2
	s_waitcnt lgkmcnt(0)
	v_cmp_gt_i32_e32 vcc, s24, v9
	s_and_saveexec_b64 s[0:1], vcc
	s_cbranch_execz .LBB34_30
; %bb.1:
	s_load_dwordx4 s[0:3], s[4:5], 0x0
	s_load_dwordx2 s[16:17], s[4:5], 0x10
	s_mov_b64 s[6:7], -1
	s_mov_b64 s[18:19], -1
	s_waitcnt lgkmcnt(0)
	s_cmp_eq_u64 s[2:3], 0
	s_cbranch_scc1 .LBB34_3
; %bb.2:
	v_ashrrev_i32_e32 v1, 31, v9
	v_mov_b32_e32 v3, s3
	v_add_co_u32_e32 v2, vcc, s2, v9
	v_addc_co_u32_e32 v3, vcc, v3, v1, vcc
	global_load_ubyte v1, v[2:3], off
	s_waitcnt vmcnt(0)
	v_and_b32_e32 v1, 1, v1
	v_cmp_eq_u32_e32 vcc, 1, v1
	s_xor_b64 s[2:3], vcc, -1
	s_orn2_b64 s[18:19], s[2:3], exec
.LBB34_3:
	v_lshlrev_b32_e32 v2, 5, v9
	v_ashrrev_i32_e32 v3, 31, v2
	v_lshlrev_b64 v[2:3], 2, v[2:3]
	v_mov_b32_e32 v1, s1
	v_add_co_u32_e32 v2, vcc, s0, v2
	v_and_b32_e32 v13, 7, v0
	v_addc_co_u32_e32 v1, vcc, v1, v3, vcc
	v_lshlrev_b32_e32 v0, 4, v13
	v_add_co_u32_e32 v0, vcc, v2, v0
	v_addc_co_u32_e32 v1, vcc, 0, v1, vcc
	global_load_dwordx4 v[0:3], v[0:1], off
	v_mbcnt_lo_u32_b32 v4, -1, 0
	v_mbcnt_hi_u32_b32 v4, -1, v4
	v_and_b32_e32 v5, 0x78, v4
	v_xor_b32_e32 v6, 4, v4
	v_add_u32_e32 v5, 8, v5
	v_cmp_lt_i32_e32 vcc, v6, v5
	v_cndmask_b32_e32 v6, v4, v6, vcc
	v_lshlrev_b32_e32 v14, 2, v6
	v_xor_b32_e32 v8, 2, v4
	v_cmp_lt_i32_e32 vcc, v8, v5
	v_cndmask_b32_e32 v8, v4, v8, vcc
	v_lshlrev_b32_e32 v15, 2, v8
	v_xor_b32_e32 v8, 1, v4
	v_cmp_lt_i32_e32 vcc, v8, v5
	v_cndmask_b32_e32 v4, v4, v8, vcc
	v_lshlrev_b32_e32 v16, 2, v4
	s_mov_b32 s0, 0x3fb8aa3b
	s_mov_b32 s1, 0xc2ce8ed0
	;; [unrolled: 1-line block ×3, first 2 shown]
	s_movk_i32 s8, 0x1f8
	s_waitcnt vmcnt(0)
	v_max_f32_e32 v6, v1, v1
	v_max_f32_e32 v7, v0, v0
	v_max_f32_e32 v6, v7, v6
	v_max3_f32 v6, v6, v2, v3
	ds_bpermute_b32 v7, v14, v6
	s_waitcnt lgkmcnt(0)
	v_max_f32_e32 v7, v7, v7
	v_max_f32_e32 v6, v6, v7
	ds_bpermute_b32 v7, v15, v6
	s_waitcnt lgkmcnt(0)
	v_max_f32_e32 v4, v7, v7
	v_max_f32_e32 v4, v6, v4
	ds_bpermute_b32 v5, v16, v4
	v_mov_b32_e32 v6, 0x7f800000
	s_waitcnt lgkmcnt(0)
	v_max_f32_e32 v5, v5, v5
	v_max_f32_e32 v4, v4, v5
	v_pk_add_f32 v[0:1], v[0:1], v[4:5] op_sel_hi:[1,0] neg_lo:[0,1] neg_hi:[0,1]
	v_sub_f32_e32 v2, v2, v4
	v_sub_f32_e32 v3, v3, v4
	v_mul_f32_e32 v4, 0x3fb8aa3b, v1
	v_mul_f32_e32 v5, 0x3fb8aa3b, v0
	v_fma_f32 v10, v1, s0, -v4
	v_rndne_f32_e32 v11, v4
	v_mul_f32_e32 v7, 0x3fb8aa3b, v2
	v_fma_f32 v12, v0, s0, -v5
	v_rndne_f32_e32 v17, v5
	v_fmac_f32_e32 v10, 0x32a5705f, v1
	v_sub_f32_e32 v4, v4, v11
	v_mul_f32_e32 v8, 0x3fb8aa3b, v3
	v_fma_f32 v18, v2, s0, -v7
	v_rndne_f32_e32 v19, v7
	v_fmac_f32_e32 v12, 0x32a5705f, v0
	v_sub_f32_e32 v5, v5, v17
	v_add_f32_e32 v4, v4, v10
	v_fma_f32 v20, v3, s0, -v8
	v_rndne_f32_e32 v21, v8
	v_cvt_i32_f32_e32 v11, v11
	v_fmac_f32_e32 v18, 0x32a5705f, v2
	v_sub_f32_e32 v7, v7, v19
	v_add_f32_e32 v5, v5, v12
	v_exp_f32_e32 v4, v4
	v_cvt_i32_f32_e32 v17, v17
	v_fmac_f32_e32 v20, 0x32a5705f, v3
	v_sub_f32_e32 v8, v8, v21
	v_add_f32_e32 v7, v7, v18
	v_exp_f32_e32 v5, v5
	v_cvt_i32_f32_e32 v19, v19
	v_add_f32_e32 v8, v8, v20
	v_exp_f32_e32 v7, v7
	v_cvt_i32_f32_e32 v21, v21
	v_exp_f32_e32 v8, v8
	v_ldexp_f32 v4, v4, v11
	v_cmp_ngt_f32_e32 vcc, s1, v1
	v_ldexp_f32 v5, v5, v17
	v_cndmask_b32_e32 v4, 0, v4, vcc
	v_cmp_ngt_f32_e32 vcc, s1, v0
	v_ldexp_f32 v7, v7, v19
	v_cndmask_b32_e32 v5, 0, v5, vcc
	v_cmp_ngt_f32_e32 vcc, s1, v2
	v_ldexp_f32 v8, v8, v21
	v_cndmask_b32_e32 v7, 0, v7, vcc
	v_cmp_ngt_f32_e32 vcc, s1, v3
	v_cndmask_b32_e32 v8, 0, v8, vcc
	v_cmp_nlt_f32_e32 vcc, s2, v1
	v_cndmask_b32_e32 v1, v6, v4, vcc
	v_cmp_nlt_f32_e32 vcc, s2, v0
	v_cndmask_b32_e32 v0, v6, v5, vcc
	v_cmp_nlt_f32_e32 vcc, s2, v2
	v_cndmask_b32_e32 v2, v6, v7, vcc
	v_cmp_nlt_f32_e32 vcc, s2, v3
	v_add_f32_e32 v4, v0, v1
	v_cndmask_b32_e32 v3, v6, v8, vcc
	v_add_f32_e32 v4, v4, v2
	v_add_f32_e32 v4, v4, v3
	ds_bpermute_b32 v5, v14, v4
	s_load_dwordx2 s[0:1], s[4:5], 0x40
	v_lshlrev_b32_e32 v17, 2, v13
	s_waitcnt lgkmcnt(0)
	v_add_f32_e32 v4, v4, v5
	ds_bpermute_b32 v5, v15, v4
	s_cmp_eq_u64 s[0:1], 0
	s_waitcnt lgkmcnt(0)
	v_add_f32_e32 v4, v4, v5
	ds_bpermute_b32 v5, v16, v4
	s_waitcnt lgkmcnt(0)
	v_add_f32_e32 v4, v4, v5
	v_div_scale_f32 v5, s[2:3], v4, v4, 1.0
	v_rcp_f32_e32 v6, v5
	v_div_scale_f32 v7, vcc, 1.0, v4, 1.0
	v_fma_f32 v8, -v5, v6, 1.0
	v_fmac_f32_e32 v6, v8, v6
	v_mul_f32_e32 v8, v7, v6
	v_fma_f32 v10, -v5, v8, v7
	v_fmac_f32_e32 v8, v10, v6
	v_fma_f32 v5, -v5, v8, v7
	v_div_fmas_f32 v5, v5, v6, v8
	v_div_fixup_f32 v4, v5, v4, 1.0
	v_mul_f32_e32 v0, v4, v0
	v_mul_f32_e32 v1, v4, v1
	v_cmp_class_f32_e64 vcc, v0, s8
	v_mul_f32_e32 v2, v4, v2
	v_cndmask_b32_e32 v0, 0, v0, vcc
	v_cmp_class_f32_e64 vcc, v1, s8
	v_mul_f32_e32 v3, v4, v3
	v_cndmask_b32_e32 v1, 0, v1, vcc
	v_cmp_class_f32_e64 vcc, v2, s8
	v_cndmask_b32_e32 v2, 0, v2, vcc
	v_cmp_class_f32_e64 vcc, v3, s8
	v_cndmask_b32_e32 v3, 0, v3, vcc
	s_cbranch_scc1 .LBB34_19
; %bb.4:
	v_lshlrev_b32_e32 v4, 2, v17
	global_load_dwordx4 v[4:7], v4, s[0:1]
	s_waitcnt vmcnt(0)
	v_pk_add_f32 v[4:5], v[4:5], v[0:1]
	v_pk_add_f32 v[6:7], v[6:7], v[2:3]
	s_cbranch_execnz .LBB34_6
.LBB34_5:
	v_pk_mov_b32 v[6:7], v[2:3], v[2:3] op_sel:[0,1]
	v_pk_mov_b32 v[4:5], v[0:1], v[0:1] op_sel:[0,1]
.LBB34_6:
	s_load_dwordx4 s[8:11], s[4:5], 0x30
	s_mov_b32 s25, 0
	v_cmp_eq_u32_e64 s[0:1], 0, v13
	s_waitcnt lgkmcnt(0)
	s_bitcmp1_b32 s11, 0
	s_cselect_b64 vcc, -1, 0
	s_cmp_gt_i32 s8, 0
	s_cselect_b64 s[20:21], -1, 0
	s_cmp_lt_i32 s8, 1
	s_cbranch_scc1 .LBB34_20
; %bb.7:
	s_load_dwordx4 s[12:15], s[4:5], 0x20
	v_mul_lo_u32 v19, v9, s8
	v_mov_b32_e32 v18, 0
	v_mov_b32_e32 v20, 0xc61c4000
	;; [unrolled: 1-line block ×3, first 2 shown]
	s_branch .LBB34_10
.LBB34_8:                               ;   in Loop: Header=BB34_10 Depth=1
	s_or_b64 exec, exec, s[4:5]
.LBB34_9:                               ;   in Loop: Header=BB34_10 Depth=1
	s_cmp_eq_u32 s8, s25
	v_add_u32_e32 v21, s24, v21
	s_cbranch_scc1 .LBB34_21
.LBB34_10:                              ; =>This Inner Loop Header: Depth=1
	v_cmp_gt_f32_e64 s[2:3], v5, v4
	v_cndmask_b32_e64 v8, v4, v5, s[2:3]
	v_cndmask_b32_e64 v10, v0, v1, s[2:3]
	s_waitcnt lgkmcnt(0)
	v_cndmask_b32_e64 v11, 0, 1, s[2:3]
	v_cmp_gt_f32_e64 s[2:3], v6, v8
	v_cndmask_b32_e64 v8, v8, v6, s[2:3]
	v_cndmask_b32_e64 v10, v10, v2, s[2:3]
	;; [unrolled: 1-line block ×3, first 2 shown]
	v_cmp_gt_f32_e64 s[2:3], v7, v8
	v_cndmask_b32_e64 v11, v11, 3, s[2:3]
	v_cndmask_b32_e64 v8, v8, v7, s[2:3]
	v_or_b32_e32 v11, v17, v11
	ds_bpermute_b32 v12, v14, v8
	ds_bpermute_b32 v22, v14, v11
	v_cndmask_b32_e64 v10, v10, v3, s[2:3]
	ds_bpermute_b32 v24, v14, v10
	s_waitcnt lgkmcnt(0)
	v_cmp_eq_f32_e64 s[4:5], v8, v12
	v_cmp_lt_i32_e64 s[6:7], v22, v11
	v_cmp_lt_f32_e64 s[2:3], v8, v12
	s_and_b64 s[4:5], s[4:5], s[6:7]
	s_or_b64 s[2:3], s[2:3], s[4:5]
	v_cndmask_b32_e64 v23, v8, v12, s[2:3]
	v_cndmask_b32_e64 v22, v11, v22, s[2:3]
	;; [unrolled: 1-line block ×3, first 2 shown]
	ds_bpermute_b32 v25, v15, v23
	ds_bpermute_b32 v12, v15, v8
	;; [unrolled: 1-line block ×3, first 2 shown]
                                        ; implicit-def: $vgpr10_vgpr11
	s_waitcnt lgkmcnt(2)
	v_cmp_lt_f32_e64 s[6:7], v23, v25
	v_cmp_nlt_f32_e64 s[2:3], v23, v25
	s_and_saveexec_b64 s[22:23], s[2:3]
	s_cbranch_execz .LBB34_12
; %bb.11:                               ;   in Loop: Header=BB34_10 Depth=1
	v_cmp_eq_f32_e64 s[2:3], v23, v25
	s_waitcnt lgkmcnt(0)
	v_cmp_lt_i32_e64 s[4:5], v24, v22
	s_and_b64 s[2:3], s[2:3], s[4:5]
	s_andn2_b64 s[4:5], s[6:7], exec
	s_and_b64 s[2:3], s[2:3], exec
	s_or_b64 s[6:7], s[4:5], s[2:3]
	v_pk_mov_b32 v[10:11], v[8:9], v[8:9] op_sel:[0,1]
.LBB34_12:                              ;   in Loop: Header=BB34_10 Depth=1
	s_or_b64 exec, exec, s[22:23]
	s_and_saveexec_b64 s[2:3], s[6:7]
	s_cbranch_execz .LBB34_14
; %bb.13:                               ;   in Loop: Header=BB34_10 Depth=1
	v_mov_b32_e32 v23, v25
	s_waitcnt lgkmcnt(1)
	v_mov_b32_e32 v8, v12
	s_waitcnt lgkmcnt(0)
	v_mov_b32_e32 v22, v24
	v_pk_mov_b32 v[10:11], v[12:13], v[12:13] op_sel:[0,1]
.LBB34_14:                              ;   in Loop: Header=BB34_10 Depth=1
	s_or_b64 exec, exec, s[2:3]
	s_waitcnt lgkmcnt(1)
	ds_bpermute_b32 v12, v16, v23
	s_waitcnt lgkmcnt(1)
	ds_bpermute_b32 v24, v16, v22
	ds_bpermute_b32 v11, v16, v8
	s_waitcnt lgkmcnt(2)
	v_cmp_eq_f32_e64 s[4:5], v23, v12
	s_waitcnt lgkmcnt(1)
	v_cmp_lt_i32_e64 s[6:7], v24, v22
	v_cmp_lt_f32_e64 s[2:3], v23, v12
	s_and_b64 s[4:5], s[4:5], s[6:7]
	s_or_b64 s[2:3], s[2:3], s[4:5]
	v_cndmask_b32_e64 v8, v22, v24, s[2:3]
	s_and_saveexec_b64 s[6:7], s[0:1]
	s_cbranch_execnz .LBB34_16
; %bb.15:                               ;   in Loop: Header=BB34_10 Depth=1
	s_or_b64 exec, exec, s[6:7]
	s_add_i32 s25, s25, 1
	s_cmp_ge_i32 s25, s8
	s_cbranch_scc1 .LBB34_9
	s_branch .LBB34_17
.LBB34_16:                              ;   in Loop: Header=BB34_10 Depth=1
	s_waitcnt lgkmcnt(0)
	v_cndmask_b32_e64 v12, v10, v11, s[2:3]
	v_add_u32_e32 v10, s25, v19
	v_ashrrev_i32_e32 v11, 31, v10
	v_cmp_le_i32_e64 s[2:3], s9, v8
	v_cmp_gt_i32_e64 s[4:5], s10, v8
	v_lshlrev_b64 v[10:11], 2, v[10:11]
	s_and_b64 s[4:5], s[2:3], s[4:5]
	v_mov_b32_e32 v23, s17
	v_add_co_u32_e64 v22, s[2:3], s16, v10
	v_addc_co_u32_e64 v23, s[2:3], v23, v11, s[2:3]
	global_store_dword v[22:23], v12, off
	v_subrev_u32_e32 v22, s9, v8
	s_and_b64 s[2:3], s[18:19], s[4:5]
	v_cndmask_b32_e64 v24, 32, v22, s[2:3]
	v_mov_b32_e32 v23, s13
	v_add_co_u32_e64 v22, s[2:3], s12, v10
	v_addc_co_u32_e64 v23, s[2:3], v23, v11, s[2:3]
	global_store_dword v[22:23], v24, off
	v_mov_b32_e32 v22, s15
	v_add_co_u32_e64 v10, s[2:3], s14, v10
	v_addc_co_u32_e64 v11, s[2:3], v22, v11, s[2:3]
	global_store_dword v[10:11], v21, off
	v_add_f32_e32 v10, v18, v12
	v_cndmask_b32_e32 v18, v18, v10, vcc
	s_or_b64 exec, exec, s[6:7]
	s_add_i32 s25, s25, 1
	s_cmp_ge_i32 s25, s8
	s_cbranch_scc1 .LBB34_9
.LBB34_17:                              ;   in Loop: Header=BB34_10 Depth=1
	s_waitcnt lgkmcnt(0)
	v_ashrrev_i32_e32 v11, 31, v8
	v_lshrrev_b32_e32 v10, 30, v11
	v_add_u32_e32 v10, v8, v10
	v_ashrrev_i32_e32 v10, 2, v10
	v_lshrrev_b32_e32 v12, 29, v10
	v_add_u32_e32 v12, v10, v12
	v_and_b32_e32 v12, -8, v12
	v_sub_u32_e32 v12, v10, v12
	v_cmp_eq_u32_e64 s[2:3], v13, v12
	s_and_saveexec_b64 s[4:5], s[2:3]
	s_cbranch_execz .LBB34_8
; %bb.18:                               ;   in Loop: Header=BB34_10 Depth=1
	v_lshrrev_b32_e32 v11, 27, v11
	v_add_u32_e32 v11, v8, v11
	v_lshlrev_b32_e32 v10, 2, v10
	v_ashrrev_i32_e32 v11, 5, v11
	v_sub_u32_e32 v8, v8, v10
	v_lshl_add_u32 v8, v11, 2, v8
	v_cmp_ne_u32_e64 s[2:3], 3, v8
	v_cndmask_b32_e64 v7, v20, v7, s[2:3]
	v_cmp_ne_u32_e64 s[2:3], 2, v8
	v_cndmask_b32_e64 v6, v20, v6, s[2:3]
	;; [unrolled: 2-line block ×4, first 2 shown]
	s_branch .LBB34_8
.LBB34_19:
                                        ; implicit-def: $vgpr4_vgpr5_vgpr6_vgpr7
	s_andn2_b64 vcc, exec, s[6:7]
	s_cbranch_vccz .LBB34_5
	s_branch .LBB34_6
.LBB34_20:
	v_mov_b32_e32 v18, 0
.LBB34_21:
	v_cmp_eq_u32_e64 s[0:1], 0, v13
	s_and_b64 s[0:1], s[0:1], vcc
	s_and_b64 exec, exec, s[0:1]
	s_cbranch_execz .LBB34_30
; %bb.22:
	s_andn2_b64 vcc, exec, s[20:21]
	s_cbranch_vccnz .LBB34_30
; %bb.23:
	v_cmp_lt_f32_e32 vcc, 0, v18
	s_mov_b32 s2, 0
	v_cndmask_b32_e32 v0, 1.0, v18, vcc
	v_mul_lo_u32 v4, v9, s8
	s_cmp_eq_u32 s8, 1
	s_mov_b64 s[0:1], -1
	s_cbranch_scc1 .LBB34_27
; %bb.24:
	s_and_b32 s2, s8, 0x7ffffffe
	v_mov_b32_e32 v1, v0
	v_mov_b32_e32 v5, s17
	s_mov_b32 s3, s2
	v_mov_b32_e32 v2, v4
.LBB34_25:                              ; =>This Inner Loop Header: Depth=1
	v_ashrrev_i32_e32 v3, 31, v2
	v_lshlrev_b64 v[6:7], 2, v[2:3]
	v_add_co_u32_e32 v6, vcc, s16, v6
	v_addc_co_u32_e32 v7, vcc, v5, v7, vcc
	global_load_dwordx2 v[8:9], v[6:7], off
	s_add_i32 s3, s3, -2
	s_cmp_lg_u32 s3, 0
	v_add_u32_e32 v2, 2, v2
	s_waitcnt vmcnt(0)
	v_div_scale_f32 v3, s[0:1], v1, v1, v9
	s_waitcnt lgkmcnt(0)
	v_div_scale_f32 v11, s[0:1], v0, v0, v8
	v_rcp_f32_e32 v12, v3
	v_rcp_f32_e32 v13, v11
	v_div_scale_f32 v10, vcc, v9, v1, v9
	v_fma_f32 v15, -v3, v12, 1.0
	v_fma_f32 v16, -v11, v13, 1.0
	v_fmac_f32_e32 v12, v15, v12
	v_div_scale_f32 v14, s[0:1], v8, v0, v8
	v_fmac_f32_e32 v13, v16, v13
	v_mul_f32_e32 v15, v10, v12
	v_mul_f32_e32 v16, v14, v13
	v_fma_f32 v17, -v3, v15, v10
	v_fma_f32 v18, -v11, v16, v14
	v_fmac_f32_e32 v15, v17, v12
	v_fmac_f32_e32 v16, v18, v13
	v_fma_f32 v3, -v3, v15, v10
	v_fma_f32 v10, -v11, v16, v14
	v_div_fmas_f32 v3, v3, v12, v15
	s_mov_b64 vcc, s[0:1]
	v_div_fixup_f32 v9, v3, v1, v9
	v_div_fmas_f32 v3, v10, v13, v16
	v_div_fixup_f32 v8, v3, v0, v8
	global_store_dwordx2 v[6:7], v[8:9], off
	s_cbranch_scc1 .LBB34_25
; %bb.26:
	s_cmp_lg_u32 s2, s8
	s_cselect_b64 s[0:1], -1, 0
.LBB34_27:
	s_and_b64 vcc, exec, s[0:1]
	s_cbranch_vccz .LBB34_30
; %bb.28:
	v_ashrrev_i32_e32 v1, 31, v4
	v_add_co_u32_e32 v2, vcc, s2, v4
	v_addc_co_u32_e32 v3, vcc, 0, v1, vcc
	v_lshlrev_b64 v[2:3], 2, v[2:3]
	v_mov_b32_e32 v1, s17
	v_add_co_u32_e32 v2, vcc, s16, v2
	s_sub_i32 s0, s8, s2
	v_addc_co_u32_e32 v3, vcc, v1, v3, vcc
.LBB34_29:                              ; =>This Inner Loop Header: Depth=1
	global_load_dword v1, v[2:3], off
	s_add_i32 s0, s0, -1
	s_cmp_lg_u32 s0, 0
	s_waitcnt vmcnt(0)
	v_div_scale_f32 v4, s[2:3], v0, v0, v1
	v_rcp_f32_e32 v5, v4
	v_div_scale_f32 v6, vcc, v1, v0, v1
	v_fma_f32 v7, -v4, v5, 1.0
	v_fmac_f32_e32 v5, v7, v5
	v_mul_f32_e32 v7, v6, v5
	v_fma_f32 v8, -v4, v7, v6
	v_fmac_f32_e32 v7, v8, v5
	v_fma_f32 v4, -v4, v7, v6
	v_div_fmas_f32 v4, v4, v5, v7
	v_div_fixup_f32 v1, v4, v0, v1
	global_store_dword v[2:3], v1, off
	v_add_co_u32_e32 v2, vcc, 4, v2
	v_addc_co_u32_e32 v3, vcc, 0, v3, vcc
	s_cbranch_scc1 .LBB34_29
.LBB34_30:
	s_endpgm
	.section	.rodata,"a",@progbits
	.p2align	6, 0x0
	.amdhsa_kernel _ZN4vllm3moe10topkGatingILi4ELi32ELi4ELi16ELi64EjfLNS0_11ScoringFuncE0EEEvPKT5_PKbPfiPT4_PiiiibPKf
		.amdhsa_group_segment_fixed_size 0
		.amdhsa_private_segment_fixed_size 0
		.amdhsa_kernarg_size 72
		.amdhsa_user_sgpr_count 6
		.amdhsa_user_sgpr_private_segment_buffer 1
		.amdhsa_user_sgpr_dispatch_ptr 0
		.amdhsa_user_sgpr_queue_ptr 0
		.amdhsa_user_sgpr_kernarg_segment_ptr 1
		.amdhsa_user_sgpr_dispatch_id 0
		.amdhsa_user_sgpr_flat_scratch_init 0
		.amdhsa_user_sgpr_kernarg_preload_length 0
		.amdhsa_user_sgpr_kernarg_preload_offset 0
		.amdhsa_user_sgpr_private_segment_size 0
		.amdhsa_uses_dynamic_stack 0
		.amdhsa_system_sgpr_private_segment_wavefront_offset 0
		.amdhsa_system_sgpr_workgroup_id_x 1
		.amdhsa_system_sgpr_workgroup_id_y 0
		.amdhsa_system_sgpr_workgroup_id_z 0
		.amdhsa_system_sgpr_workgroup_info 0
		.amdhsa_system_vgpr_workitem_id 1
		.amdhsa_next_free_vgpr 26
		.amdhsa_next_free_sgpr 26
		.amdhsa_accum_offset 28
		.amdhsa_reserve_vcc 1
		.amdhsa_reserve_flat_scratch 0
		.amdhsa_float_round_mode_32 0
		.amdhsa_float_round_mode_16_64 0
		.amdhsa_float_denorm_mode_32 3
		.amdhsa_float_denorm_mode_16_64 3
		.amdhsa_dx10_clamp 1
		.amdhsa_ieee_mode 1
		.amdhsa_fp16_overflow 0
		.amdhsa_tg_split 0
		.amdhsa_exception_fp_ieee_invalid_op 0
		.amdhsa_exception_fp_denorm_src 0
		.amdhsa_exception_fp_ieee_div_zero 0
		.amdhsa_exception_fp_ieee_overflow 0
		.amdhsa_exception_fp_ieee_underflow 0
		.amdhsa_exception_fp_ieee_inexact 0
		.amdhsa_exception_int_div_zero 0
	.end_amdhsa_kernel
	.section	.text._ZN4vllm3moe10topkGatingILi4ELi32ELi4ELi16ELi64EjfLNS0_11ScoringFuncE0EEEvPKT5_PKbPfiPT4_PiiiibPKf,"axG",@progbits,_ZN4vllm3moe10topkGatingILi4ELi32ELi4ELi16ELi64EjfLNS0_11ScoringFuncE0EEEvPKT5_PKbPfiPT4_PiiiibPKf,comdat
.Lfunc_end34:
	.size	_ZN4vllm3moe10topkGatingILi4ELi32ELi4ELi16ELi64EjfLNS0_11ScoringFuncE0EEEvPKT5_PKbPfiPT4_PiiiibPKf, .Lfunc_end34-_ZN4vllm3moe10topkGatingILi4ELi32ELi4ELi16ELi64EjfLNS0_11ScoringFuncE0EEEvPKT5_PKbPfiPT4_PiiiibPKf
                                        ; -- End function
	.section	.AMDGPU.csdata,"",@progbits
; Kernel info:
; codeLenInByte = 2276
; NumSgprs: 30
; NumVgprs: 26
; NumAgprs: 0
; TotalNumVgprs: 26
; ScratchSize: 0
; MemoryBound: 0
; FloatMode: 240
; IeeeMode: 1
; LDSByteSize: 0 bytes/workgroup (compile time only)
; SGPRBlocks: 3
; VGPRBlocks: 3
; NumSGPRsForWavesPerEU: 30
; NumVGPRsForWavesPerEU: 26
; AccumOffset: 28
; Occupancy: 8
; WaveLimiterHint : 0
; COMPUTE_PGM_RSRC2:SCRATCH_EN: 0
; COMPUTE_PGM_RSRC2:USER_SGPR: 6
; COMPUTE_PGM_RSRC2:TRAP_HANDLER: 0
; COMPUTE_PGM_RSRC2:TGID_X_EN: 1
; COMPUTE_PGM_RSRC2:TGID_Y_EN: 0
; COMPUTE_PGM_RSRC2:TGID_Z_EN: 0
; COMPUTE_PGM_RSRC2:TIDIG_COMP_CNT: 1
; COMPUTE_PGM_RSRC3_GFX90A:ACCUM_OFFSET: 6
; COMPUTE_PGM_RSRC3_GFX90A:TG_SPLIT: 0
	.section	.text._ZN4vllm3moe10topkGatingILi4ELi32ELi4ELi16ELi32EjfLNS0_11ScoringFuncE0EEEvPKT5_PKbPfiPT4_PiiiibPKf,"axG",@progbits,_ZN4vllm3moe10topkGatingILi4ELi32ELi4ELi16ELi32EjfLNS0_11ScoringFuncE0EEEvPKT5_PKbPfiPT4_PiiiibPKf,comdat
	.protected	_ZN4vllm3moe10topkGatingILi4ELi32ELi4ELi16ELi32EjfLNS0_11ScoringFuncE0EEEvPKT5_PKbPfiPT4_PiiiibPKf ; -- Begin function _ZN4vllm3moe10topkGatingILi4ELi32ELi4ELi16ELi32EjfLNS0_11ScoringFuncE0EEEvPKT5_PKbPfiPT4_PiiiibPKf
	.globl	_ZN4vllm3moe10topkGatingILi4ELi32ELi4ELi16ELi32EjfLNS0_11ScoringFuncE0EEEvPKT5_PKbPfiPT4_PiiiibPKf
	.p2align	8
	.type	_ZN4vllm3moe10topkGatingILi4ELi32ELi4ELi16ELi32EjfLNS0_11ScoringFuncE0EEEvPKT5_PKbPfiPT4_PiiiibPKf,@function
_ZN4vllm3moe10topkGatingILi4ELi32ELi4ELi16ELi32EjfLNS0_11ScoringFuncE0EEEvPKT5_PKbPfiPT4_PiiiibPKf: ; @_ZN4vllm3moe10topkGatingILi4ELi32ELi4ELi16ELi32EjfLNS0_11ScoringFuncE0EEEvPKT5_PKbPfiPT4_PiiiibPKf
; %bb.0:
	s_load_dword s24, s[4:5], 0x18
	v_bfe_u32 v1, v0, 10, 10
	v_and_b32_e32 v0, 0x3ff, v0
	s_lshl_b32 s0, s6, 4
	v_lshlrev_b32_e32 v1, 2, v1
	v_lshrrev_b32_e32 v2, 3, v0
	v_add3_u32 v9, s0, v1, v2
	s_waitcnt lgkmcnt(0)
	v_cmp_gt_i32_e32 vcc, s24, v9
	s_and_saveexec_b64 s[0:1], vcc
	s_cbranch_execz .LBB35_30
; %bb.1:
	s_load_dwordx4 s[0:3], s[4:5], 0x0
	s_load_dwordx2 s[16:17], s[4:5], 0x10
	s_mov_b64 s[6:7], -1
	s_mov_b64 s[18:19], -1
	s_waitcnt lgkmcnt(0)
	s_cmp_eq_u64 s[2:3], 0
	s_cbranch_scc1 .LBB35_3
; %bb.2:
	v_ashrrev_i32_e32 v1, 31, v9
	v_mov_b32_e32 v3, s3
	v_add_co_u32_e32 v2, vcc, s2, v9
	v_addc_co_u32_e32 v3, vcc, v3, v1, vcc
	global_load_ubyte v1, v[2:3], off
	s_waitcnt vmcnt(0)
	v_and_b32_e32 v1, 1, v1
	v_cmp_eq_u32_e32 vcc, 1, v1
	s_xor_b64 s[2:3], vcc, -1
	s_orn2_b64 s[18:19], s[2:3], exec
.LBB35_3:
	v_lshlrev_b32_e32 v2, 5, v9
	v_ashrrev_i32_e32 v3, 31, v2
	v_lshlrev_b64 v[2:3], 2, v[2:3]
	v_mov_b32_e32 v1, s1
	v_add_co_u32_e32 v2, vcc, s0, v2
	v_and_b32_e32 v13, 7, v0
	v_addc_co_u32_e32 v1, vcc, v1, v3, vcc
	v_lshlrev_b32_e32 v0, 4, v13
	v_add_co_u32_e32 v0, vcc, v2, v0
	v_addc_co_u32_e32 v1, vcc, 0, v1, vcc
	global_load_dwordx4 v[0:3], v[0:1], off
	v_mbcnt_lo_u32_b32 v4, -1, 0
	v_mbcnt_hi_u32_b32 v4, -1, v4
	v_and_b32_e32 v5, 0x78, v4
	v_xor_b32_e32 v6, 4, v4
	v_add_u32_e32 v5, 8, v5
	v_cmp_lt_i32_e32 vcc, v6, v5
	v_cndmask_b32_e32 v6, v4, v6, vcc
	v_lshlrev_b32_e32 v14, 2, v6
	v_xor_b32_e32 v8, 2, v4
	v_cmp_lt_i32_e32 vcc, v8, v5
	v_cndmask_b32_e32 v8, v4, v8, vcc
	v_lshlrev_b32_e32 v15, 2, v8
	v_xor_b32_e32 v8, 1, v4
	v_cmp_lt_i32_e32 vcc, v8, v5
	v_cndmask_b32_e32 v4, v4, v8, vcc
	v_lshlrev_b32_e32 v16, 2, v4
	s_mov_b32 s0, 0x3fb8aa3b
	s_mov_b32 s1, 0xc2ce8ed0
	;; [unrolled: 1-line block ×3, first 2 shown]
	s_movk_i32 s8, 0x1f8
	s_waitcnt vmcnt(0)
	v_max_f32_e32 v6, v1, v1
	v_max_f32_e32 v7, v0, v0
	;; [unrolled: 1-line block ×3, first 2 shown]
	v_max3_f32 v6, v6, v2, v3
	ds_bpermute_b32 v7, v14, v6
	s_waitcnt lgkmcnt(0)
	v_max_f32_e32 v7, v7, v7
	v_max_f32_e32 v6, v6, v7
	ds_bpermute_b32 v7, v15, v6
	s_waitcnt lgkmcnt(0)
	v_max_f32_e32 v4, v7, v7
	v_max_f32_e32 v4, v6, v4
	ds_bpermute_b32 v5, v16, v4
	v_mov_b32_e32 v6, 0x7f800000
	s_waitcnt lgkmcnt(0)
	v_max_f32_e32 v5, v5, v5
	v_max_f32_e32 v4, v4, v5
	v_pk_add_f32 v[0:1], v[0:1], v[4:5] op_sel_hi:[1,0] neg_lo:[0,1] neg_hi:[0,1]
	v_sub_f32_e32 v2, v2, v4
	v_sub_f32_e32 v3, v3, v4
	v_mul_f32_e32 v4, 0x3fb8aa3b, v1
	v_mul_f32_e32 v5, 0x3fb8aa3b, v0
	v_fma_f32 v10, v1, s0, -v4
	v_rndne_f32_e32 v11, v4
	v_mul_f32_e32 v7, 0x3fb8aa3b, v2
	v_fma_f32 v12, v0, s0, -v5
	v_rndne_f32_e32 v17, v5
	v_fmac_f32_e32 v10, 0x32a5705f, v1
	v_sub_f32_e32 v4, v4, v11
	v_mul_f32_e32 v8, 0x3fb8aa3b, v3
	v_fma_f32 v18, v2, s0, -v7
	v_rndne_f32_e32 v19, v7
	v_fmac_f32_e32 v12, 0x32a5705f, v0
	v_sub_f32_e32 v5, v5, v17
	v_add_f32_e32 v4, v4, v10
	v_fma_f32 v20, v3, s0, -v8
	v_rndne_f32_e32 v21, v8
	v_cvt_i32_f32_e32 v11, v11
	v_fmac_f32_e32 v18, 0x32a5705f, v2
	v_sub_f32_e32 v7, v7, v19
	v_add_f32_e32 v5, v5, v12
	v_exp_f32_e32 v4, v4
	v_cvt_i32_f32_e32 v17, v17
	v_fmac_f32_e32 v20, 0x32a5705f, v3
	v_sub_f32_e32 v8, v8, v21
	v_add_f32_e32 v7, v7, v18
	v_exp_f32_e32 v5, v5
	v_cvt_i32_f32_e32 v19, v19
	v_add_f32_e32 v8, v8, v20
	v_exp_f32_e32 v7, v7
	v_cvt_i32_f32_e32 v21, v21
	v_exp_f32_e32 v8, v8
	v_ldexp_f32 v4, v4, v11
	v_cmp_ngt_f32_e32 vcc, s1, v1
	v_ldexp_f32 v5, v5, v17
	v_cndmask_b32_e32 v4, 0, v4, vcc
	v_cmp_ngt_f32_e32 vcc, s1, v0
	v_ldexp_f32 v7, v7, v19
	v_cndmask_b32_e32 v5, 0, v5, vcc
	;; [unrolled: 3-line block ×3, first 2 shown]
	v_cmp_ngt_f32_e32 vcc, s1, v3
	v_cndmask_b32_e32 v8, 0, v8, vcc
	v_cmp_nlt_f32_e32 vcc, s2, v1
	v_cndmask_b32_e32 v1, v6, v4, vcc
	v_cmp_nlt_f32_e32 vcc, s2, v0
	;; [unrolled: 2-line block ×4, first 2 shown]
	v_add_f32_e32 v4, v0, v1
	v_cndmask_b32_e32 v3, v6, v8, vcc
	v_add_f32_e32 v4, v4, v2
	v_add_f32_e32 v4, v4, v3
	ds_bpermute_b32 v5, v14, v4
	s_load_dwordx2 s[0:1], s[4:5], 0x40
	v_lshlrev_b32_e32 v17, 2, v13
	s_waitcnt lgkmcnt(0)
	v_add_f32_e32 v4, v4, v5
	ds_bpermute_b32 v5, v15, v4
	s_cmp_eq_u64 s[0:1], 0
	s_waitcnt lgkmcnt(0)
	v_add_f32_e32 v4, v4, v5
	ds_bpermute_b32 v5, v16, v4
	s_waitcnt lgkmcnt(0)
	v_add_f32_e32 v4, v4, v5
	v_div_scale_f32 v5, s[2:3], v4, v4, 1.0
	v_rcp_f32_e32 v6, v5
	v_div_scale_f32 v7, vcc, 1.0, v4, 1.0
	v_fma_f32 v8, -v5, v6, 1.0
	v_fmac_f32_e32 v6, v8, v6
	v_mul_f32_e32 v8, v7, v6
	v_fma_f32 v10, -v5, v8, v7
	v_fmac_f32_e32 v8, v10, v6
	v_fma_f32 v5, -v5, v8, v7
	v_div_fmas_f32 v5, v5, v6, v8
	v_div_fixup_f32 v4, v5, v4, 1.0
	v_mul_f32_e32 v0, v4, v0
	v_mul_f32_e32 v1, v4, v1
	v_cmp_class_f32_e64 vcc, v0, s8
	v_mul_f32_e32 v2, v4, v2
	v_cndmask_b32_e32 v0, 0, v0, vcc
	v_cmp_class_f32_e64 vcc, v1, s8
	v_mul_f32_e32 v3, v4, v3
	v_cndmask_b32_e32 v1, 0, v1, vcc
	v_cmp_class_f32_e64 vcc, v2, s8
	v_cndmask_b32_e32 v2, 0, v2, vcc
	v_cmp_class_f32_e64 vcc, v3, s8
	v_cndmask_b32_e32 v3, 0, v3, vcc
	s_cbranch_scc1 .LBB35_19
; %bb.4:
	v_lshlrev_b32_e32 v4, 2, v17
	global_load_dwordx4 v[4:7], v4, s[0:1]
	s_waitcnt vmcnt(0)
	v_pk_add_f32 v[4:5], v[4:5], v[0:1]
	v_pk_add_f32 v[6:7], v[6:7], v[2:3]
	s_cbranch_execnz .LBB35_6
.LBB35_5:
	v_pk_mov_b32 v[6:7], v[2:3], v[2:3] op_sel:[0,1]
	v_pk_mov_b32 v[4:5], v[0:1], v[0:1] op_sel:[0,1]
.LBB35_6:
	s_load_dwordx4 s[8:11], s[4:5], 0x30
	s_mov_b32 s25, 0
	v_cmp_eq_u32_e64 s[0:1], 0, v13
	s_waitcnt lgkmcnt(0)
	s_bitcmp1_b32 s11, 0
	s_cselect_b64 vcc, -1, 0
	s_cmp_gt_i32 s8, 0
	s_cselect_b64 s[20:21], -1, 0
	s_cmp_lt_i32 s8, 1
	s_cbranch_scc1 .LBB35_20
; %bb.7:
	s_load_dwordx4 s[12:15], s[4:5], 0x20
	v_mul_lo_u32 v19, v9, s8
	v_mov_b32_e32 v18, 0
	v_mov_b32_e32 v20, 0xc61c4000
	;; [unrolled: 1-line block ×3, first 2 shown]
	s_branch .LBB35_10
.LBB35_8:                               ;   in Loop: Header=BB35_10 Depth=1
	s_or_b64 exec, exec, s[4:5]
.LBB35_9:                               ;   in Loop: Header=BB35_10 Depth=1
	s_cmp_eq_u32 s8, s25
	v_add_u32_e32 v21, s24, v21
	s_cbranch_scc1 .LBB35_21
.LBB35_10:                              ; =>This Inner Loop Header: Depth=1
	v_cmp_gt_f32_e64 s[2:3], v5, v4
	v_cndmask_b32_e64 v8, v4, v5, s[2:3]
	v_cndmask_b32_e64 v10, v0, v1, s[2:3]
	s_waitcnt lgkmcnt(0)
	v_cndmask_b32_e64 v11, 0, 1, s[2:3]
	v_cmp_gt_f32_e64 s[2:3], v6, v8
	v_cndmask_b32_e64 v8, v8, v6, s[2:3]
	v_cndmask_b32_e64 v10, v10, v2, s[2:3]
	;; [unrolled: 1-line block ×3, first 2 shown]
	v_cmp_gt_f32_e64 s[2:3], v7, v8
	v_cndmask_b32_e64 v11, v11, 3, s[2:3]
	v_cndmask_b32_e64 v8, v8, v7, s[2:3]
	v_or_b32_e32 v11, v17, v11
	ds_bpermute_b32 v12, v14, v8
	ds_bpermute_b32 v22, v14, v11
	v_cndmask_b32_e64 v10, v10, v3, s[2:3]
	ds_bpermute_b32 v24, v14, v10
	s_waitcnt lgkmcnt(0)
	v_cmp_eq_f32_e64 s[4:5], v8, v12
	v_cmp_lt_i32_e64 s[6:7], v22, v11
	v_cmp_lt_f32_e64 s[2:3], v8, v12
	s_and_b64 s[4:5], s[4:5], s[6:7]
	s_or_b64 s[2:3], s[2:3], s[4:5]
	v_cndmask_b32_e64 v23, v8, v12, s[2:3]
	v_cndmask_b32_e64 v22, v11, v22, s[2:3]
	;; [unrolled: 1-line block ×3, first 2 shown]
	ds_bpermute_b32 v25, v15, v23
	ds_bpermute_b32 v12, v15, v8
	;; [unrolled: 1-line block ×3, first 2 shown]
                                        ; implicit-def: $vgpr10_vgpr11
	s_waitcnt lgkmcnt(2)
	v_cmp_lt_f32_e64 s[6:7], v23, v25
	v_cmp_nlt_f32_e64 s[2:3], v23, v25
	s_and_saveexec_b64 s[22:23], s[2:3]
	s_cbranch_execz .LBB35_12
; %bb.11:                               ;   in Loop: Header=BB35_10 Depth=1
	v_cmp_eq_f32_e64 s[2:3], v23, v25
	s_waitcnt lgkmcnt(0)
	v_cmp_lt_i32_e64 s[4:5], v24, v22
	s_and_b64 s[2:3], s[2:3], s[4:5]
	s_andn2_b64 s[4:5], s[6:7], exec
	s_and_b64 s[2:3], s[2:3], exec
	s_or_b64 s[6:7], s[4:5], s[2:3]
	v_pk_mov_b32 v[10:11], v[8:9], v[8:9] op_sel:[0,1]
.LBB35_12:                              ;   in Loop: Header=BB35_10 Depth=1
	s_or_b64 exec, exec, s[22:23]
	s_and_saveexec_b64 s[2:3], s[6:7]
	s_cbranch_execz .LBB35_14
; %bb.13:                               ;   in Loop: Header=BB35_10 Depth=1
	v_mov_b32_e32 v23, v25
	s_waitcnt lgkmcnt(1)
	v_mov_b32_e32 v8, v12
	s_waitcnt lgkmcnt(0)
	v_mov_b32_e32 v22, v24
	v_pk_mov_b32 v[10:11], v[12:13], v[12:13] op_sel:[0,1]
.LBB35_14:                              ;   in Loop: Header=BB35_10 Depth=1
	s_or_b64 exec, exec, s[2:3]
	s_waitcnt lgkmcnt(1)
	ds_bpermute_b32 v12, v16, v23
	s_waitcnt lgkmcnt(1)
	ds_bpermute_b32 v24, v16, v22
	ds_bpermute_b32 v11, v16, v8
	s_waitcnt lgkmcnt(2)
	v_cmp_eq_f32_e64 s[4:5], v23, v12
	s_waitcnt lgkmcnt(1)
	v_cmp_lt_i32_e64 s[6:7], v24, v22
	v_cmp_lt_f32_e64 s[2:3], v23, v12
	s_and_b64 s[4:5], s[4:5], s[6:7]
	s_or_b64 s[2:3], s[2:3], s[4:5]
	v_cndmask_b32_e64 v8, v22, v24, s[2:3]
	s_and_saveexec_b64 s[6:7], s[0:1]
	s_cbranch_execnz .LBB35_16
; %bb.15:                               ;   in Loop: Header=BB35_10 Depth=1
	s_or_b64 exec, exec, s[6:7]
	s_add_i32 s25, s25, 1
	s_cmp_ge_i32 s25, s8
	s_cbranch_scc1 .LBB35_9
	s_branch .LBB35_17
.LBB35_16:                              ;   in Loop: Header=BB35_10 Depth=1
	s_waitcnt lgkmcnt(0)
	v_cndmask_b32_e64 v12, v10, v11, s[2:3]
	v_add_u32_e32 v10, s25, v19
	v_ashrrev_i32_e32 v11, 31, v10
	v_cmp_le_i32_e64 s[2:3], s9, v8
	v_cmp_gt_i32_e64 s[4:5], s10, v8
	v_lshlrev_b64 v[10:11], 2, v[10:11]
	s_and_b64 s[4:5], s[2:3], s[4:5]
	v_mov_b32_e32 v23, s17
	v_add_co_u32_e64 v22, s[2:3], s16, v10
	v_addc_co_u32_e64 v23, s[2:3], v23, v11, s[2:3]
	global_store_dword v[22:23], v12, off
	v_subrev_u32_e32 v22, s9, v8
	s_and_b64 s[2:3], s[18:19], s[4:5]
	v_cndmask_b32_e64 v24, 32, v22, s[2:3]
	v_mov_b32_e32 v23, s13
	v_add_co_u32_e64 v22, s[2:3], s12, v10
	v_addc_co_u32_e64 v23, s[2:3], v23, v11, s[2:3]
	global_store_dword v[22:23], v24, off
	v_mov_b32_e32 v22, s15
	v_add_co_u32_e64 v10, s[2:3], s14, v10
	v_addc_co_u32_e64 v11, s[2:3], v22, v11, s[2:3]
	global_store_dword v[10:11], v21, off
	v_add_f32_e32 v10, v18, v12
	v_cndmask_b32_e32 v18, v18, v10, vcc
	s_or_b64 exec, exec, s[6:7]
	s_add_i32 s25, s25, 1
	s_cmp_ge_i32 s25, s8
	s_cbranch_scc1 .LBB35_9
.LBB35_17:                              ;   in Loop: Header=BB35_10 Depth=1
	s_waitcnt lgkmcnt(0)
	v_ashrrev_i32_e32 v11, 31, v8
	v_lshrrev_b32_e32 v10, 30, v11
	v_add_u32_e32 v10, v8, v10
	v_ashrrev_i32_e32 v10, 2, v10
	v_lshrrev_b32_e32 v12, 29, v10
	v_add_u32_e32 v12, v10, v12
	v_and_b32_e32 v12, -8, v12
	v_sub_u32_e32 v12, v10, v12
	v_cmp_eq_u32_e64 s[2:3], v13, v12
	s_and_saveexec_b64 s[4:5], s[2:3]
	s_cbranch_execz .LBB35_8
; %bb.18:                               ;   in Loop: Header=BB35_10 Depth=1
	v_lshrrev_b32_e32 v11, 27, v11
	v_add_u32_e32 v11, v8, v11
	v_lshlrev_b32_e32 v10, 2, v10
	v_ashrrev_i32_e32 v11, 5, v11
	v_sub_u32_e32 v8, v8, v10
	v_lshl_add_u32 v8, v11, 2, v8
	v_cmp_ne_u32_e64 s[2:3], 3, v8
	v_cndmask_b32_e64 v7, v20, v7, s[2:3]
	v_cmp_ne_u32_e64 s[2:3], 2, v8
	v_cndmask_b32_e64 v6, v20, v6, s[2:3]
	;; [unrolled: 2-line block ×4, first 2 shown]
	s_branch .LBB35_8
.LBB35_19:
                                        ; implicit-def: $vgpr4_vgpr5_vgpr6_vgpr7
	s_andn2_b64 vcc, exec, s[6:7]
	s_cbranch_vccz .LBB35_5
	s_branch .LBB35_6
.LBB35_20:
	v_mov_b32_e32 v18, 0
.LBB35_21:
	v_cmp_eq_u32_e64 s[0:1], 0, v13
	s_and_b64 s[0:1], s[0:1], vcc
	s_and_b64 exec, exec, s[0:1]
	s_cbranch_execz .LBB35_30
; %bb.22:
	s_andn2_b64 vcc, exec, s[20:21]
	s_cbranch_vccnz .LBB35_30
; %bb.23:
	v_cmp_lt_f32_e32 vcc, 0, v18
	s_mov_b32 s2, 0
	v_cndmask_b32_e32 v0, 1.0, v18, vcc
	v_mul_lo_u32 v4, v9, s8
	s_cmp_eq_u32 s8, 1
	s_mov_b64 s[0:1], -1
	s_cbranch_scc1 .LBB35_27
; %bb.24:
	s_and_b32 s2, s8, 0x7ffffffe
	v_mov_b32_e32 v1, v0
	v_mov_b32_e32 v5, s17
	s_mov_b32 s3, s2
	v_mov_b32_e32 v2, v4
.LBB35_25:                              ; =>This Inner Loop Header: Depth=1
	v_ashrrev_i32_e32 v3, 31, v2
	v_lshlrev_b64 v[6:7], 2, v[2:3]
	v_add_co_u32_e32 v6, vcc, s16, v6
	v_addc_co_u32_e32 v7, vcc, v5, v7, vcc
	global_load_dwordx2 v[8:9], v[6:7], off
	s_add_i32 s3, s3, -2
	s_cmp_lg_u32 s3, 0
	v_add_u32_e32 v2, 2, v2
	s_waitcnt vmcnt(0)
	v_div_scale_f32 v3, s[0:1], v1, v1, v9
	s_waitcnt lgkmcnt(0)
	v_div_scale_f32 v11, s[0:1], v0, v0, v8
	v_rcp_f32_e32 v12, v3
	v_rcp_f32_e32 v13, v11
	v_div_scale_f32 v10, vcc, v9, v1, v9
	v_fma_f32 v15, -v3, v12, 1.0
	v_fma_f32 v16, -v11, v13, 1.0
	v_fmac_f32_e32 v12, v15, v12
	v_div_scale_f32 v14, s[0:1], v8, v0, v8
	v_fmac_f32_e32 v13, v16, v13
	v_mul_f32_e32 v15, v10, v12
	v_mul_f32_e32 v16, v14, v13
	v_fma_f32 v17, -v3, v15, v10
	v_fma_f32 v18, -v11, v16, v14
	v_fmac_f32_e32 v15, v17, v12
	v_fmac_f32_e32 v16, v18, v13
	v_fma_f32 v3, -v3, v15, v10
	v_fma_f32 v10, -v11, v16, v14
	v_div_fmas_f32 v3, v3, v12, v15
	s_mov_b64 vcc, s[0:1]
	v_div_fixup_f32 v9, v3, v1, v9
	v_div_fmas_f32 v3, v10, v13, v16
	v_div_fixup_f32 v8, v3, v0, v8
	global_store_dwordx2 v[6:7], v[8:9], off
	s_cbranch_scc1 .LBB35_25
; %bb.26:
	s_cmp_lg_u32 s2, s8
	s_cselect_b64 s[0:1], -1, 0
.LBB35_27:
	s_and_b64 vcc, exec, s[0:1]
	s_cbranch_vccz .LBB35_30
; %bb.28:
	v_ashrrev_i32_e32 v1, 31, v4
	v_add_co_u32_e32 v2, vcc, s2, v4
	v_addc_co_u32_e32 v3, vcc, 0, v1, vcc
	v_lshlrev_b64 v[2:3], 2, v[2:3]
	v_mov_b32_e32 v1, s17
	v_add_co_u32_e32 v2, vcc, s16, v2
	s_sub_i32 s0, s8, s2
	v_addc_co_u32_e32 v3, vcc, v1, v3, vcc
.LBB35_29:                              ; =>This Inner Loop Header: Depth=1
	global_load_dword v1, v[2:3], off
	s_add_i32 s0, s0, -1
	s_cmp_lg_u32 s0, 0
	s_waitcnt vmcnt(0)
	v_div_scale_f32 v4, s[2:3], v0, v0, v1
	v_rcp_f32_e32 v5, v4
	v_div_scale_f32 v6, vcc, v1, v0, v1
	v_fma_f32 v7, -v4, v5, 1.0
	v_fmac_f32_e32 v5, v7, v5
	v_mul_f32_e32 v7, v6, v5
	v_fma_f32 v8, -v4, v7, v6
	v_fmac_f32_e32 v7, v8, v5
	v_fma_f32 v4, -v4, v7, v6
	v_div_fmas_f32 v4, v4, v5, v7
	v_div_fixup_f32 v1, v4, v0, v1
	global_store_dword v[2:3], v1, off
	v_add_co_u32_e32 v2, vcc, 4, v2
	v_addc_co_u32_e32 v3, vcc, 0, v3, vcc
	s_cbranch_scc1 .LBB35_29
.LBB35_30:
	s_endpgm
	.section	.rodata,"a",@progbits
	.p2align	6, 0x0
	.amdhsa_kernel _ZN4vllm3moe10topkGatingILi4ELi32ELi4ELi16ELi32EjfLNS0_11ScoringFuncE0EEEvPKT5_PKbPfiPT4_PiiiibPKf
		.amdhsa_group_segment_fixed_size 0
		.amdhsa_private_segment_fixed_size 0
		.amdhsa_kernarg_size 72
		.amdhsa_user_sgpr_count 6
		.amdhsa_user_sgpr_private_segment_buffer 1
		.amdhsa_user_sgpr_dispatch_ptr 0
		.amdhsa_user_sgpr_queue_ptr 0
		.amdhsa_user_sgpr_kernarg_segment_ptr 1
		.amdhsa_user_sgpr_dispatch_id 0
		.amdhsa_user_sgpr_flat_scratch_init 0
		.amdhsa_user_sgpr_kernarg_preload_length 0
		.amdhsa_user_sgpr_kernarg_preload_offset 0
		.amdhsa_user_sgpr_private_segment_size 0
		.amdhsa_uses_dynamic_stack 0
		.amdhsa_system_sgpr_private_segment_wavefront_offset 0
		.amdhsa_system_sgpr_workgroup_id_x 1
		.amdhsa_system_sgpr_workgroup_id_y 0
		.amdhsa_system_sgpr_workgroup_id_z 0
		.amdhsa_system_sgpr_workgroup_info 0
		.amdhsa_system_vgpr_workitem_id 1
		.amdhsa_next_free_vgpr 26
		.amdhsa_next_free_sgpr 26
		.amdhsa_accum_offset 28
		.amdhsa_reserve_vcc 1
		.amdhsa_reserve_flat_scratch 0
		.amdhsa_float_round_mode_32 0
		.amdhsa_float_round_mode_16_64 0
		.amdhsa_float_denorm_mode_32 3
		.amdhsa_float_denorm_mode_16_64 3
		.amdhsa_dx10_clamp 1
		.amdhsa_ieee_mode 1
		.amdhsa_fp16_overflow 0
		.amdhsa_tg_split 0
		.amdhsa_exception_fp_ieee_invalid_op 0
		.amdhsa_exception_fp_denorm_src 0
		.amdhsa_exception_fp_ieee_div_zero 0
		.amdhsa_exception_fp_ieee_overflow 0
		.amdhsa_exception_fp_ieee_underflow 0
		.amdhsa_exception_fp_ieee_inexact 0
		.amdhsa_exception_int_div_zero 0
	.end_amdhsa_kernel
	.section	.text._ZN4vllm3moe10topkGatingILi4ELi32ELi4ELi16ELi32EjfLNS0_11ScoringFuncE0EEEvPKT5_PKbPfiPT4_PiiiibPKf,"axG",@progbits,_ZN4vllm3moe10topkGatingILi4ELi32ELi4ELi16ELi32EjfLNS0_11ScoringFuncE0EEEvPKT5_PKbPfiPT4_PiiiibPKf,comdat
.Lfunc_end35:
	.size	_ZN4vllm3moe10topkGatingILi4ELi32ELi4ELi16ELi32EjfLNS0_11ScoringFuncE0EEEvPKT5_PKbPfiPT4_PiiiibPKf, .Lfunc_end35-_ZN4vllm3moe10topkGatingILi4ELi32ELi4ELi16ELi32EjfLNS0_11ScoringFuncE0EEEvPKT5_PKbPfiPT4_PiiiibPKf
                                        ; -- End function
	.section	.AMDGPU.csdata,"",@progbits
; Kernel info:
; codeLenInByte = 2276
; NumSgprs: 30
; NumVgprs: 26
; NumAgprs: 0
; TotalNumVgprs: 26
; ScratchSize: 0
; MemoryBound: 0
; FloatMode: 240
; IeeeMode: 1
; LDSByteSize: 0 bytes/workgroup (compile time only)
; SGPRBlocks: 3
; VGPRBlocks: 3
; NumSGPRsForWavesPerEU: 30
; NumVGPRsForWavesPerEU: 26
; AccumOffset: 28
; Occupancy: 8
; WaveLimiterHint : 0
; COMPUTE_PGM_RSRC2:SCRATCH_EN: 0
; COMPUTE_PGM_RSRC2:USER_SGPR: 6
; COMPUTE_PGM_RSRC2:TRAP_HANDLER: 0
; COMPUTE_PGM_RSRC2:TGID_X_EN: 1
; COMPUTE_PGM_RSRC2:TGID_Y_EN: 0
; COMPUTE_PGM_RSRC2:TGID_Z_EN: 0
; COMPUTE_PGM_RSRC2:TIDIG_COMP_CNT: 1
; COMPUTE_PGM_RSRC3_GFX90A:ACCUM_OFFSET: 6
; COMPUTE_PGM_RSRC3_GFX90A:TG_SPLIT: 0
	.section	.text._ZN4vllm3moe10topkGatingILi4ELi64ELi4ELi16ELi64EjfLNS0_11ScoringFuncE0EEEvPKT5_PKbPfiPT4_PiiiibPKf,"axG",@progbits,_ZN4vllm3moe10topkGatingILi4ELi64ELi4ELi16ELi64EjfLNS0_11ScoringFuncE0EEEvPKT5_PKbPfiPT4_PiiiibPKf,comdat
	.protected	_ZN4vllm3moe10topkGatingILi4ELi64ELi4ELi16ELi64EjfLNS0_11ScoringFuncE0EEEvPKT5_PKbPfiPT4_PiiiibPKf ; -- Begin function _ZN4vllm3moe10topkGatingILi4ELi64ELi4ELi16ELi64EjfLNS0_11ScoringFuncE0EEEvPKT5_PKbPfiPT4_PiiiibPKf
	.globl	_ZN4vllm3moe10topkGatingILi4ELi64ELi4ELi16ELi64EjfLNS0_11ScoringFuncE0EEEvPKT5_PKbPfiPT4_PiiiibPKf
	.p2align	8
	.type	_ZN4vllm3moe10topkGatingILi4ELi64ELi4ELi16ELi64EjfLNS0_11ScoringFuncE0EEEvPKT5_PKbPfiPT4_PiiiibPKf,@function
_ZN4vllm3moe10topkGatingILi4ELi64ELi4ELi16ELi64EjfLNS0_11ScoringFuncE0EEEvPKT5_PKbPfiPT4_PiiiibPKf: ; @_ZN4vllm3moe10topkGatingILi4ELi64ELi4ELi16ELi64EjfLNS0_11ScoringFuncE0EEEvPKT5_PKbPfiPT4_PiiiibPKf
; %bb.0:
	s_load_dword s24, s[4:5], 0x18
	v_bfe_u32 v1, v0, 10, 10
	v_and_b32_e32 v0, 0x3ff, v0
	s_lshl_b32 s0, s6, 4
	v_lshlrev_b32_e32 v1, 2, v1
	v_lshrrev_b32_e32 v2, 4, v0
	v_add3_u32 v9, s0, v1, v2
	s_waitcnt lgkmcnt(0)
	v_cmp_gt_i32_e32 vcc, s24, v9
	s_and_saveexec_b64 s[0:1], vcc
	s_cbranch_execz .LBB36_34
; %bb.1:
	s_load_dwordx4 s[0:3], s[4:5], 0x0
	s_load_dwordx2 s[16:17], s[4:5], 0x10
	s_mov_b64 s[6:7], -1
	s_mov_b64 s[18:19], -1
	s_waitcnt lgkmcnt(0)
	s_cmp_eq_u64 s[2:3], 0
	s_cbranch_scc1 .LBB36_3
; %bb.2:
	v_ashrrev_i32_e32 v1, 31, v9
	v_mov_b32_e32 v3, s3
	v_add_co_u32_e32 v2, vcc, s2, v9
	v_addc_co_u32_e32 v3, vcc, v3, v1, vcc
	global_load_ubyte v1, v[2:3], off
	s_waitcnt vmcnt(0)
	v_and_b32_e32 v1, 1, v1
	v_cmp_eq_u32_e32 vcc, 1, v1
	s_xor_b64 s[2:3], vcc, -1
	s_orn2_b64 s[18:19], s[2:3], exec
.LBB36_3:
	v_lshlrev_b32_e32 v2, 6, v9
	v_ashrrev_i32_e32 v3, 31, v2
	v_lshlrev_b64 v[2:3], 2, v[2:3]
	v_mov_b32_e32 v1, s1
	v_add_co_u32_e32 v2, vcc, s0, v2
	v_and_b32_e32 v13, 15, v0
	v_addc_co_u32_e32 v1, vcc, v1, v3, vcc
	v_lshlrev_b32_e32 v0, 4, v13
	v_add_co_u32_e32 v0, vcc, v2, v0
	v_addc_co_u32_e32 v1, vcc, 0, v1, vcc
	global_load_dwordx4 v[0:3], v[0:1], off
	v_mbcnt_lo_u32_b32 v4, -1, 0
	v_mbcnt_hi_u32_b32 v4, -1, v4
	v_and_b32_e32 v5, 0x70, v4
	v_xor_b32_e32 v6, 8, v4
	v_add_u32_e32 v5, 16, v5
	v_cmp_lt_i32_e32 vcc, v6, v5
	v_cndmask_b32_e32 v6, v4, v6, vcc
	v_lshlrev_b32_e32 v14, 2, v6
	v_xor_b32_e32 v8, 4, v4
	v_cmp_lt_i32_e32 vcc, v8, v5
	v_cndmask_b32_e32 v8, v4, v8, vcc
	v_lshlrev_b32_e32 v15, 2, v8
	v_xor_b32_e32 v8, 2, v4
	;; [unrolled: 4-line block ×3, first 2 shown]
	v_cmp_lt_i32_e32 vcc, v8, v5
	v_cndmask_b32_e32 v4, v4, v8, vcc
	v_lshlrev_b32_e32 v17, 2, v4
	s_mov_b32 s0, 0x3fb8aa3b
	s_mov_b32 s1, 0xc2ce8ed0
	;; [unrolled: 1-line block ×3, first 2 shown]
	s_movk_i32 s8, 0x1f8
	s_waitcnt vmcnt(0)
	v_max_f32_e32 v6, v1, v1
	v_max_f32_e32 v7, v0, v0
	v_max_f32_e32 v6, v7, v6
	v_max3_f32 v6, v6, v2, v3
	ds_bpermute_b32 v7, v14, v6
	s_waitcnt lgkmcnt(0)
	v_max_f32_e32 v7, v7, v7
	v_max_f32_e32 v6, v6, v7
	ds_bpermute_b32 v7, v15, v6
	s_waitcnt lgkmcnt(0)
	v_max_f32_e32 v7, v7, v7
	v_max_f32_e32 v6, v6, v7
	;; [unrolled: 4-line block ×3, first 2 shown]
	ds_bpermute_b32 v5, v17, v4
	v_mov_b32_e32 v6, 0x7f800000
	s_waitcnt lgkmcnt(0)
	v_max_f32_e32 v5, v5, v5
	v_max_f32_e32 v4, v4, v5
	v_pk_add_f32 v[0:1], v[0:1], v[4:5] op_sel_hi:[1,0] neg_lo:[0,1] neg_hi:[0,1]
	v_sub_f32_e32 v2, v2, v4
	v_sub_f32_e32 v3, v3, v4
	v_mul_f32_e32 v4, 0x3fb8aa3b, v1
	v_mul_f32_e32 v5, 0x3fb8aa3b, v0
	v_fma_f32 v10, v1, s0, -v4
	v_rndne_f32_e32 v11, v4
	v_mul_f32_e32 v7, 0x3fb8aa3b, v2
	v_fma_f32 v12, v0, s0, -v5
	v_rndne_f32_e32 v18, v5
	v_fmac_f32_e32 v10, 0x32a5705f, v1
	v_sub_f32_e32 v4, v4, v11
	v_mul_f32_e32 v8, 0x3fb8aa3b, v3
	v_fma_f32 v19, v2, s0, -v7
	v_rndne_f32_e32 v20, v7
	v_fmac_f32_e32 v12, 0x32a5705f, v0
	v_sub_f32_e32 v5, v5, v18
	v_add_f32_e32 v4, v4, v10
	v_fma_f32 v21, v3, s0, -v8
	v_rndne_f32_e32 v22, v8
	v_cvt_i32_f32_e32 v11, v11
	v_fmac_f32_e32 v19, 0x32a5705f, v2
	v_sub_f32_e32 v7, v7, v20
	v_add_f32_e32 v5, v5, v12
	v_exp_f32_e32 v4, v4
	v_cvt_i32_f32_e32 v18, v18
	v_fmac_f32_e32 v21, 0x32a5705f, v3
	v_sub_f32_e32 v8, v8, v22
	v_add_f32_e32 v7, v7, v19
	v_exp_f32_e32 v5, v5
	v_cvt_i32_f32_e32 v20, v20
	v_add_f32_e32 v8, v8, v21
	v_exp_f32_e32 v7, v7
	v_cvt_i32_f32_e32 v22, v22
	v_exp_f32_e32 v8, v8
	v_ldexp_f32 v4, v4, v11
	v_cmp_ngt_f32_e32 vcc, s1, v1
	v_ldexp_f32 v5, v5, v18
	v_cndmask_b32_e32 v4, 0, v4, vcc
	v_cmp_ngt_f32_e32 vcc, s1, v0
	v_ldexp_f32 v7, v7, v20
	v_cndmask_b32_e32 v5, 0, v5, vcc
	;; [unrolled: 3-line block ×3, first 2 shown]
	v_cmp_ngt_f32_e32 vcc, s1, v3
	v_cndmask_b32_e32 v8, 0, v8, vcc
	v_cmp_nlt_f32_e32 vcc, s2, v1
	v_cndmask_b32_e32 v1, v6, v4, vcc
	v_cmp_nlt_f32_e32 vcc, s2, v0
	;; [unrolled: 2-line block ×4, first 2 shown]
	v_add_f32_e32 v4, v0, v1
	v_cndmask_b32_e32 v3, v6, v8, vcc
	v_add_f32_e32 v4, v4, v2
	v_add_f32_e32 v4, v4, v3
	ds_bpermute_b32 v5, v14, v4
	s_load_dwordx2 s[0:1], s[4:5], 0x40
	v_lshlrev_b32_e32 v18, 2, v13
	s_waitcnt lgkmcnt(0)
	v_add_f32_e32 v4, v4, v5
	ds_bpermute_b32 v5, v15, v4
	s_cmp_eq_u64 s[0:1], 0
	s_waitcnt lgkmcnt(0)
	v_add_f32_e32 v4, v4, v5
	ds_bpermute_b32 v5, v16, v4
	s_waitcnt lgkmcnt(0)
	v_add_f32_e32 v4, v4, v5
	ds_bpermute_b32 v5, v17, v4
	s_waitcnt lgkmcnt(0)
	v_add_f32_e32 v4, v4, v5
	v_div_scale_f32 v5, s[2:3], v4, v4, 1.0
	v_rcp_f32_e32 v6, v5
	v_div_scale_f32 v7, vcc, 1.0, v4, 1.0
	v_fma_f32 v8, -v5, v6, 1.0
	v_fmac_f32_e32 v6, v8, v6
	v_mul_f32_e32 v8, v7, v6
	v_fma_f32 v10, -v5, v8, v7
	v_fmac_f32_e32 v8, v10, v6
	v_fma_f32 v5, -v5, v8, v7
	v_div_fmas_f32 v5, v5, v6, v8
	v_div_fixup_f32 v4, v5, v4, 1.0
	v_mul_f32_e32 v0, v4, v0
	v_mul_f32_e32 v1, v4, v1
	v_cmp_class_f32_e64 vcc, v0, s8
	v_mul_f32_e32 v2, v4, v2
	v_cndmask_b32_e32 v0, 0, v0, vcc
	v_cmp_class_f32_e64 vcc, v1, s8
	v_mul_f32_e32 v3, v4, v3
	v_cndmask_b32_e32 v1, 0, v1, vcc
	v_cmp_class_f32_e64 vcc, v2, s8
	v_cndmask_b32_e32 v2, 0, v2, vcc
	v_cmp_class_f32_e64 vcc, v3, s8
	v_cndmask_b32_e32 v3, 0, v3, vcc
	s_cbranch_scc1 .LBB36_23
; %bb.4:
	v_lshlrev_b32_e32 v4, 2, v18
	global_load_dwordx4 v[4:7], v4, s[0:1]
	s_waitcnt vmcnt(0)
	v_pk_add_f32 v[4:5], v[4:5], v[0:1]
	v_pk_add_f32 v[6:7], v[6:7], v[2:3]
	s_cbranch_execnz .LBB36_6
.LBB36_5:
	v_pk_mov_b32 v[6:7], v[2:3], v[2:3] op_sel:[0,1]
	v_pk_mov_b32 v[4:5], v[0:1], v[0:1] op_sel:[0,1]
.LBB36_6:
	s_load_dwordx4 s[8:11], s[4:5], 0x30
	s_mov_b32 s25, 0
	v_cmp_eq_u32_e64 s[0:1], 0, v13
	s_waitcnt lgkmcnt(0)
	s_bitcmp1_b32 s11, 0
	s_cselect_b64 vcc, -1, 0
	s_cmp_gt_i32 s8, 0
	s_cselect_b64 s[20:21], -1, 0
	s_cmp_lt_i32 s8, 1
	s_cbranch_scc1 .LBB36_24
; %bb.7:
	s_load_dwordx4 s[12:15], s[4:5], 0x20
	v_mul_lo_u32 v20, v9, s8
	v_mov_b32_e32 v19, 0
	v_mov_b32_e32 v21, 0xc61c4000
	;; [unrolled: 1-line block ×3, first 2 shown]
	s_branch .LBB36_10
.LBB36_8:                               ;   in Loop: Header=BB36_10 Depth=1
	s_or_b64 exec, exec, s[4:5]
.LBB36_9:                               ;   in Loop: Header=BB36_10 Depth=1
	s_cmp_eq_u32 s8, s25
	v_add_u32_e32 v22, s24, v22
	s_cbranch_scc1 .LBB36_25
.LBB36_10:                              ; =>This Inner Loop Header: Depth=1
	v_cmp_gt_f32_e64 s[2:3], v5, v4
	v_cndmask_b32_e64 v8, v4, v5, s[2:3]
	v_cndmask_b32_e64 v10, v0, v1, s[2:3]
	s_waitcnt lgkmcnt(0)
	v_cndmask_b32_e64 v11, 0, 1, s[2:3]
	v_cmp_gt_f32_e64 s[2:3], v6, v8
	v_cndmask_b32_e64 v8, v8, v6, s[2:3]
	v_cndmask_b32_e64 v10, v10, v2, s[2:3]
	;; [unrolled: 1-line block ×3, first 2 shown]
	v_cmp_gt_f32_e64 s[2:3], v7, v8
	v_cndmask_b32_e64 v11, v11, 3, s[2:3]
	v_cndmask_b32_e64 v8, v8, v7, s[2:3]
	v_or_b32_e32 v11, v18, v11
	ds_bpermute_b32 v12, v14, v8
	ds_bpermute_b32 v23, v14, v11
	v_cndmask_b32_e64 v10, v10, v3, s[2:3]
	ds_bpermute_b32 v25, v14, v10
	s_waitcnt lgkmcnt(0)
	v_cmp_eq_f32_e64 s[4:5], v8, v12
	v_cmp_lt_i32_e64 s[6:7], v23, v11
	v_cmp_lt_f32_e64 s[2:3], v8, v12
	s_and_b64 s[4:5], s[4:5], s[6:7]
	s_or_b64 s[2:3], s[2:3], s[4:5]
	v_cndmask_b32_e64 v24, v11, v23, s[2:3]
	v_cndmask_b32_e64 v23, v8, v12, s[2:3]
	;; [unrolled: 1-line block ×3, first 2 shown]
	ds_bpermute_b32 v26, v15, v23
	ds_bpermute_b32 v12, v15, v8
	ds_bpermute_b32 v25, v15, v24
                                        ; implicit-def: $vgpr10_vgpr11
	s_waitcnt lgkmcnt(2)
	v_cmp_lt_f32_e64 s[6:7], v23, v26
	v_cmp_nlt_f32_e64 s[2:3], v23, v26
	s_and_saveexec_b64 s[22:23], s[2:3]
	s_cbranch_execz .LBB36_12
; %bb.11:                               ;   in Loop: Header=BB36_10 Depth=1
	v_cmp_eq_f32_e64 s[2:3], v23, v26
	s_waitcnt lgkmcnt(0)
	v_cmp_lt_i32_e64 s[4:5], v25, v24
	s_and_b64 s[2:3], s[2:3], s[4:5]
	s_andn2_b64 s[4:5], s[6:7], exec
	s_and_b64 s[2:3], s[2:3], exec
	s_or_b64 s[6:7], s[4:5], s[2:3]
	v_pk_mov_b32 v[10:11], v[8:9], v[8:9] op_sel:[0,1]
.LBB36_12:                              ;   in Loop: Header=BB36_10 Depth=1
	s_or_b64 exec, exec, s[22:23]
	s_and_saveexec_b64 s[2:3], s[6:7]
	s_cbranch_execz .LBB36_14
; %bb.13:                               ;   in Loop: Header=BB36_10 Depth=1
	v_mov_b32_e32 v23, v26
	s_waitcnt lgkmcnt(1)
	v_mov_b32_e32 v8, v12
	s_waitcnt lgkmcnt(0)
	v_mov_b32_e32 v24, v25
	v_pk_mov_b32 v[10:11], v[12:13], v[12:13] op_sel:[0,1]
.LBB36_14:                              ;   in Loop: Header=BB36_10 Depth=1
	s_or_b64 exec, exec, s[2:3]
	s_waitcnt lgkmcnt(0)
	ds_bpermute_b32 v25, v16, v23
	ds_bpermute_b32 v12, v16, v8
	;; [unrolled: 1-line block ×3, first 2 shown]
	s_waitcnt lgkmcnt(2)
	v_cmp_lt_f32_e64 s[6:7], v23, v25
	v_cmp_nlt_f32_e64 s[2:3], v23, v25
	s_and_saveexec_b64 s[22:23], s[2:3]
	s_cbranch_execz .LBB36_16
; %bb.15:                               ;   in Loop: Header=BB36_10 Depth=1
	v_cmp_eq_f32_e64 s[2:3], v23, v25
	s_waitcnt lgkmcnt(0)
	v_cmp_lt_i32_e64 s[4:5], v11, v24
	s_and_b64 s[2:3], s[2:3], s[4:5]
	s_andn2_b64 s[4:5], s[6:7], exec
	s_and_b64 s[2:3], s[2:3], exec
	s_or_b64 s[6:7], s[4:5], s[2:3]
.LBB36_16:                              ;   in Loop: Header=BB36_10 Depth=1
	s_or_b64 exec, exec, s[22:23]
	s_and_saveexec_b64 s[2:3], s[6:7]
	s_cbranch_execz .LBB36_18
; %bb.17:                               ;   in Loop: Header=BB36_10 Depth=1
	v_mov_b32_e32 v23, v25
	s_waitcnt lgkmcnt(1)
	v_mov_b32_e32 v8, v12
	s_waitcnt lgkmcnt(0)
	v_mov_b32_e32 v24, v11
	v_pk_mov_b32 v[10:11], v[12:13], v[12:13] op_sel:[0,1]
.LBB36_18:                              ;   in Loop: Header=BB36_10 Depth=1
	s_or_b64 exec, exec, s[2:3]
	s_waitcnt lgkmcnt(1)
	ds_bpermute_b32 v12, v17, v23
	ds_bpermute_b32 v25, v17, v24
	s_waitcnt lgkmcnt(2)
	ds_bpermute_b32 v11, v17, v8
	s_waitcnt lgkmcnt(2)
	v_cmp_eq_f32_e64 s[4:5], v23, v12
	s_waitcnt lgkmcnt(1)
	v_cmp_lt_i32_e64 s[6:7], v25, v24
	v_cmp_lt_f32_e64 s[2:3], v23, v12
	s_and_b64 s[4:5], s[4:5], s[6:7]
	s_or_b64 s[2:3], s[2:3], s[4:5]
	v_cndmask_b32_e64 v8, v24, v25, s[2:3]
	s_and_saveexec_b64 s[6:7], s[0:1]
	s_cbranch_execnz .LBB36_20
; %bb.19:                               ;   in Loop: Header=BB36_10 Depth=1
	s_or_b64 exec, exec, s[6:7]
	s_add_i32 s25, s25, 1
	s_cmp_ge_i32 s25, s8
	s_cbranch_scc1 .LBB36_9
	s_branch .LBB36_21
.LBB36_20:                              ;   in Loop: Header=BB36_10 Depth=1
	s_waitcnt lgkmcnt(0)
	v_cndmask_b32_e64 v12, v10, v11, s[2:3]
	v_add_u32_e32 v10, s25, v20
	v_ashrrev_i32_e32 v11, 31, v10
	v_cmp_le_i32_e64 s[2:3], s9, v8
	v_cmp_gt_i32_e64 s[4:5], s10, v8
	v_lshlrev_b64 v[10:11], 2, v[10:11]
	s_and_b64 s[4:5], s[2:3], s[4:5]
	v_mov_b32_e32 v23, s17
	v_add_co_u32_e64 v24, s[2:3], s16, v10
	v_addc_co_u32_e64 v25, s[2:3], v23, v11, s[2:3]
	v_subrev_u32_e32 v23, s9, v8
	s_and_b64 s[2:3], s[18:19], s[4:5]
	global_store_dword v[24:25], v12, off
	v_cndmask_b32_e64 v23, 64, v23, s[2:3]
	v_mov_b32_e32 v25, s13
	v_add_co_u32_e64 v24, s[2:3], s12, v10
	v_addc_co_u32_e64 v25, s[2:3], v25, v11, s[2:3]
	global_store_dword v[24:25], v23, off
	v_mov_b32_e32 v23, s15
	v_add_co_u32_e64 v10, s[2:3], s14, v10
	v_addc_co_u32_e64 v11, s[2:3], v23, v11, s[2:3]
	global_store_dword v[10:11], v22, off
	v_add_f32_e32 v10, v19, v12
	v_cndmask_b32_e32 v19, v19, v10, vcc
	s_or_b64 exec, exec, s[6:7]
	s_add_i32 s25, s25, 1
	s_cmp_ge_i32 s25, s8
	s_cbranch_scc1 .LBB36_9
.LBB36_21:                              ;   in Loop: Header=BB36_10 Depth=1
	s_waitcnt lgkmcnt(0)
	v_ashrrev_i32_e32 v11, 31, v8
	v_lshrrev_b32_e32 v10, 30, v11
	v_add_u32_e32 v12, v8, v10
	v_ashrrev_i32_e32 v10, 2, v12
	v_ashrrev_i32_e32 v12, 31, v12
	v_lshrrev_b32_e32 v12, 28, v12
	v_add_u32_e32 v12, v10, v12
	v_and_b32_e32 v12, -16, v12
	v_sub_u32_e32 v12, v10, v12
	v_cmp_eq_u32_e64 s[2:3], v13, v12
	s_and_saveexec_b64 s[4:5], s[2:3]
	s_cbranch_execz .LBB36_8
; %bb.22:                               ;   in Loop: Header=BB36_10 Depth=1
	v_lshrrev_b32_e32 v11, 26, v11
	v_add_u32_e32 v11, v8, v11
	v_lshlrev_b32_e32 v10, 2, v10
	v_ashrrev_i32_e32 v11, 6, v11
	v_sub_u32_e32 v8, v8, v10
	v_lshl_add_u32 v8, v11, 2, v8
	v_cmp_ne_u32_e64 s[2:3], 3, v8
	v_cndmask_b32_e64 v7, v21, v7, s[2:3]
	v_cmp_ne_u32_e64 s[2:3], 2, v8
	v_cndmask_b32_e64 v6, v21, v6, s[2:3]
	;; [unrolled: 2-line block ×4, first 2 shown]
	s_branch .LBB36_8
.LBB36_23:
                                        ; implicit-def: $vgpr4_vgpr5_vgpr6_vgpr7
	s_andn2_b64 vcc, exec, s[6:7]
	s_cbranch_vccz .LBB36_5
	s_branch .LBB36_6
.LBB36_24:
	v_mov_b32_e32 v19, 0
.LBB36_25:
	v_cmp_eq_u32_e64 s[0:1], 0, v13
	s_and_b64 s[0:1], s[0:1], vcc
	s_and_b64 exec, exec, s[0:1]
	s_cbranch_execz .LBB36_34
; %bb.26:
	s_andn2_b64 vcc, exec, s[20:21]
	s_cbranch_vccnz .LBB36_34
; %bb.27:
	v_cmp_lt_f32_e32 vcc, 0, v19
	s_mov_b32 s2, 0
	v_cndmask_b32_e32 v0, 1.0, v19, vcc
	v_mul_lo_u32 v4, v9, s8
	s_cmp_eq_u32 s8, 1
	s_mov_b64 s[0:1], -1
	s_cbranch_scc1 .LBB36_31
; %bb.28:
	s_and_b32 s2, s8, 0x7ffffffe
	v_mov_b32_e32 v1, v0
	v_mov_b32_e32 v5, s17
	s_mov_b32 s3, s2
	v_mov_b32_e32 v2, v4
.LBB36_29:                              ; =>This Inner Loop Header: Depth=1
	v_ashrrev_i32_e32 v3, 31, v2
	v_lshlrev_b64 v[6:7], 2, v[2:3]
	v_add_co_u32_e32 v6, vcc, s16, v6
	v_addc_co_u32_e32 v7, vcc, v5, v7, vcc
	global_load_dwordx2 v[8:9], v[6:7], off
	s_add_i32 s3, s3, -2
	s_cmp_lg_u32 s3, 0
	v_add_u32_e32 v2, 2, v2
	s_waitcnt vmcnt(0)
	v_div_scale_f32 v3, s[0:1], v1, v1, v9
	s_waitcnt lgkmcnt(0)
	v_div_scale_f32 v11, s[0:1], v0, v0, v8
	v_rcp_f32_e32 v12, v3
	v_rcp_f32_e32 v13, v11
	v_div_scale_f32 v10, vcc, v9, v1, v9
	v_fma_f32 v15, -v3, v12, 1.0
	v_fma_f32 v16, -v11, v13, 1.0
	v_fmac_f32_e32 v12, v15, v12
	v_div_scale_f32 v14, s[0:1], v8, v0, v8
	v_fmac_f32_e32 v13, v16, v13
	v_mul_f32_e32 v15, v10, v12
	v_mul_f32_e32 v16, v14, v13
	v_fma_f32 v17, -v3, v15, v10
	v_fma_f32 v18, -v11, v16, v14
	v_fmac_f32_e32 v15, v17, v12
	v_fmac_f32_e32 v16, v18, v13
	v_fma_f32 v3, -v3, v15, v10
	v_fma_f32 v10, -v11, v16, v14
	v_div_fmas_f32 v3, v3, v12, v15
	s_mov_b64 vcc, s[0:1]
	v_div_fixup_f32 v9, v3, v1, v9
	v_div_fmas_f32 v3, v10, v13, v16
	v_div_fixup_f32 v8, v3, v0, v8
	global_store_dwordx2 v[6:7], v[8:9], off
	s_cbranch_scc1 .LBB36_29
; %bb.30:
	s_cmp_lg_u32 s2, s8
	s_cselect_b64 s[0:1], -1, 0
.LBB36_31:
	s_and_b64 vcc, exec, s[0:1]
	s_cbranch_vccz .LBB36_34
; %bb.32:
	v_ashrrev_i32_e32 v1, 31, v4
	v_add_co_u32_e32 v2, vcc, s2, v4
	v_addc_co_u32_e32 v3, vcc, 0, v1, vcc
	v_lshlrev_b64 v[2:3], 2, v[2:3]
	v_mov_b32_e32 v1, s17
	v_add_co_u32_e32 v2, vcc, s16, v2
	s_sub_i32 s0, s8, s2
	v_addc_co_u32_e32 v3, vcc, v1, v3, vcc
.LBB36_33:                              ; =>This Inner Loop Header: Depth=1
	global_load_dword v1, v[2:3], off
	s_add_i32 s0, s0, -1
	s_cmp_lg_u32 s0, 0
	s_waitcnt vmcnt(0)
	v_div_scale_f32 v4, s[2:3], v0, v0, v1
	v_rcp_f32_e32 v5, v4
	v_div_scale_f32 v6, vcc, v1, v0, v1
	v_fma_f32 v7, -v4, v5, 1.0
	v_fmac_f32_e32 v5, v7, v5
	v_mul_f32_e32 v7, v6, v5
	v_fma_f32 v8, -v4, v7, v6
	v_fmac_f32_e32 v7, v8, v5
	v_fma_f32 v4, -v4, v7, v6
	v_div_fmas_f32 v4, v4, v5, v7
	v_div_fixup_f32 v1, v4, v0, v1
	global_store_dword v[2:3], v1, off
	v_add_co_u32_e32 v2, vcc, 4, v2
	v_addc_co_u32_e32 v3, vcc, 0, v3, vcc
	s_cbranch_scc1 .LBB36_33
.LBB36_34:
	s_endpgm
	.section	.rodata,"a",@progbits
	.p2align	6, 0x0
	.amdhsa_kernel _ZN4vllm3moe10topkGatingILi4ELi64ELi4ELi16ELi64EjfLNS0_11ScoringFuncE0EEEvPKT5_PKbPfiPT4_PiiiibPKf
		.amdhsa_group_segment_fixed_size 0
		.amdhsa_private_segment_fixed_size 0
		.amdhsa_kernarg_size 72
		.amdhsa_user_sgpr_count 6
		.amdhsa_user_sgpr_private_segment_buffer 1
		.amdhsa_user_sgpr_dispatch_ptr 0
		.amdhsa_user_sgpr_queue_ptr 0
		.amdhsa_user_sgpr_kernarg_segment_ptr 1
		.amdhsa_user_sgpr_dispatch_id 0
		.amdhsa_user_sgpr_flat_scratch_init 0
		.amdhsa_user_sgpr_kernarg_preload_length 0
		.amdhsa_user_sgpr_kernarg_preload_offset 0
		.amdhsa_user_sgpr_private_segment_size 0
		.amdhsa_uses_dynamic_stack 0
		.amdhsa_system_sgpr_private_segment_wavefront_offset 0
		.amdhsa_system_sgpr_workgroup_id_x 1
		.amdhsa_system_sgpr_workgroup_id_y 0
		.amdhsa_system_sgpr_workgroup_id_z 0
		.amdhsa_system_sgpr_workgroup_info 0
		.amdhsa_system_vgpr_workitem_id 1
		.amdhsa_next_free_vgpr 27
		.amdhsa_next_free_sgpr 26
		.amdhsa_accum_offset 28
		.amdhsa_reserve_vcc 1
		.amdhsa_reserve_flat_scratch 0
		.amdhsa_float_round_mode_32 0
		.amdhsa_float_round_mode_16_64 0
		.amdhsa_float_denorm_mode_32 3
		.amdhsa_float_denorm_mode_16_64 3
		.amdhsa_dx10_clamp 1
		.amdhsa_ieee_mode 1
		.amdhsa_fp16_overflow 0
		.amdhsa_tg_split 0
		.amdhsa_exception_fp_ieee_invalid_op 0
		.amdhsa_exception_fp_denorm_src 0
		.amdhsa_exception_fp_ieee_div_zero 0
		.amdhsa_exception_fp_ieee_overflow 0
		.amdhsa_exception_fp_ieee_underflow 0
		.amdhsa_exception_fp_ieee_inexact 0
		.amdhsa_exception_int_div_zero 0
	.end_amdhsa_kernel
	.section	.text._ZN4vllm3moe10topkGatingILi4ELi64ELi4ELi16ELi64EjfLNS0_11ScoringFuncE0EEEvPKT5_PKbPfiPT4_PiiiibPKf,"axG",@progbits,_ZN4vllm3moe10topkGatingILi4ELi64ELi4ELi16ELi64EjfLNS0_11ScoringFuncE0EEEvPKT5_PKbPfiPT4_PiiiibPKf,comdat
.Lfunc_end36:
	.size	_ZN4vllm3moe10topkGatingILi4ELi64ELi4ELi16ELi64EjfLNS0_11ScoringFuncE0EEEvPKT5_PKbPfiPT4_PiiiibPKf, .Lfunc_end36-_ZN4vllm3moe10topkGatingILi4ELi64ELi4ELi16ELi64EjfLNS0_11ScoringFuncE0EEEvPKT5_PKbPfiPT4_PiiiibPKf
                                        ; -- End function
	.section	.AMDGPU.csdata,"",@progbits
; Kernel info:
; codeLenInByte = 2468
; NumSgprs: 30
; NumVgprs: 27
; NumAgprs: 0
; TotalNumVgprs: 27
; ScratchSize: 0
; MemoryBound: 0
; FloatMode: 240
; IeeeMode: 1
; LDSByteSize: 0 bytes/workgroup (compile time only)
; SGPRBlocks: 3
; VGPRBlocks: 3
; NumSGPRsForWavesPerEU: 30
; NumVGPRsForWavesPerEU: 27
; AccumOffset: 28
; Occupancy: 8
; WaveLimiterHint : 0
; COMPUTE_PGM_RSRC2:SCRATCH_EN: 0
; COMPUTE_PGM_RSRC2:USER_SGPR: 6
; COMPUTE_PGM_RSRC2:TRAP_HANDLER: 0
; COMPUTE_PGM_RSRC2:TGID_X_EN: 1
; COMPUTE_PGM_RSRC2:TGID_Y_EN: 0
; COMPUTE_PGM_RSRC2:TGID_Z_EN: 0
; COMPUTE_PGM_RSRC2:TIDIG_COMP_CNT: 1
; COMPUTE_PGM_RSRC3_GFX90A:ACCUM_OFFSET: 6
; COMPUTE_PGM_RSRC3_GFX90A:TG_SPLIT: 0
	.section	.text._ZN4vllm3moe10topkGatingILi4ELi64ELi4ELi16ELi32EjfLNS0_11ScoringFuncE0EEEvPKT5_PKbPfiPT4_PiiiibPKf,"axG",@progbits,_ZN4vllm3moe10topkGatingILi4ELi64ELi4ELi16ELi32EjfLNS0_11ScoringFuncE0EEEvPKT5_PKbPfiPT4_PiiiibPKf,comdat
	.protected	_ZN4vllm3moe10topkGatingILi4ELi64ELi4ELi16ELi32EjfLNS0_11ScoringFuncE0EEEvPKT5_PKbPfiPT4_PiiiibPKf ; -- Begin function _ZN4vllm3moe10topkGatingILi4ELi64ELi4ELi16ELi32EjfLNS0_11ScoringFuncE0EEEvPKT5_PKbPfiPT4_PiiiibPKf
	.globl	_ZN4vllm3moe10topkGatingILi4ELi64ELi4ELi16ELi32EjfLNS0_11ScoringFuncE0EEEvPKT5_PKbPfiPT4_PiiiibPKf
	.p2align	8
	.type	_ZN4vllm3moe10topkGatingILi4ELi64ELi4ELi16ELi32EjfLNS0_11ScoringFuncE0EEEvPKT5_PKbPfiPT4_PiiiibPKf,@function
_ZN4vllm3moe10topkGatingILi4ELi64ELi4ELi16ELi32EjfLNS0_11ScoringFuncE0EEEvPKT5_PKbPfiPT4_PiiiibPKf: ; @_ZN4vllm3moe10topkGatingILi4ELi64ELi4ELi16ELi32EjfLNS0_11ScoringFuncE0EEEvPKT5_PKbPfiPT4_PiiiibPKf
; %bb.0:
	s_load_dword s24, s[4:5], 0x18
	v_bfe_u32 v1, v0, 10, 10
	v_and_b32_e32 v0, 0x3ff, v0
	s_lshl_b32 s0, s6, 3
	v_lshlrev_b32_e32 v1, 1, v1
	v_lshrrev_b32_e32 v2, 4, v0
	v_add3_u32 v9, s0, v1, v2
	s_waitcnt lgkmcnt(0)
	v_cmp_gt_i32_e32 vcc, s24, v9
	s_and_saveexec_b64 s[0:1], vcc
	s_cbranch_execz .LBB37_34
; %bb.1:
	s_load_dwordx4 s[0:3], s[4:5], 0x0
	s_load_dwordx2 s[16:17], s[4:5], 0x10
	s_mov_b64 s[6:7], -1
	s_mov_b64 s[18:19], -1
	s_waitcnt lgkmcnt(0)
	s_cmp_eq_u64 s[2:3], 0
	s_cbranch_scc1 .LBB37_3
; %bb.2:
	v_ashrrev_i32_e32 v1, 31, v9
	v_mov_b32_e32 v3, s3
	v_add_co_u32_e32 v2, vcc, s2, v9
	v_addc_co_u32_e32 v3, vcc, v3, v1, vcc
	global_load_ubyte v1, v[2:3], off
	s_waitcnt vmcnt(0)
	v_and_b32_e32 v1, 1, v1
	v_cmp_eq_u32_e32 vcc, 1, v1
	s_xor_b64 s[2:3], vcc, -1
	s_orn2_b64 s[18:19], s[2:3], exec
.LBB37_3:
	v_lshlrev_b32_e32 v2, 6, v9
	v_ashrrev_i32_e32 v3, 31, v2
	v_lshlrev_b64 v[2:3], 2, v[2:3]
	v_mov_b32_e32 v1, s1
	v_add_co_u32_e32 v2, vcc, s0, v2
	v_and_b32_e32 v13, 15, v0
	v_addc_co_u32_e32 v1, vcc, v1, v3, vcc
	v_lshlrev_b32_e32 v0, 4, v13
	v_add_co_u32_e32 v0, vcc, v2, v0
	v_addc_co_u32_e32 v1, vcc, 0, v1, vcc
	global_load_dwordx4 v[0:3], v[0:1], off
	v_mbcnt_lo_u32_b32 v4, -1, 0
	v_mbcnt_hi_u32_b32 v4, -1, v4
	v_and_b32_e32 v5, 0x70, v4
	v_xor_b32_e32 v6, 8, v4
	v_add_u32_e32 v5, 16, v5
	v_cmp_lt_i32_e32 vcc, v6, v5
	v_cndmask_b32_e32 v6, v4, v6, vcc
	v_lshlrev_b32_e32 v14, 2, v6
	v_xor_b32_e32 v8, 4, v4
	v_cmp_lt_i32_e32 vcc, v8, v5
	v_cndmask_b32_e32 v8, v4, v8, vcc
	v_lshlrev_b32_e32 v15, 2, v8
	v_xor_b32_e32 v8, 2, v4
	;; [unrolled: 4-line block ×3, first 2 shown]
	v_cmp_lt_i32_e32 vcc, v8, v5
	v_cndmask_b32_e32 v4, v4, v8, vcc
	v_lshlrev_b32_e32 v17, 2, v4
	s_mov_b32 s0, 0x3fb8aa3b
	s_mov_b32 s1, 0xc2ce8ed0
	;; [unrolled: 1-line block ×3, first 2 shown]
	s_movk_i32 s8, 0x1f8
	s_waitcnt vmcnt(0)
	v_max_f32_e32 v6, v1, v1
	v_max_f32_e32 v7, v0, v0
	;; [unrolled: 1-line block ×3, first 2 shown]
	v_max3_f32 v6, v6, v2, v3
	ds_bpermute_b32 v7, v14, v6
	s_waitcnt lgkmcnt(0)
	v_max_f32_e32 v7, v7, v7
	v_max_f32_e32 v6, v6, v7
	ds_bpermute_b32 v7, v15, v6
	s_waitcnt lgkmcnt(0)
	v_max_f32_e32 v7, v7, v7
	v_max_f32_e32 v6, v6, v7
	;; [unrolled: 4-line block ×3, first 2 shown]
	ds_bpermute_b32 v5, v17, v4
	v_mov_b32_e32 v6, 0x7f800000
	s_waitcnt lgkmcnt(0)
	v_max_f32_e32 v5, v5, v5
	v_max_f32_e32 v4, v4, v5
	v_pk_add_f32 v[0:1], v[0:1], v[4:5] op_sel_hi:[1,0] neg_lo:[0,1] neg_hi:[0,1]
	v_sub_f32_e32 v2, v2, v4
	v_sub_f32_e32 v3, v3, v4
	v_mul_f32_e32 v4, 0x3fb8aa3b, v1
	v_mul_f32_e32 v5, 0x3fb8aa3b, v0
	v_fma_f32 v10, v1, s0, -v4
	v_rndne_f32_e32 v11, v4
	v_mul_f32_e32 v7, 0x3fb8aa3b, v2
	v_fma_f32 v12, v0, s0, -v5
	v_rndne_f32_e32 v18, v5
	v_fmac_f32_e32 v10, 0x32a5705f, v1
	v_sub_f32_e32 v4, v4, v11
	v_mul_f32_e32 v8, 0x3fb8aa3b, v3
	v_fma_f32 v19, v2, s0, -v7
	v_rndne_f32_e32 v20, v7
	v_fmac_f32_e32 v12, 0x32a5705f, v0
	v_sub_f32_e32 v5, v5, v18
	v_add_f32_e32 v4, v4, v10
	v_fma_f32 v21, v3, s0, -v8
	v_rndne_f32_e32 v22, v8
	v_cvt_i32_f32_e32 v11, v11
	v_fmac_f32_e32 v19, 0x32a5705f, v2
	v_sub_f32_e32 v7, v7, v20
	v_add_f32_e32 v5, v5, v12
	v_exp_f32_e32 v4, v4
	v_cvt_i32_f32_e32 v18, v18
	v_fmac_f32_e32 v21, 0x32a5705f, v3
	v_sub_f32_e32 v8, v8, v22
	v_add_f32_e32 v7, v7, v19
	v_exp_f32_e32 v5, v5
	v_cvt_i32_f32_e32 v20, v20
	v_add_f32_e32 v8, v8, v21
	v_exp_f32_e32 v7, v7
	v_cvt_i32_f32_e32 v22, v22
	v_exp_f32_e32 v8, v8
	v_ldexp_f32 v4, v4, v11
	v_cmp_ngt_f32_e32 vcc, s1, v1
	v_ldexp_f32 v5, v5, v18
	v_cndmask_b32_e32 v4, 0, v4, vcc
	v_cmp_ngt_f32_e32 vcc, s1, v0
	v_ldexp_f32 v7, v7, v20
	v_cndmask_b32_e32 v5, 0, v5, vcc
	;; [unrolled: 3-line block ×3, first 2 shown]
	v_cmp_ngt_f32_e32 vcc, s1, v3
	v_cndmask_b32_e32 v8, 0, v8, vcc
	v_cmp_nlt_f32_e32 vcc, s2, v1
	v_cndmask_b32_e32 v1, v6, v4, vcc
	v_cmp_nlt_f32_e32 vcc, s2, v0
	;; [unrolled: 2-line block ×4, first 2 shown]
	v_add_f32_e32 v4, v0, v1
	v_cndmask_b32_e32 v3, v6, v8, vcc
	v_add_f32_e32 v4, v4, v2
	v_add_f32_e32 v4, v4, v3
	ds_bpermute_b32 v5, v14, v4
	s_load_dwordx2 s[0:1], s[4:5], 0x40
	v_lshlrev_b32_e32 v18, 2, v13
	s_waitcnt lgkmcnt(0)
	v_add_f32_e32 v4, v4, v5
	ds_bpermute_b32 v5, v15, v4
	s_cmp_eq_u64 s[0:1], 0
	s_waitcnt lgkmcnt(0)
	v_add_f32_e32 v4, v4, v5
	ds_bpermute_b32 v5, v16, v4
	s_waitcnt lgkmcnt(0)
	v_add_f32_e32 v4, v4, v5
	ds_bpermute_b32 v5, v17, v4
	s_waitcnt lgkmcnt(0)
	v_add_f32_e32 v4, v4, v5
	v_div_scale_f32 v5, s[2:3], v4, v4, 1.0
	v_rcp_f32_e32 v6, v5
	v_div_scale_f32 v7, vcc, 1.0, v4, 1.0
	v_fma_f32 v8, -v5, v6, 1.0
	v_fmac_f32_e32 v6, v8, v6
	v_mul_f32_e32 v8, v7, v6
	v_fma_f32 v10, -v5, v8, v7
	v_fmac_f32_e32 v8, v10, v6
	v_fma_f32 v5, -v5, v8, v7
	v_div_fmas_f32 v5, v5, v6, v8
	v_div_fixup_f32 v4, v5, v4, 1.0
	v_mul_f32_e32 v0, v4, v0
	v_mul_f32_e32 v1, v4, v1
	v_cmp_class_f32_e64 vcc, v0, s8
	v_mul_f32_e32 v2, v4, v2
	v_cndmask_b32_e32 v0, 0, v0, vcc
	v_cmp_class_f32_e64 vcc, v1, s8
	v_mul_f32_e32 v3, v4, v3
	v_cndmask_b32_e32 v1, 0, v1, vcc
	v_cmp_class_f32_e64 vcc, v2, s8
	v_cndmask_b32_e32 v2, 0, v2, vcc
	v_cmp_class_f32_e64 vcc, v3, s8
	v_cndmask_b32_e32 v3, 0, v3, vcc
	s_cbranch_scc1 .LBB37_23
; %bb.4:
	v_lshlrev_b32_e32 v4, 2, v18
	global_load_dwordx4 v[4:7], v4, s[0:1]
	s_waitcnt vmcnt(0)
	v_pk_add_f32 v[4:5], v[4:5], v[0:1]
	v_pk_add_f32 v[6:7], v[6:7], v[2:3]
	s_cbranch_execnz .LBB37_6
.LBB37_5:
	v_pk_mov_b32 v[6:7], v[2:3], v[2:3] op_sel:[0,1]
	v_pk_mov_b32 v[4:5], v[0:1], v[0:1] op_sel:[0,1]
.LBB37_6:
	s_load_dwordx4 s[8:11], s[4:5], 0x30
	s_mov_b32 s25, 0
	v_cmp_eq_u32_e64 s[0:1], 0, v13
	s_waitcnt lgkmcnt(0)
	s_bitcmp1_b32 s11, 0
	s_cselect_b64 vcc, -1, 0
	s_cmp_gt_i32 s8, 0
	s_cselect_b64 s[20:21], -1, 0
	s_cmp_lt_i32 s8, 1
	s_cbranch_scc1 .LBB37_24
; %bb.7:
	s_load_dwordx4 s[12:15], s[4:5], 0x20
	v_mul_lo_u32 v20, v9, s8
	v_mov_b32_e32 v19, 0
	v_mov_b32_e32 v21, 0xc61c4000
	;; [unrolled: 1-line block ×3, first 2 shown]
	s_branch .LBB37_10
.LBB37_8:                               ;   in Loop: Header=BB37_10 Depth=1
	s_or_b64 exec, exec, s[4:5]
.LBB37_9:                               ;   in Loop: Header=BB37_10 Depth=1
	s_cmp_eq_u32 s8, s25
	v_add_u32_e32 v22, s24, v22
	s_cbranch_scc1 .LBB37_25
.LBB37_10:                              ; =>This Inner Loop Header: Depth=1
	v_cmp_gt_f32_e64 s[2:3], v5, v4
	v_cndmask_b32_e64 v8, v4, v5, s[2:3]
	v_cndmask_b32_e64 v10, v0, v1, s[2:3]
	s_waitcnt lgkmcnt(0)
	v_cndmask_b32_e64 v11, 0, 1, s[2:3]
	v_cmp_gt_f32_e64 s[2:3], v6, v8
	v_cndmask_b32_e64 v8, v8, v6, s[2:3]
	v_cndmask_b32_e64 v10, v10, v2, s[2:3]
	;; [unrolled: 1-line block ×3, first 2 shown]
	v_cmp_gt_f32_e64 s[2:3], v7, v8
	v_cndmask_b32_e64 v11, v11, 3, s[2:3]
	v_cndmask_b32_e64 v8, v8, v7, s[2:3]
	v_or_b32_e32 v11, v18, v11
	ds_bpermute_b32 v12, v14, v8
	ds_bpermute_b32 v23, v14, v11
	v_cndmask_b32_e64 v10, v10, v3, s[2:3]
	ds_bpermute_b32 v25, v14, v10
	s_waitcnt lgkmcnt(0)
	v_cmp_eq_f32_e64 s[4:5], v8, v12
	v_cmp_lt_i32_e64 s[6:7], v23, v11
	v_cmp_lt_f32_e64 s[2:3], v8, v12
	s_and_b64 s[4:5], s[4:5], s[6:7]
	s_or_b64 s[2:3], s[2:3], s[4:5]
	v_cndmask_b32_e64 v24, v11, v23, s[2:3]
	v_cndmask_b32_e64 v23, v8, v12, s[2:3]
	;; [unrolled: 1-line block ×3, first 2 shown]
	ds_bpermute_b32 v26, v15, v23
	ds_bpermute_b32 v12, v15, v8
	;; [unrolled: 1-line block ×3, first 2 shown]
                                        ; implicit-def: $vgpr10_vgpr11
	s_waitcnt lgkmcnt(2)
	v_cmp_lt_f32_e64 s[6:7], v23, v26
	v_cmp_nlt_f32_e64 s[2:3], v23, v26
	s_and_saveexec_b64 s[22:23], s[2:3]
	s_cbranch_execz .LBB37_12
; %bb.11:                               ;   in Loop: Header=BB37_10 Depth=1
	v_cmp_eq_f32_e64 s[2:3], v23, v26
	s_waitcnt lgkmcnt(0)
	v_cmp_lt_i32_e64 s[4:5], v25, v24
	s_and_b64 s[2:3], s[2:3], s[4:5]
	s_andn2_b64 s[4:5], s[6:7], exec
	s_and_b64 s[2:3], s[2:3], exec
	s_or_b64 s[6:7], s[4:5], s[2:3]
	v_pk_mov_b32 v[10:11], v[8:9], v[8:9] op_sel:[0,1]
.LBB37_12:                              ;   in Loop: Header=BB37_10 Depth=1
	s_or_b64 exec, exec, s[22:23]
	s_and_saveexec_b64 s[2:3], s[6:7]
	s_cbranch_execz .LBB37_14
; %bb.13:                               ;   in Loop: Header=BB37_10 Depth=1
	v_mov_b32_e32 v23, v26
	s_waitcnt lgkmcnt(1)
	v_mov_b32_e32 v8, v12
	s_waitcnt lgkmcnt(0)
	v_mov_b32_e32 v24, v25
	v_pk_mov_b32 v[10:11], v[12:13], v[12:13] op_sel:[0,1]
.LBB37_14:                              ;   in Loop: Header=BB37_10 Depth=1
	s_or_b64 exec, exec, s[2:3]
	s_waitcnt lgkmcnt(0)
	ds_bpermute_b32 v25, v16, v23
	ds_bpermute_b32 v12, v16, v8
	;; [unrolled: 1-line block ×3, first 2 shown]
	s_waitcnt lgkmcnt(2)
	v_cmp_lt_f32_e64 s[6:7], v23, v25
	v_cmp_nlt_f32_e64 s[2:3], v23, v25
	s_and_saveexec_b64 s[22:23], s[2:3]
	s_cbranch_execz .LBB37_16
; %bb.15:                               ;   in Loop: Header=BB37_10 Depth=1
	v_cmp_eq_f32_e64 s[2:3], v23, v25
	s_waitcnt lgkmcnt(0)
	v_cmp_lt_i32_e64 s[4:5], v11, v24
	s_and_b64 s[2:3], s[2:3], s[4:5]
	s_andn2_b64 s[4:5], s[6:7], exec
	s_and_b64 s[2:3], s[2:3], exec
	s_or_b64 s[6:7], s[4:5], s[2:3]
.LBB37_16:                              ;   in Loop: Header=BB37_10 Depth=1
	s_or_b64 exec, exec, s[22:23]
	s_and_saveexec_b64 s[2:3], s[6:7]
	s_cbranch_execz .LBB37_18
; %bb.17:                               ;   in Loop: Header=BB37_10 Depth=1
	v_mov_b32_e32 v23, v25
	s_waitcnt lgkmcnt(1)
	v_mov_b32_e32 v8, v12
	s_waitcnt lgkmcnt(0)
	v_mov_b32_e32 v24, v11
	v_pk_mov_b32 v[10:11], v[12:13], v[12:13] op_sel:[0,1]
.LBB37_18:                              ;   in Loop: Header=BB37_10 Depth=1
	s_or_b64 exec, exec, s[2:3]
	s_waitcnt lgkmcnt(1)
	ds_bpermute_b32 v12, v17, v23
	ds_bpermute_b32 v25, v17, v24
	s_waitcnt lgkmcnt(2)
	ds_bpermute_b32 v11, v17, v8
	s_waitcnt lgkmcnt(2)
	v_cmp_eq_f32_e64 s[4:5], v23, v12
	s_waitcnt lgkmcnt(1)
	v_cmp_lt_i32_e64 s[6:7], v25, v24
	v_cmp_lt_f32_e64 s[2:3], v23, v12
	s_and_b64 s[4:5], s[4:5], s[6:7]
	s_or_b64 s[2:3], s[2:3], s[4:5]
	v_cndmask_b32_e64 v8, v24, v25, s[2:3]
	s_and_saveexec_b64 s[6:7], s[0:1]
	s_cbranch_execnz .LBB37_20
; %bb.19:                               ;   in Loop: Header=BB37_10 Depth=1
	s_or_b64 exec, exec, s[6:7]
	s_add_i32 s25, s25, 1
	s_cmp_ge_i32 s25, s8
	s_cbranch_scc1 .LBB37_9
	s_branch .LBB37_21
.LBB37_20:                              ;   in Loop: Header=BB37_10 Depth=1
	s_waitcnt lgkmcnt(0)
	v_cndmask_b32_e64 v12, v10, v11, s[2:3]
	v_add_u32_e32 v10, s25, v20
	v_ashrrev_i32_e32 v11, 31, v10
	v_cmp_le_i32_e64 s[2:3], s9, v8
	v_cmp_gt_i32_e64 s[4:5], s10, v8
	v_lshlrev_b64 v[10:11], 2, v[10:11]
	s_and_b64 s[4:5], s[2:3], s[4:5]
	v_mov_b32_e32 v23, s17
	v_add_co_u32_e64 v24, s[2:3], s16, v10
	v_addc_co_u32_e64 v25, s[2:3], v23, v11, s[2:3]
	v_subrev_u32_e32 v23, s9, v8
	s_and_b64 s[2:3], s[18:19], s[4:5]
	global_store_dword v[24:25], v12, off
	v_cndmask_b32_e64 v23, 64, v23, s[2:3]
	v_mov_b32_e32 v25, s13
	v_add_co_u32_e64 v24, s[2:3], s12, v10
	v_addc_co_u32_e64 v25, s[2:3], v25, v11, s[2:3]
	global_store_dword v[24:25], v23, off
	v_mov_b32_e32 v23, s15
	v_add_co_u32_e64 v10, s[2:3], s14, v10
	v_addc_co_u32_e64 v11, s[2:3], v23, v11, s[2:3]
	global_store_dword v[10:11], v22, off
	v_add_f32_e32 v10, v19, v12
	v_cndmask_b32_e32 v19, v19, v10, vcc
	s_or_b64 exec, exec, s[6:7]
	s_add_i32 s25, s25, 1
	s_cmp_ge_i32 s25, s8
	s_cbranch_scc1 .LBB37_9
.LBB37_21:                              ;   in Loop: Header=BB37_10 Depth=1
	s_waitcnt lgkmcnt(0)
	v_ashrrev_i32_e32 v11, 31, v8
	v_lshrrev_b32_e32 v10, 30, v11
	v_add_u32_e32 v12, v8, v10
	v_ashrrev_i32_e32 v10, 2, v12
	v_ashrrev_i32_e32 v12, 31, v12
	v_lshrrev_b32_e32 v12, 28, v12
	v_add_u32_e32 v12, v10, v12
	v_and_b32_e32 v12, -16, v12
	v_sub_u32_e32 v12, v10, v12
	v_cmp_eq_u32_e64 s[2:3], v13, v12
	s_and_saveexec_b64 s[4:5], s[2:3]
	s_cbranch_execz .LBB37_8
; %bb.22:                               ;   in Loop: Header=BB37_10 Depth=1
	v_lshrrev_b32_e32 v11, 26, v11
	v_add_u32_e32 v11, v8, v11
	v_lshlrev_b32_e32 v10, 2, v10
	v_ashrrev_i32_e32 v11, 6, v11
	v_sub_u32_e32 v8, v8, v10
	v_lshl_add_u32 v8, v11, 2, v8
	v_cmp_ne_u32_e64 s[2:3], 3, v8
	v_cndmask_b32_e64 v7, v21, v7, s[2:3]
	v_cmp_ne_u32_e64 s[2:3], 2, v8
	v_cndmask_b32_e64 v6, v21, v6, s[2:3]
	;; [unrolled: 2-line block ×4, first 2 shown]
	s_branch .LBB37_8
.LBB37_23:
                                        ; implicit-def: $vgpr4_vgpr5_vgpr6_vgpr7
	s_andn2_b64 vcc, exec, s[6:7]
	s_cbranch_vccz .LBB37_5
	s_branch .LBB37_6
.LBB37_24:
	v_mov_b32_e32 v19, 0
.LBB37_25:
	v_cmp_eq_u32_e64 s[0:1], 0, v13
	s_and_b64 s[0:1], s[0:1], vcc
	s_and_b64 exec, exec, s[0:1]
	s_cbranch_execz .LBB37_34
; %bb.26:
	s_andn2_b64 vcc, exec, s[20:21]
	s_cbranch_vccnz .LBB37_34
; %bb.27:
	v_cmp_lt_f32_e32 vcc, 0, v19
	s_mov_b32 s2, 0
	v_cndmask_b32_e32 v0, 1.0, v19, vcc
	v_mul_lo_u32 v4, v9, s8
	s_cmp_eq_u32 s8, 1
	s_mov_b64 s[0:1], -1
	s_cbranch_scc1 .LBB37_31
; %bb.28:
	s_and_b32 s2, s8, 0x7ffffffe
	v_mov_b32_e32 v1, v0
	v_mov_b32_e32 v5, s17
	s_mov_b32 s3, s2
	v_mov_b32_e32 v2, v4
.LBB37_29:                              ; =>This Inner Loop Header: Depth=1
	v_ashrrev_i32_e32 v3, 31, v2
	v_lshlrev_b64 v[6:7], 2, v[2:3]
	v_add_co_u32_e32 v6, vcc, s16, v6
	v_addc_co_u32_e32 v7, vcc, v5, v7, vcc
	global_load_dwordx2 v[8:9], v[6:7], off
	s_add_i32 s3, s3, -2
	s_cmp_lg_u32 s3, 0
	v_add_u32_e32 v2, 2, v2
	s_waitcnt vmcnt(0)
	v_div_scale_f32 v3, s[0:1], v1, v1, v9
	s_waitcnt lgkmcnt(0)
	v_div_scale_f32 v11, s[0:1], v0, v0, v8
	v_rcp_f32_e32 v12, v3
	v_rcp_f32_e32 v13, v11
	v_div_scale_f32 v10, vcc, v9, v1, v9
	v_fma_f32 v15, -v3, v12, 1.0
	v_fma_f32 v16, -v11, v13, 1.0
	v_fmac_f32_e32 v12, v15, v12
	v_div_scale_f32 v14, s[0:1], v8, v0, v8
	v_fmac_f32_e32 v13, v16, v13
	v_mul_f32_e32 v15, v10, v12
	v_mul_f32_e32 v16, v14, v13
	v_fma_f32 v17, -v3, v15, v10
	v_fma_f32 v18, -v11, v16, v14
	v_fmac_f32_e32 v15, v17, v12
	v_fmac_f32_e32 v16, v18, v13
	v_fma_f32 v3, -v3, v15, v10
	v_fma_f32 v10, -v11, v16, v14
	v_div_fmas_f32 v3, v3, v12, v15
	s_mov_b64 vcc, s[0:1]
	v_div_fixup_f32 v9, v3, v1, v9
	v_div_fmas_f32 v3, v10, v13, v16
	v_div_fixup_f32 v8, v3, v0, v8
	global_store_dwordx2 v[6:7], v[8:9], off
	s_cbranch_scc1 .LBB37_29
; %bb.30:
	s_cmp_lg_u32 s2, s8
	s_cselect_b64 s[0:1], -1, 0
.LBB37_31:
	s_and_b64 vcc, exec, s[0:1]
	s_cbranch_vccz .LBB37_34
; %bb.32:
	v_ashrrev_i32_e32 v1, 31, v4
	v_add_co_u32_e32 v2, vcc, s2, v4
	v_addc_co_u32_e32 v3, vcc, 0, v1, vcc
	v_lshlrev_b64 v[2:3], 2, v[2:3]
	v_mov_b32_e32 v1, s17
	v_add_co_u32_e32 v2, vcc, s16, v2
	s_sub_i32 s0, s8, s2
	v_addc_co_u32_e32 v3, vcc, v1, v3, vcc
.LBB37_33:                              ; =>This Inner Loop Header: Depth=1
	global_load_dword v1, v[2:3], off
	s_add_i32 s0, s0, -1
	s_cmp_lg_u32 s0, 0
	s_waitcnt vmcnt(0)
	v_div_scale_f32 v4, s[2:3], v0, v0, v1
	v_rcp_f32_e32 v5, v4
	v_div_scale_f32 v6, vcc, v1, v0, v1
	v_fma_f32 v7, -v4, v5, 1.0
	v_fmac_f32_e32 v5, v7, v5
	v_mul_f32_e32 v7, v6, v5
	v_fma_f32 v8, -v4, v7, v6
	v_fmac_f32_e32 v7, v8, v5
	v_fma_f32 v4, -v4, v7, v6
	v_div_fmas_f32 v4, v4, v5, v7
	v_div_fixup_f32 v1, v4, v0, v1
	global_store_dword v[2:3], v1, off
	v_add_co_u32_e32 v2, vcc, 4, v2
	v_addc_co_u32_e32 v3, vcc, 0, v3, vcc
	s_cbranch_scc1 .LBB37_33
.LBB37_34:
	s_endpgm
	.section	.rodata,"a",@progbits
	.p2align	6, 0x0
	.amdhsa_kernel _ZN4vllm3moe10topkGatingILi4ELi64ELi4ELi16ELi32EjfLNS0_11ScoringFuncE0EEEvPKT5_PKbPfiPT4_PiiiibPKf
		.amdhsa_group_segment_fixed_size 0
		.amdhsa_private_segment_fixed_size 0
		.amdhsa_kernarg_size 72
		.amdhsa_user_sgpr_count 6
		.amdhsa_user_sgpr_private_segment_buffer 1
		.amdhsa_user_sgpr_dispatch_ptr 0
		.amdhsa_user_sgpr_queue_ptr 0
		.amdhsa_user_sgpr_kernarg_segment_ptr 1
		.amdhsa_user_sgpr_dispatch_id 0
		.amdhsa_user_sgpr_flat_scratch_init 0
		.amdhsa_user_sgpr_kernarg_preload_length 0
		.amdhsa_user_sgpr_kernarg_preload_offset 0
		.amdhsa_user_sgpr_private_segment_size 0
		.amdhsa_uses_dynamic_stack 0
		.amdhsa_system_sgpr_private_segment_wavefront_offset 0
		.amdhsa_system_sgpr_workgroup_id_x 1
		.amdhsa_system_sgpr_workgroup_id_y 0
		.amdhsa_system_sgpr_workgroup_id_z 0
		.amdhsa_system_sgpr_workgroup_info 0
		.amdhsa_system_vgpr_workitem_id 1
		.amdhsa_next_free_vgpr 27
		.amdhsa_next_free_sgpr 26
		.amdhsa_accum_offset 28
		.amdhsa_reserve_vcc 1
		.amdhsa_reserve_flat_scratch 0
		.amdhsa_float_round_mode_32 0
		.amdhsa_float_round_mode_16_64 0
		.amdhsa_float_denorm_mode_32 3
		.amdhsa_float_denorm_mode_16_64 3
		.amdhsa_dx10_clamp 1
		.amdhsa_ieee_mode 1
		.amdhsa_fp16_overflow 0
		.amdhsa_tg_split 0
		.amdhsa_exception_fp_ieee_invalid_op 0
		.amdhsa_exception_fp_denorm_src 0
		.amdhsa_exception_fp_ieee_div_zero 0
		.amdhsa_exception_fp_ieee_overflow 0
		.amdhsa_exception_fp_ieee_underflow 0
		.amdhsa_exception_fp_ieee_inexact 0
		.amdhsa_exception_int_div_zero 0
	.end_amdhsa_kernel
	.section	.text._ZN4vllm3moe10topkGatingILi4ELi64ELi4ELi16ELi32EjfLNS0_11ScoringFuncE0EEEvPKT5_PKbPfiPT4_PiiiibPKf,"axG",@progbits,_ZN4vllm3moe10topkGatingILi4ELi64ELi4ELi16ELi32EjfLNS0_11ScoringFuncE0EEEvPKT5_PKbPfiPT4_PiiiibPKf,comdat
.Lfunc_end37:
	.size	_ZN4vllm3moe10topkGatingILi4ELi64ELi4ELi16ELi32EjfLNS0_11ScoringFuncE0EEEvPKT5_PKbPfiPT4_PiiiibPKf, .Lfunc_end37-_ZN4vllm3moe10topkGatingILi4ELi64ELi4ELi16ELi32EjfLNS0_11ScoringFuncE0EEEvPKT5_PKbPfiPT4_PiiiibPKf
                                        ; -- End function
	.section	.AMDGPU.csdata,"",@progbits
; Kernel info:
; codeLenInByte = 2468
; NumSgprs: 30
; NumVgprs: 27
; NumAgprs: 0
; TotalNumVgprs: 27
; ScratchSize: 0
; MemoryBound: 0
; FloatMode: 240
; IeeeMode: 1
; LDSByteSize: 0 bytes/workgroup (compile time only)
; SGPRBlocks: 3
; VGPRBlocks: 3
; NumSGPRsForWavesPerEU: 30
; NumVGPRsForWavesPerEU: 27
; AccumOffset: 28
; Occupancy: 8
; WaveLimiterHint : 0
; COMPUTE_PGM_RSRC2:SCRATCH_EN: 0
; COMPUTE_PGM_RSRC2:USER_SGPR: 6
; COMPUTE_PGM_RSRC2:TRAP_HANDLER: 0
; COMPUTE_PGM_RSRC2:TGID_X_EN: 1
; COMPUTE_PGM_RSRC2:TGID_Y_EN: 0
; COMPUTE_PGM_RSRC2:TGID_Z_EN: 0
; COMPUTE_PGM_RSRC2:TIDIG_COMP_CNT: 1
; COMPUTE_PGM_RSRC3_GFX90A:ACCUM_OFFSET: 6
; COMPUTE_PGM_RSRC3_GFX90A:TG_SPLIT: 0
	.section	.text._ZN4vllm3moe10topkGatingILi4ELi128ELi4ELi16ELi64EjfLNS0_11ScoringFuncE0EEEvPKT5_PKbPfiPT4_PiiiibPKf,"axG",@progbits,_ZN4vllm3moe10topkGatingILi4ELi128ELi4ELi16ELi64EjfLNS0_11ScoringFuncE0EEEvPKT5_PKbPfiPT4_PiiiibPKf,comdat
	.protected	_ZN4vllm3moe10topkGatingILi4ELi128ELi4ELi16ELi64EjfLNS0_11ScoringFuncE0EEEvPKT5_PKbPfiPT4_PiiiibPKf ; -- Begin function _ZN4vllm3moe10topkGatingILi4ELi128ELi4ELi16ELi64EjfLNS0_11ScoringFuncE0EEEvPKT5_PKbPfiPT4_PiiiibPKf
	.globl	_ZN4vllm3moe10topkGatingILi4ELi128ELi4ELi16ELi64EjfLNS0_11ScoringFuncE0EEEvPKT5_PKbPfiPT4_PiiiibPKf
	.p2align	8
	.type	_ZN4vllm3moe10topkGatingILi4ELi128ELi4ELi16ELi64EjfLNS0_11ScoringFuncE0EEEvPKT5_PKbPfiPT4_PiiiibPKf,@function
_ZN4vllm3moe10topkGatingILi4ELi128ELi4ELi16ELi64EjfLNS0_11ScoringFuncE0EEEvPKT5_PKbPfiPT4_PiiiibPKf: ; @_ZN4vllm3moe10topkGatingILi4ELi128ELi4ELi16ELi64EjfLNS0_11ScoringFuncE0EEEvPKT5_PKbPfiPT4_PiiiibPKf
; %bb.0:
	s_load_dword s24, s[4:5], 0x18
	v_bfe_u32 v1, v0, 10, 10
	v_and_b32_e32 v0, 0x3ff, v0
	s_lshl_b32 s0, s6, 3
	v_lshlrev_b32_e32 v1, 1, v1
	v_lshrrev_b32_e32 v2, 5, v0
	v_add3_u32 v9, s0, v1, v2
	s_waitcnt lgkmcnt(0)
	v_cmp_gt_i32_e32 vcc, s24, v9
	s_and_saveexec_b64 s[0:1], vcc
	s_cbranch_execz .LBB38_38
; %bb.1:
	s_load_dwordx4 s[0:3], s[4:5], 0x0
	s_load_dwordx2 s[16:17], s[4:5], 0x10
	s_mov_b64 s[6:7], -1
	s_mov_b64 s[18:19], -1
	s_waitcnt lgkmcnt(0)
	s_cmp_eq_u64 s[2:3], 0
	s_cbranch_scc1 .LBB38_3
; %bb.2:
	v_ashrrev_i32_e32 v1, 31, v9
	v_mov_b32_e32 v3, s3
	v_add_co_u32_e32 v2, vcc, s2, v9
	v_addc_co_u32_e32 v3, vcc, v3, v1, vcc
	global_load_ubyte v1, v[2:3], off
	s_waitcnt vmcnt(0)
	v_and_b32_e32 v1, 1, v1
	v_cmp_eq_u32_e32 vcc, 1, v1
	s_xor_b64 s[2:3], vcc, -1
	s_orn2_b64 s[18:19], s[2:3], exec
.LBB38_3:
	v_lshlrev_b32_e32 v2, 7, v9
	v_ashrrev_i32_e32 v3, 31, v2
	v_lshlrev_b64 v[2:3], 2, v[2:3]
	v_mov_b32_e32 v1, s1
	v_add_co_u32_e32 v2, vcc, s0, v2
	v_and_b32_e32 v13, 31, v0
	v_addc_co_u32_e32 v1, vcc, v1, v3, vcc
	v_lshlrev_b32_e32 v0, 4, v13
	v_add_co_u32_e32 v0, vcc, v2, v0
	v_addc_co_u32_e32 v1, vcc, 0, v1, vcc
	global_load_dwordx4 v[0:3], v[0:1], off
	v_mbcnt_lo_u32_b32 v4, -1, 0
	v_mbcnt_hi_u32_b32 v4, -1, v4
	v_and_b32_e32 v5, 0x60, v4
	v_xor_b32_e32 v6, 16, v4
	v_add_u32_e32 v5, 32, v5
	v_cmp_lt_i32_e32 vcc, v6, v5
	v_cndmask_b32_e32 v6, v4, v6, vcc
	v_lshlrev_b32_e32 v14, 2, v6
	v_xor_b32_e32 v8, 8, v4
	v_cmp_lt_i32_e32 vcc, v8, v5
	v_cndmask_b32_e32 v8, v4, v8, vcc
	v_lshlrev_b32_e32 v15, 2, v8
	v_xor_b32_e32 v8, 4, v4
	;; [unrolled: 4-line block ×4, first 2 shown]
	v_cmp_lt_i32_e32 vcc, v8, v5
	v_cndmask_b32_e32 v4, v4, v8, vcc
	v_lshlrev_b32_e32 v18, 2, v4
	s_mov_b32 s0, 0x3fb8aa3b
	s_mov_b32 s1, 0xc2ce8ed0
	;; [unrolled: 1-line block ×3, first 2 shown]
	s_movk_i32 s8, 0x1f8
	s_waitcnt vmcnt(0)
	v_max_f32_e32 v6, v1, v1
	v_max_f32_e32 v7, v0, v0
	;; [unrolled: 1-line block ×3, first 2 shown]
	v_max3_f32 v6, v6, v2, v3
	ds_bpermute_b32 v7, v14, v6
	s_waitcnt lgkmcnt(0)
	v_max_f32_e32 v7, v7, v7
	v_max_f32_e32 v6, v6, v7
	ds_bpermute_b32 v7, v15, v6
	s_waitcnt lgkmcnt(0)
	v_max_f32_e32 v7, v7, v7
	v_max_f32_e32 v6, v6, v7
	;; [unrolled: 4-line block ×4, first 2 shown]
	ds_bpermute_b32 v5, v18, v4
	v_mov_b32_e32 v6, 0x7f800000
	s_waitcnt lgkmcnt(0)
	v_max_f32_e32 v5, v5, v5
	v_max_f32_e32 v4, v4, v5
	v_pk_add_f32 v[0:1], v[0:1], v[4:5] op_sel_hi:[1,0] neg_lo:[0,1] neg_hi:[0,1]
	v_sub_f32_e32 v2, v2, v4
	v_sub_f32_e32 v3, v3, v4
	v_mul_f32_e32 v4, 0x3fb8aa3b, v1
	v_mul_f32_e32 v5, 0x3fb8aa3b, v0
	v_fma_f32 v10, v1, s0, -v4
	v_rndne_f32_e32 v11, v4
	v_mul_f32_e32 v7, 0x3fb8aa3b, v2
	v_fma_f32 v12, v0, s0, -v5
	v_rndne_f32_e32 v19, v5
	v_fmac_f32_e32 v10, 0x32a5705f, v1
	v_sub_f32_e32 v4, v4, v11
	v_mul_f32_e32 v8, 0x3fb8aa3b, v3
	v_fma_f32 v20, v2, s0, -v7
	v_rndne_f32_e32 v21, v7
	v_fmac_f32_e32 v12, 0x32a5705f, v0
	v_sub_f32_e32 v5, v5, v19
	v_add_f32_e32 v4, v4, v10
	v_fma_f32 v22, v3, s0, -v8
	v_rndne_f32_e32 v23, v8
	v_cvt_i32_f32_e32 v11, v11
	v_fmac_f32_e32 v20, 0x32a5705f, v2
	v_sub_f32_e32 v7, v7, v21
	v_add_f32_e32 v5, v5, v12
	v_exp_f32_e32 v4, v4
	v_cvt_i32_f32_e32 v19, v19
	v_fmac_f32_e32 v22, 0x32a5705f, v3
	v_sub_f32_e32 v8, v8, v23
	v_add_f32_e32 v7, v7, v20
	v_exp_f32_e32 v5, v5
	v_cvt_i32_f32_e32 v21, v21
	v_add_f32_e32 v8, v8, v22
	v_exp_f32_e32 v7, v7
	v_cvt_i32_f32_e32 v23, v23
	v_exp_f32_e32 v8, v8
	v_ldexp_f32 v4, v4, v11
	v_cmp_ngt_f32_e32 vcc, s1, v1
	v_ldexp_f32 v5, v5, v19
	v_cndmask_b32_e32 v4, 0, v4, vcc
	v_cmp_ngt_f32_e32 vcc, s1, v0
	v_ldexp_f32 v7, v7, v21
	v_cndmask_b32_e32 v5, 0, v5, vcc
	;; [unrolled: 3-line block ×3, first 2 shown]
	v_cmp_ngt_f32_e32 vcc, s1, v3
	v_cndmask_b32_e32 v8, 0, v8, vcc
	v_cmp_nlt_f32_e32 vcc, s2, v1
	v_cndmask_b32_e32 v1, v6, v4, vcc
	v_cmp_nlt_f32_e32 vcc, s2, v0
	;; [unrolled: 2-line block ×4, first 2 shown]
	v_add_f32_e32 v4, v0, v1
	v_cndmask_b32_e32 v3, v6, v8, vcc
	v_add_f32_e32 v4, v4, v2
	v_add_f32_e32 v4, v4, v3
	ds_bpermute_b32 v5, v14, v4
	s_load_dwordx2 s[0:1], s[4:5], 0x40
	v_lshlrev_b32_e32 v19, 2, v13
	s_waitcnt lgkmcnt(0)
	v_add_f32_e32 v4, v4, v5
	ds_bpermute_b32 v5, v15, v4
	s_cmp_eq_u64 s[0:1], 0
	s_waitcnt lgkmcnt(0)
	v_add_f32_e32 v4, v4, v5
	ds_bpermute_b32 v5, v16, v4
	s_waitcnt lgkmcnt(0)
	v_add_f32_e32 v4, v4, v5
	ds_bpermute_b32 v5, v17, v4
	;; [unrolled: 3-line block ×3, first 2 shown]
	s_waitcnt lgkmcnt(0)
	v_add_f32_e32 v4, v4, v5
	v_div_scale_f32 v5, s[2:3], v4, v4, 1.0
	v_rcp_f32_e32 v6, v5
	v_div_scale_f32 v7, vcc, 1.0, v4, 1.0
	v_fma_f32 v8, -v5, v6, 1.0
	v_fmac_f32_e32 v6, v8, v6
	v_mul_f32_e32 v8, v7, v6
	v_fma_f32 v10, -v5, v8, v7
	v_fmac_f32_e32 v8, v10, v6
	v_fma_f32 v5, -v5, v8, v7
	v_div_fmas_f32 v5, v5, v6, v8
	v_div_fixup_f32 v4, v5, v4, 1.0
	v_mul_f32_e32 v0, v4, v0
	v_mul_f32_e32 v1, v4, v1
	v_cmp_class_f32_e64 vcc, v0, s8
	v_mul_f32_e32 v2, v4, v2
	v_cndmask_b32_e32 v0, 0, v0, vcc
	v_cmp_class_f32_e64 vcc, v1, s8
	v_mul_f32_e32 v3, v4, v3
	v_cndmask_b32_e32 v1, 0, v1, vcc
	v_cmp_class_f32_e64 vcc, v2, s8
	v_cndmask_b32_e32 v2, 0, v2, vcc
	v_cmp_class_f32_e64 vcc, v3, s8
	v_cndmask_b32_e32 v3, 0, v3, vcc
	s_cbranch_scc1 .LBB38_27
; %bb.4:
	v_lshlrev_b32_e32 v4, 2, v19
	global_load_dwordx4 v[4:7], v4, s[0:1]
	s_waitcnt vmcnt(0)
	v_pk_add_f32 v[4:5], v[4:5], v[0:1]
	v_pk_add_f32 v[6:7], v[6:7], v[2:3]
	s_cbranch_execnz .LBB38_6
.LBB38_5:
	v_pk_mov_b32 v[6:7], v[2:3], v[2:3] op_sel:[0,1]
	v_pk_mov_b32 v[4:5], v[0:1], v[0:1] op_sel:[0,1]
.LBB38_6:
	s_load_dwordx4 s[8:11], s[4:5], 0x30
	s_mov_b32 s25, 0
	v_cmp_eq_u32_e64 s[0:1], 0, v13
	s_waitcnt lgkmcnt(0)
	s_bitcmp1_b32 s11, 0
	s_cselect_b64 vcc, -1, 0
	s_cmp_gt_i32 s8, 0
	s_cselect_b64 s[20:21], -1, 0
	s_cmp_lt_i32 s8, 1
	s_cbranch_scc1 .LBB38_28
; %bb.7:
	s_load_dwordx4 s[12:15], s[4:5], 0x20
	v_mul_lo_u32 v21, v9, s8
	v_mov_b32_e32 v20, 0
	v_mov_b32_e32 v22, 0x80
	;; [unrolled: 1-line block ×4, first 2 shown]
	s_branch .LBB38_10
.LBB38_8:                               ;   in Loop: Header=BB38_10 Depth=1
	s_or_b64 exec, exec, s[4:5]
.LBB38_9:                               ;   in Loop: Header=BB38_10 Depth=1
	s_cmp_eq_u32 s8, s25
	v_add_u32_e32 v24, s24, v24
	s_cbranch_scc1 .LBB38_29
.LBB38_10:                              ; =>This Inner Loop Header: Depth=1
	v_cmp_gt_f32_e64 s[2:3], v5, v4
	v_cndmask_b32_e64 v8, v4, v5, s[2:3]
	v_cndmask_b32_e64 v10, v0, v1, s[2:3]
	s_waitcnt lgkmcnt(0)
	v_cndmask_b32_e64 v11, 0, 1, s[2:3]
	v_cmp_gt_f32_e64 s[2:3], v6, v8
	v_cndmask_b32_e64 v8, v8, v6, s[2:3]
	v_cndmask_b32_e64 v10, v10, v2, s[2:3]
	;; [unrolled: 1-line block ×3, first 2 shown]
	v_cmp_gt_f32_e64 s[2:3], v7, v8
	v_cndmask_b32_e64 v11, v11, 3, s[2:3]
	v_cndmask_b32_e64 v8, v8, v7, s[2:3]
	v_or_b32_e32 v11, v19, v11
	ds_bpermute_b32 v12, v14, v8
	ds_bpermute_b32 v25, v14, v11
	v_cndmask_b32_e64 v10, v10, v3, s[2:3]
	ds_bpermute_b32 v27, v14, v10
	s_waitcnt lgkmcnt(0)
	v_cmp_eq_f32_e64 s[4:5], v8, v12
	v_cmp_lt_i32_e64 s[6:7], v25, v11
	v_cmp_lt_f32_e64 s[2:3], v8, v12
	s_and_b64 s[4:5], s[4:5], s[6:7]
	s_or_b64 s[2:3], s[2:3], s[4:5]
	v_cndmask_b32_e64 v26, v11, v25, s[2:3]
	v_cndmask_b32_e64 v25, v8, v12, s[2:3]
	;; [unrolled: 1-line block ×3, first 2 shown]
	ds_bpermute_b32 v28, v15, v25
	ds_bpermute_b32 v12, v15, v8
	;; [unrolled: 1-line block ×3, first 2 shown]
                                        ; implicit-def: $vgpr10_vgpr11
	s_waitcnt lgkmcnt(2)
	v_cmp_lt_f32_e64 s[6:7], v25, v28
	v_cmp_nlt_f32_e64 s[2:3], v25, v28
	s_and_saveexec_b64 s[22:23], s[2:3]
	s_cbranch_execz .LBB38_12
; %bb.11:                               ;   in Loop: Header=BB38_10 Depth=1
	v_cmp_eq_f32_e64 s[2:3], v25, v28
	s_waitcnt lgkmcnt(0)
	v_cmp_lt_i32_e64 s[4:5], v27, v26
	s_and_b64 s[2:3], s[2:3], s[4:5]
	s_andn2_b64 s[4:5], s[6:7], exec
	s_and_b64 s[2:3], s[2:3], exec
	s_or_b64 s[6:7], s[4:5], s[2:3]
	v_pk_mov_b32 v[10:11], v[8:9], v[8:9] op_sel:[0,1]
.LBB38_12:                              ;   in Loop: Header=BB38_10 Depth=1
	s_or_b64 exec, exec, s[22:23]
	s_and_saveexec_b64 s[2:3], s[6:7]
	s_cbranch_execz .LBB38_14
; %bb.13:                               ;   in Loop: Header=BB38_10 Depth=1
	v_mov_b32_e32 v25, v28
	s_waitcnt lgkmcnt(1)
	v_mov_b32_e32 v8, v12
	s_waitcnt lgkmcnt(0)
	v_mov_b32_e32 v26, v27
	v_pk_mov_b32 v[10:11], v[12:13], v[12:13] op_sel:[0,1]
.LBB38_14:                              ;   in Loop: Header=BB38_10 Depth=1
	s_or_b64 exec, exec, s[2:3]
	s_waitcnt lgkmcnt(0)
	ds_bpermute_b32 v27, v16, v25
	ds_bpermute_b32 v12, v16, v8
	;; [unrolled: 1-line block ×3, first 2 shown]
	s_waitcnt lgkmcnt(2)
	v_cmp_lt_f32_e64 s[6:7], v25, v27
	v_cmp_nlt_f32_e64 s[2:3], v25, v27
	s_and_saveexec_b64 s[22:23], s[2:3]
	s_cbranch_execz .LBB38_16
; %bb.15:                               ;   in Loop: Header=BB38_10 Depth=1
	v_cmp_eq_f32_e64 s[2:3], v25, v27
	s_waitcnt lgkmcnt(0)
	v_cmp_lt_i32_e64 s[4:5], v11, v26
	s_and_b64 s[2:3], s[2:3], s[4:5]
	s_andn2_b64 s[4:5], s[6:7], exec
	s_and_b64 s[2:3], s[2:3], exec
	s_or_b64 s[6:7], s[4:5], s[2:3]
.LBB38_16:                              ;   in Loop: Header=BB38_10 Depth=1
	s_or_b64 exec, exec, s[22:23]
	s_and_saveexec_b64 s[2:3], s[6:7]
	s_cbranch_execz .LBB38_18
; %bb.17:                               ;   in Loop: Header=BB38_10 Depth=1
	v_mov_b32_e32 v25, v27
	s_waitcnt lgkmcnt(1)
	v_mov_b32_e32 v8, v12
	s_waitcnt lgkmcnt(0)
	v_mov_b32_e32 v26, v11
	v_pk_mov_b32 v[10:11], v[12:13], v[12:13] op_sel:[0,1]
.LBB38_18:                              ;   in Loop: Header=BB38_10 Depth=1
	s_or_b64 exec, exec, s[2:3]
	ds_bpermute_b32 v27, v17, v25
	s_waitcnt lgkmcnt(2)
	ds_bpermute_b32 v12, v17, v8
	s_waitcnt lgkmcnt(2)
	;; [unrolled: 2-line block ×3, first 2 shown]
	v_cmp_lt_f32_e64 s[6:7], v25, v27
	v_cmp_nlt_f32_e64 s[2:3], v25, v27
	s_and_saveexec_b64 s[22:23], s[2:3]
	s_cbranch_execz .LBB38_20
; %bb.19:                               ;   in Loop: Header=BB38_10 Depth=1
	v_cmp_eq_f32_e64 s[2:3], v25, v27
	s_waitcnt lgkmcnt(0)
	v_cmp_lt_i32_e64 s[4:5], v11, v26
	s_and_b64 s[2:3], s[2:3], s[4:5]
	s_andn2_b64 s[4:5], s[6:7], exec
	s_and_b64 s[2:3], s[2:3], exec
	s_or_b64 s[6:7], s[4:5], s[2:3]
.LBB38_20:                              ;   in Loop: Header=BB38_10 Depth=1
	s_or_b64 exec, exec, s[22:23]
	s_and_saveexec_b64 s[2:3], s[6:7]
	s_cbranch_execz .LBB38_22
; %bb.21:                               ;   in Loop: Header=BB38_10 Depth=1
	v_mov_b32_e32 v25, v27
	s_waitcnt lgkmcnt(1)
	v_mov_b32_e32 v8, v12
	s_waitcnt lgkmcnt(0)
	v_mov_b32_e32 v26, v11
	v_pk_mov_b32 v[10:11], v[12:13], v[12:13] op_sel:[0,1]
.LBB38_22:                              ;   in Loop: Header=BB38_10 Depth=1
	s_or_b64 exec, exec, s[2:3]
	s_waitcnt lgkmcnt(1)
	ds_bpermute_b32 v12, v18, v25
	ds_bpermute_b32 v27, v18, v26
	s_waitcnt lgkmcnt(2)
	ds_bpermute_b32 v11, v18, v8
	s_waitcnt lgkmcnt(2)
	v_cmp_eq_f32_e64 s[4:5], v25, v12
	s_waitcnt lgkmcnt(1)
	v_cmp_lt_i32_e64 s[6:7], v27, v26
	v_cmp_lt_f32_e64 s[2:3], v25, v12
	s_and_b64 s[4:5], s[4:5], s[6:7]
	s_or_b64 s[2:3], s[2:3], s[4:5]
	v_cndmask_b32_e64 v8, v26, v27, s[2:3]
	s_and_saveexec_b64 s[6:7], s[0:1]
	s_cbranch_execnz .LBB38_24
; %bb.23:                               ;   in Loop: Header=BB38_10 Depth=1
	s_or_b64 exec, exec, s[6:7]
	s_add_i32 s25, s25, 1
	s_cmp_ge_i32 s25, s8
	s_cbranch_scc1 .LBB38_9
	s_branch .LBB38_25
.LBB38_24:                              ;   in Loop: Header=BB38_10 Depth=1
	s_waitcnt lgkmcnt(0)
	v_cndmask_b32_e64 v12, v10, v11, s[2:3]
	v_add_u32_e32 v10, s25, v21
	v_ashrrev_i32_e32 v11, 31, v10
	v_cmp_le_i32_e64 s[2:3], s9, v8
	v_cmp_gt_i32_e64 s[4:5], s10, v8
	v_lshlrev_b64 v[10:11], 2, v[10:11]
	s_and_b64 s[4:5], s[2:3], s[4:5]
	v_mov_b32_e32 v25, s17
	v_add_co_u32_e64 v26, s[2:3], s16, v10
	v_addc_co_u32_e64 v27, s[2:3], v25, v11, s[2:3]
	v_subrev_u32_e32 v25, s9, v8
	s_and_b64 s[2:3], s[18:19], s[4:5]
	global_store_dword v[26:27], v12, off
	v_cndmask_b32_e64 v25, v22, v25, s[2:3]
	v_mov_b32_e32 v27, s13
	v_add_co_u32_e64 v26, s[2:3], s12, v10
	v_addc_co_u32_e64 v27, s[2:3], v27, v11, s[2:3]
	global_store_dword v[26:27], v25, off
	v_mov_b32_e32 v25, s15
	v_add_co_u32_e64 v10, s[2:3], s14, v10
	v_addc_co_u32_e64 v11, s[2:3], v25, v11, s[2:3]
	global_store_dword v[10:11], v24, off
	v_add_f32_e32 v10, v20, v12
	v_cndmask_b32_e32 v20, v20, v10, vcc
	s_or_b64 exec, exec, s[6:7]
	s_add_i32 s25, s25, 1
	s_cmp_ge_i32 s25, s8
	s_cbranch_scc1 .LBB38_9
.LBB38_25:                              ;   in Loop: Header=BB38_10 Depth=1
	s_waitcnt lgkmcnt(0)
	v_ashrrev_i32_e32 v11, 31, v8
	v_lshrrev_b32_e32 v10, 30, v11
	v_add_u32_e32 v12, v8, v10
	v_ashrrev_i32_e32 v10, 2, v12
	v_ashrrev_i32_e32 v12, 31, v12
	v_lshrrev_b32_e32 v12, 27, v12
	v_add_u32_e32 v12, v10, v12
	v_and_b32_e32 v12, 0xffffffe0, v12
	v_sub_u32_e32 v12, v10, v12
	v_cmp_eq_u32_e64 s[2:3], v13, v12
	s_and_saveexec_b64 s[4:5], s[2:3]
	s_cbranch_execz .LBB38_8
; %bb.26:                               ;   in Loop: Header=BB38_10 Depth=1
	v_lshrrev_b32_e32 v11, 25, v11
	v_add_u32_e32 v11, v8, v11
	v_lshlrev_b32_e32 v10, 2, v10
	v_ashrrev_i32_e32 v11, 7, v11
	v_sub_u32_e32 v8, v8, v10
	v_lshl_add_u32 v8, v11, 2, v8
	v_cmp_ne_u32_e64 s[2:3], 3, v8
	v_cndmask_b32_e64 v7, v23, v7, s[2:3]
	v_cmp_ne_u32_e64 s[2:3], 2, v8
	v_cndmask_b32_e64 v6, v23, v6, s[2:3]
	;; [unrolled: 2-line block ×4, first 2 shown]
	s_branch .LBB38_8
.LBB38_27:
                                        ; implicit-def: $vgpr4_vgpr5_vgpr6_vgpr7
	s_andn2_b64 vcc, exec, s[6:7]
	s_cbranch_vccz .LBB38_5
	s_branch .LBB38_6
.LBB38_28:
	v_mov_b32_e32 v20, 0
.LBB38_29:
	v_cmp_eq_u32_e64 s[0:1], 0, v13
	s_and_b64 s[0:1], s[0:1], vcc
	s_and_b64 exec, exec, s[0:1]
	s_cbranch_execz .LBB38_38
; %bb.30:
	s_andn2_b64 vcc, exec, s[20:21]
	s_cbranch_vccnz .LBB38_38
; %bb.31:
	v_cmp_lt_f32_e32 vcc, 0, v20
	s_mov_b32 s2, 0
	v_cndmask_b32_e32 v0, 1.0, v20, vcc
	v_mul_lo_u32 v4, v9, s8
	s_cmp_eq_u32 s8, 1
	s_mov_b64 s[0:1], -1
	s_cbranch_scc1 .LBB38_35
; %bb.32:
	s_and_b32 s2, s8, 0x7ffffffe
	v_mov_b32_e32 v1, v0
	v_mov_b32_e32 v5, s17
	s_mov_b32 s3, s2
	v_mov_b32_e32 v2, v4
.LBB38_33:                              ; =>This Inner Loop Header: Depth=1
	v_ashrrev_i32_e32 v3, 31, v2
	v_lshlrev_b64 v[6:7], 2, v[2:3]
	v_add_co_u32_e32 v6, vcc, s16, v6
	v_addc_co_u32_e32 v7, vcc, v5, v7, vcc
	global_load_dwordx2 v[8:9], v[6:7], off
	s_add_i32 s3, s3, -2
	s_cmp_lg_u32 s3, 0
	v_add_u32_e32 v2, 2, v2
	s_waitcnt vmcnt(0)
	v_div_scale_f32 v3, s[0:1], v1, v1, v9
	s_waitcnt lgkmcnt(0)
	v_div_scale_f32 v11, s[0:1], v0, v0, v8
	v_rcp_f32_e32 v12, v3
	v_rcp_f32_e32 v13, v11
	v_div_scale_f32 v10, vcc, v9, v1, v9
	v_fma_f32 v15, -v3, v12, 1.0
	v_fma_f32 v16, -v11, v13, 1.0
	v_fmac_f32_e32 v12, v15, v12
	v_div_scale_f32 v14, s[0:1], v8, v0, v8
	v_fmac_f32_e32 v13, v16, v13
	v_mul_f32_e32 v15, v10, v12
	v_mul_f32_e32 v16, v14, v13
	v_fma_f32 v17, -v3, v15, v10
	v_fma_f32 v18, -v11, v16, v14
	v_fmac_f32_e32 v15, v17, v12
	v_fmac_f32_e32 v16, v18, v13
	v_fma_f32 v3, -v3, v15, v10
	v_fma_f32 v10, -v11, v16, v14
	v_div_fmas_f32 v3, v3, v12, v15
	s_mov_b64 vcc, s[0:1]
	v_div_fixup_f32 v9, v3, v1, v9
	v_div_fmas_f32 v3, v10, v13, v16
	v_div_fixup_f32 v8, v3, v0, v8
	global_store_dwordx2 v[6:7], v[8:9], off
	s_cbranch_scc1 .LBB38_33
; %bb.34:
	s_cmp_lg_u32 s2, s8
	s_cselect_b64 s[0:1], -1, 0
.LBB38_35:
	s_and_b64 vcc, exec, s[0:1]
	s_cbranch_vccz .LBB38_38
; %bb.36:
	v_ashrrev_i32_e32 v1, 31, v4
	v_add_co_u32_e32 v2, vcc, s2, v4
	v_addc_co_u32_e32 v3, vcc, 0, v1, vcc
	v_lshlrev_b64 v[2:3], 2, v[2:3]
	v_mov_b32_e32 v1, s17
	v_add_co_u32_e32 v2, vcc, s16, v2
	s_sub_i32 s0, s8, s2
	v_addc_co_u32_e32 v3, vcc, v1, v3, vcc
.LBB38_37:                              ; =>This Inner Loop Header: Depth=1
	global_load_dword v1, v[2:3], off
	s_add_i32 s0, s0, -1
	s_cmp_lg_u32 s0, 0
	s_waitcnt vmcnt(0)
	v_div_scale_f32 v4, s[2:3], v0, v0, v1
	v_rcp_f32_e32 v5, v4
	v_div_scale_f32 v6, vcc, v1, v0, v1
	v_fma_f32 v7, -v4, v5, 1.0
	v_fmac_f32_e32 v5, v7, v5
	v_mul_f32_e32 v7, v6, v5
	v_fma_f32 v8, -v4, v7, v6
	v_fmac_f32_e32 v7, v8, v5
	v_fma_f32 v4, -v4, v7, v6
	v_div_fmas_f32 v4, v4, v5, v7
	v_div_fixup_f32 v1, v4, v0, v1
	global_store_dword v[2:3], v1, off
	v_add_co_u32_e32 v2, vcc, 4, v2
	v_addc_co_u32_e32 v3, vcc, 0, v3, vcc
	s_cbranch_scc1 .LBB38_37
.LBB38_38:
	s_endpgm
	.section	.rodata,"a",@progbits
	.p2align	6, 0x0
	.amdhsa_kernel _ZN4vllm3moe10topkGatingILi4ELi128ELi4ELi16ELi64EjfLNS0_11ScoringFuncE0EEEvPKT5_PKbPfiPT4_PiiiibPKf
		.amdhsa_group_segment_fixed_size 0
		.amdhsa_private_segment_fixed_size 0
		.amdhsa_kernarg_size 72
		.amdhsa_user_sgpr_count 6
		.amdhsa_user_sgpr_private_segment_buffer 1
		.amdhsa_user_sgpr_dispatch_ptr 0
		.amdhsa_user_sgpr_queue_ptr 0
		.amdhsa_user_sgpr_kernarg_segment_ptr 1
		.amdhsa_user_sgpr_dispatch_id 0
		.amdhsa_user_sgpr_flat_scratch_init 0
		.amdhsa_user_sgpr_kernarg_preload_length 0
		.amdhsa_user_sgpr_kernarg_preload_offset 0
		.amdhsa_user_sgpr_private_segment_size 0
		.amdhsa_uses_dynamic_stack 0
		.amdhsa_system_sgpr_private_segment_wavefront_offset 0
		.amdhsa_system_sgpr_workgroup_id_x 1
		.amdhsa_system_sgpr_workgroup_id_y 0
		.amdhsa_system_sgpr_workgroup_id_z 0
		.amdhsa_system_sgpr_workgroup_info 0
		.amdhsa_system_vgpr_workitem_id 1
		.amdhsa_next_free_vgpr 29
		.amdhsa_next_free_sgpr 26
		.amdhsa_accum_offset 32
		.amdhsa_reserve_vcc 1
		.amdhsa_reserve_flat_scratch 0
		.amdhsa_float_round_mode_32 0
		.amdhsa_float_round_mode_16_64 0
		.amdhsa_float_denorm_mode_32 3
		.amdhsa_float_denorm_mode_16_64 3
		.amdhsa_dx10_clamp 1
		.amdhsa_ieee_mode 1
		.amdhsa_fp16_overflow 0
		.amdhsa_tg_split 0
		.amdhsa_exception_fp_ieee_invalid_op 0
		.amdhsa_exception_fp_denorm_src 0
		.amdhsa_exception_fp_ieee_div_zero 0
		.amdhsa_exception_fp_ieee_overflow 0
		.amdhsa_exception_fp_ieee_underflow 0
		.amdhsa_exception_fp_ieee_inexact 0
		.amdhsa_exception_int_div_zero 0
	.end_amdhsa_kernel
	.section	.text._ZN4vllm3moe10topkGatingILi4ELi128ELi4ELi16ELi64EjfLNS0_11ScoringFuncE0EEEvPKT5_PKbPfiPT4_PiiiibPKf,"axG",@progbits,_ZN4vllm3moe10topkGatingILi4ELi128ELi4ELi16ELi64EjfLNS0_11ScoringFuncE0EEEvPKT5_PKbPfiPT4_PiiiibPKf,comdat
.Lfunc_end38:
	.size	_ZN4vllm3moe10topkGatingILi4ELi128ELi4ELi16ELi64EjfLNS0_11ScoringFuncE0EEEvPKT5_PKbPfiPT4_PiiiibPKf, .Lfunc_end38-_ZN4vllm3moe10topkGatingILi4ELi128ELi4ELi16ELi64EjfLNS0_11ScoringFuncE0EEEvPKT5_PKbPfiPT4_PiiiibPKf
                                        ; -- End function
	.section	.AMDGPU.csdata,"",@progbits
; Kernel info:
; codeLenInByte = 2672
; NumSgprs: 30
; NumVgprs: 29
; NumAgprs: 0
; TotalNumVgprs: 29
; ScratchSize: 0
; MemoryBound: 0
; FloatMode: 240
; IeeeMode: 1
; LDSByteSize: 0 bytes/workgroup (compile time only)
; SGPRBlocks: 3
; VGPRBlocks: 3
; NumSGPRsForWavesPerEU: 30
; NumVGPRsForWavesPerEU: 29
; AccumOffset: 32
; Occupancy: 8
; WaveLimiterHint : 0
; COMPUTE_PGM_RSRC2:SCRATCH_EN: 0
; COMPUTE_PGM_RSRC2:USER_SGPR: 6
; COMPUTE_PGM_RSRC2:TRAP_HANDLER: 0
; COMPUTE_PGM_RSRC2:TGID_X_EN: 1
; COMPUTE_PGM_RSRC2:TGID_Y_EN: 0
; COMPUTE_PGM_RSRC2:TGID_Z_EN: 0
; COMPUTE_PGM_RSRC2:TIDIG_COMP_CNT: 1
; COMPUTE_PGM_RSRC3_GFX90A:ACCUM_OFFSET: 7
; COMPUTE_PGM_RSRC3_GFX90A:TG_SPLIT: 0
	.section	.text._ZN4vllm3moe10topkGatingILi4ELi128ELi4ELi16ELi32EjfLNS0_11ScoringFuncE0EEEvPKT5_PKbPfiPT4_PiiiibPKf,"axG",@progbits,_ZN4vllm3moe10topkGatingILi4ELi128ELi4ELi16ELi32EjfLNS0_11ScoringFuncE0EEEvPKT5_PKbPfiPT4_PiiiibPKf,comdat
	.protected	_ZN4vllm3moe10topkGatingILi4ELi128ELi4ELi16ELi32EjfLNS0_11ScoringFuncE0EEEvPKT5_PKbPfiPT4_PiiiibPKf ; -- Begin function _ZN4vllm3moe10topkGatingILi4ELi128ELi4ELi16ELi32EjfLNS0_11ScoringFuncE0EEEvPKT5_PKbPfiPT4_PiiiibPKf
	.globl	_ZN4vllm3moe10topkGatingILi4ELi128ELi4ELi16ELi32EjfLNS0_11ScoringFuncE0EEEvPKT5_PKbPfiPT4_PiiiibPKf
	.p2align	8
	.type	_ZN4vllm3moe10topkGatingILi4ELi128ELi4ELi16ELi32EjfLNS0_11ScoringFuncE0EEEvPKT5_PKbPfiPT4_PiiiibPKf,@function
_ZN4vllm3moe10topkGatingILi4ELi128ELi4ELi16ELi32EjfLNS0_11ScoringFuncE0EEEvPKT5_PKbPfiPT4_PiiiibPKf: ; @_ZN4vllm3moe10topkGatingILi4ELi128ELi4ELi16ELi32EjfLNS0_11ScoringFuncE0EEEvPKT5_PKbPfiPT4_PiiiibPKf
; %bb.0:
	s_load_dword s24, s[4:5], 0x18
	v_and_b32_e32 v1, 0x3ff, v0
	s_lshl_b32 s0, s6, 2
	v_lshrrev_b32_e32 v2, 5, v1
	v_bfe_u32 v0, v0, 10, 10
	v_add3_u32 v9, s0, v0, v2
	s_waitcnt lgkmcnt(0)
	v_cmp_gt_i32_e32 vcc, s24, v9
	s_and_saveexec_b64 s[0:1], vcc
	s_cbranch_execz .LBB39_38
; %bb.1:
	s_load_dwordx4 s[0:3], s[4:5], 0x0
	s_load_dwordx2 s[16:17], s[4:5], 0x10
	s_mov_b64 s[6:7], -1
	s_mov_b64 s[18:19], -1
	s_waitcnt lgkmcnt(0)
	s_cmp_eq_u64 s[2:3], 0
	s_cbranch_scc1 .LBB39_3
; %bb.2:
	v_ashrrev_i32_e32 v0, 31, v9
	v_mov_b32_e32 v3, s3
	v_add_co_u32_e32 v2, vcc, s2, v9
	v_addc_co_u32_e32 v3, vcc, v3, v0, vcc
	global_load_ubyte v0, v[2:3], off
	s_waitcnt vmcnt(0)
	v_and_b32_e32 v0, 1, v0
	v_cmp_eq_u32_e32 vcc, 1, v0
	s_xor_b64 s[2:3], vcc, -1
	s_orn2_b64 s[18:19], s[2:3], exec
.LBB39_3:
	v_lshlrev_b32_e32 v2, 7, v9
	v_ashrrev_i32_e32 v3, 31, v2
	v_lshlrev_b64 v[2:3], 2, v[2:3]
	v_mov_b32_e32 v0, s1
	v_add_co_u32_e32 v2, vcc, s0, v2
	v_and_b32_e32 v13, 31, v1
	v_addc_co_u32_e32 v3, vcc, v0, v3, vcc
	v_lshlrev_b32_e32 v0, 4, v13
	v_add_co_u32_e32 v0, vcc, v2, v0
	v_addc_co_u32_e32 v1, vcc, 0, v3, vcc
	global_load_dwordx4 v[0:3], v[0:1], off
	v_mbcnt_lo_u32_b32 v4, -1, 0
	v_mbcnt_hi_u32_b32 v4, -1, v4
	v_and_b32_e32 v5, 0x60, v4
	v_xor_b32_e32 v6, 16, v4
	v_add_u32_e32 v5, 32, v5
	v_cmp_lt_i32_e32 vcc, v6, v5
	v_cndmask_b32_e32 v6, v4, v6, vcc
	v_lshlrev_b32_e32 v14, 2, v6
	v_xor_b32_e32 v8, 8, v4
	v_cmp_lt_i32_e32 vcc, v8, v5
	v_cndmask_b32_e32 v8, v4, v8, vcc
	v_lshlrev_b32_e32 v15, 2, v8
	v_xor_b32_e32 v8, 4, v4
	;; [unrolled: 4-line block ×4, first 2 shown]
	v_cmp_lt_i32_e32 vcc, v8, v5
	v_cndmask_b32_e32 v4, v4, v8, vcc
	v_lshlrev_b32_e32 v18, 2, v4
	s_mov_b32 s0, 0x3fb8aa3b
	s_mov_b32 s1, 0xc2ce8ed0
	;; [unrolled: 1-line block ×3, first 2 shown]
	s_movk_i32 s8, 0x1f8
	s_waitcnt vmcnt(0)
	v_max_f32_e32 v6, v1, v1
	v_max_f32_e32 v7, v0, v0
	;; [unrolled: 1-line block ×3, first 2 shown]
	v_max3_f32 v6, v6, v2, v3
	ds_bpermute_b32 v7, v14, v6
	s_waitcnt lgkmcnt(0)
	v_max_f32_e32 v7, v7, v7
	v_max_f32_e32 v6, v6, v7
	ds_bpermute_b32 v7, v15, v6
	s_waitcnt lgkmcnt(0)
	v_max_f32_e32 v7, v7, v7
	v_max_f32_e32 v6, v6, v7
	;; [unrolled: 4-line block ×4, first 2 shown]
	ds_bpermute_b32 v5, v18, v4
	v_mov_b32_e32 v6, 0x7f800000
	s_waitcnt lgkmcnt(0)
	v_max_f32_e32 v5, v5, v5
	v_max_f32_e32 v4, v4, v5
	v_pk_add_f32 v[0:1], v[0:1], v[4:5] op_sel_hi:[1,0] neg_lo:[0,1] neg_hi:[0,1]
	v_sub_f32_e32 v2, v2, v4
	v_sub_f32_e32 v3, v3, v4
	v_mul_f32_e32 v4, 0x3fb8aa3b, v1
	v_mul_f32_e32 v5, 0x3fb8aa3b, v0
	v_fma_f32 v10, v1, s0, -v4
	v_rndne_f32_e32 v11, v4
	v_mul_f32_e32 v7, 0x3fb8aa3b, v2
	v_fma_f32 v12, v0, s0, -v5
	v_rndne_f32_e32 v19, v5
	v_fmac_f32_e32 v10, 0x32a5705f, v1
	v_sub_f32_e32 v4, v4, v11
	v_mul_f32_e32 v8, 0x3fb8aa3b, v3
	v_fma_f32 v20, v2, s0, -v7
	v_rndne_f32_e32 v21, v7
	v_fmac_f32_e32 v12, 0x32a5705f, v0
	v_sub_f32_e32 v5, v5, v19
	v_add_f32_e32 v4, v4, v10
	v_fma_f32 v22, v3, s0, -v8
	v_rndne_f32_e32 v23, v8
	v_cvt_i32_f32_e32 v11, v11
	v_fmac_f32_e32 v20, 0x32a5705f, v2
	v_sub_f32_e32 v7, v7, v21
	v_add_f32_e32 v5, v5, v12
	v_exp_f32_e32 v4, v4
	v_cvt_i32_f32_e32 v19, v19
	v_fmac_f32_e32 v22, 0x32a5705f, v3
	v_sub_f32_e32 v8, v8, v23
	v_add_f32_e32 v7, v7, v20
	v_exp_f32_e32 v5, v5
	v_cvt_i32_f32_e32 v21, v21
	v_add_f32_e32 v8, v8, v22
	v_exp_f32_e32 v7, v7
	v_cvt_i32_f32_e32 v23, v23
	v_exp_f32_e32 v8, v8
	v_ldexp_f32 v4, v4, v11
	v_cmp_ngt_f32_e32 vcc, s1, v1
	v_ldexp_f32 v5, v5, v19
	v_cndmask_b32_e32 v4, 0, v4, vcc
	v_cmp_ngt_f32_e32 vcc, s1, v0
	v_ldexp_f32 v7, v7, v21
	v_cndmask_b32_e32 v5, 0, v5, vcc
	;; [unrolled: 3-line block ×3, first 2 shown]
	v_cmp_ngt_f32_e32 vcc, s1, v3
	v_cndmask_b32_e32 v8, 0, v8, vcc
	v_cmp_nlt_f32_e32 vcc, s2, v1
	v_cndmask_b32_e32 v1, v6, v4, vcc
	v_cmp_nlt_f32_e32 vcc, s2, v0
	;; [unrolled: 2-line block ×4, first 2 shown]
	v_add_f32_e32 v4, v0, v1
	v_cndmask_b32_e32 v3, v6, v8, vcc
	v_add_f32_e32 v4, v4, v2
	v_add_f32_e32 v4, v4, v3
	ds_bpermute_b32 v5, v14, v4
	s_load_dwordx2 s[0:1], s[4:5], 0x40
	v_lshlrev_b32_e32 v19, 2, v13
	s_waitcnt lgkmcnt(0)
	v_add_f32_e32 v4, v4, v5
	ds_bpermute_b32 v5, v15, v4
	s_cmp_eq_u64 s[0:1], 0
	s_waitcnt lgkmcnt(0)
	v_add_f32_e32 v4, v4, v5
	ds_bpermute_b32 v5, v16, v4
	s_waitcnt lgkmcnt(0)
	v_add_f32_e32 v4, v4, v5
	ds_bpermute_b32 v5, v17, v4
	s_waitcnt lgkmcnt(0)
	v_add_f32_e32 v4, v4, v5
	ds_bpermute_b32 v5, v18, v4
	s_waitcnt lgkmcnt(0)
	v_add_f32_e32 v4, v4, v5
	v_div_scale_f32 v5, s[2:3], v4, v4, 1.0
	v_rcp_f32_e32 v6, v5
	v_div_scale_f32 v7, vcc, 1.0, v4, 1.0
	v_fma_f32 v8, -v5, v6, 1.0
	v_fmac_f32_e32 v6, v8, v6
	v_mul_f32_e32 v8, v7, v6
	v_fma_f32 v10, -v5, v8, v7
	v_fmac_f32_e32 v8, v10, v6
	v_fma_f32 v5, -v5, v8, v7
	v_div_fmas_f32 v5, v5, v6, v8
	v_div_fixup_f32 v4, v5, v4, 1.0
	v_mul_f32_e32 v0, v4, v0
	v_mul_f32_e32 v1, v4, v1
	v_cmp_class_f32_e64 vcc, v0, s8
	v_mul_f32_e32 v2, v4, v2
	v_cndmask_b32_e32 v0, 0, v0, vcc
	v_cmp_class_f32_e64 vcc, v1, s8
	v_mul_f32_e32 v3, v4, v3
	v_cndmask_b32_e32 v1, 0, v1, vcc
	v_cmp_class_f32_e64 vcc, v2, s8
	v_cndmask_b32_e32 v2, 0, v2, vcc
	v_cmp_class_f32_e64 vcc, v3, s8
	v_cndmask_b32_e32 v3, 0, v3, vcc
	s_cbranch_scc1 .LBB39_27
; %bb.4:
	v_lshlrev_b32_e32 v4, 2, v19
	global_load_dwordx4 v[4:7], v4, s[0:1]
	s_waitcnt vmcnt(0)
	v_pk_add_f32 v[4:5], v[4:5], v[0:1]
	v_pk_add_f32 v[6:7], v[6:7], v[2:3]
	s_cbranch_execnz .LBB39_6
.LBB39_5:
	v_pk_mov_b32 v[6:7], v[2:3], v[2:3] op_sel:[0,1]
	v_pk_mov_b32 v[4:5], v[0:1], v[0:1] op_sel:[0,1]
.LBB39_6:
	s_load_dwordx4 s[8:11], s[4:5], 0x30
	s_mov_b32 s25, 0
	v_cmp_eq_u32_e64 s[0:1], 0, v13
	s_waitcnt lgkmcnt(0)
	s_bitcmp1_b32 s11, 0
	s_cselect_b64 vcc, -1, 0
	s_cmp_gt_i32 s8, 0
	s_cselect_b64 s[20:21], -1, 0
	s_cmp_lt_i32 s8, 1
	s_cbranch_scc1 .LBB39_28
; %bb.7:
	s_load_dwordx4 s[12:15], s[4:5], 0x20
	v_mul_lo_u32 v21, v9, s8
	v_mov_b32_e32 v20, 0
	v_mov_b32_e32 v22, 0x80
	;; [unrolled: 1-line block ×4, first 2 shown]
	s_branch .LBB39_10
.LBB39_8:                               ;   in Loop: Header=BB39_10 Depth=1
	s_or_b64 exec, exec, s[4:5]
.LBB39_9:                               ;   in Loop: Header=BB39_10 Depth=1
	s_cmp_eq_u32 s8, s25
	v_add_u32_e32 v24, s24, v24
	s_cbranch_scc1 .LBB39_29
.LBB39_10:                              ; =>This Inner Loop Header: Depth=1
	v_cmp_gt_f32_e64 s[2:3], v5, v4
	v_cndmask_b32_e64 v8, v4, v5, s[2:3]
	v_cndmask_b32_e64 v10, v0, v1, s[2:3]
	s_waitcnt lgkmcnt(0)
	v_cndmask_b32_e64 v11, 0, 1, s[2:3]
	v_cmp_gt_f32_e64 s[2:3], v6, v8
	v_cndmask_b32_e64 v8, v8, v6, s[2:3]
	v_cndmask_b32_e64 v10, v10, v2, s[2:3]
	;; [unrolled: 1-line block ×3, first 2 shown]
	v_cmp_gt_f32_e64 s[2:3], v7, v8
	v_cndmask_b32_e64 v11, v11, 3, s[2:3]
	v_cndmask_b32_e64 v8, v8, v7, s[2:3]
	v_or_b32_e32 v11, v19, v11
	ds_bpermute_b32 v12, v14, v8
	ds_bpermute_b32 v25, v14, v11
	v_cndmask_b32_e64 v10, v10, v3, s[2:3]
	ds_bpermute_b32 v27, v14, v10
	s_waitcnt lgkmcnt(0)
	v_cmp_eq_f32_e64 s[4:5], v8, v12
	v_cmp_lt_i32_e64 s[6:7], v25, v11
	v_cmp_lt_f32_e64 s[2:3], v8, v12
	s_and_b64 s[4:5], s[4:5], s[6:7]
	s_or_b64 s[2:3], s[2:3], s[4:5]
	v_cndmask_b32_e64 v26, v11, v25, s[2:3]
	v_cndmask_b32_e64 v25, v8, v12, s[2:3]
	;; [unrolled: 1-line block ×3, first 2 shown]
	ds_bpermute_b32 v28, v15, v25
	ds_bpermute_b32 v12, v15, v8
	;; [unrolled: 1-line block ×3, first 2 shown]
                                        ; implicit-def: $vgpr10_vgpr11
	s_waitcnt lgkmcnt(2)
	v_cmp_lt_f32_e64 s[6:7], v25, v28
	v_cmp_nlt_f32_e64 s[2:3], v25, v28
	s_and_saveexec_b64 s[22:23], s[2:3]
	s_cbranch_execz .LBB39_12
; %bb.11:                               ;   in Loop: Header=BB39_10 Depth=1
	v_cmp_eq_f32_e64 s[2:3], v25, v28
	s_waitcnt lgkmcnt(0)
	v_cmp_lt_i32_e64 s[4:5], v27, v26
	s_and_b64 s[2:3], s[2:3], s[4:5]
	s_andn2_b64 s[4:5], s[6:7], exec
	s_and_b64 s[2:3], s[2:3], exec
	s_or_b64 s[6:7], s[4:5], s[2:3]
	v_pk_mov_b32 v[10:11], v[8:9], v[8:9] op_sel:[0,1]
.LBB39_12:                              ;   in Loop: Header=BB39_10 Depth=1
	s_or_b64 exec, exec, s[22:23]
	s_and_saveexec_b64 s[2:3], s[6:7]
	s_cbranch_execz .LBB39_14
; %bb.13:                               ;   in Loop: Header=BB39_10 Depth=1
	v_mov_b32_e32 v25, v28
	s_waitcnt lgkmcnt(1)
	v_mov_b32_e32 v8, v12
	s_waitcnt lgkmcnt(0)
	v_mov_b32_e32 v26, v27
	v_pk_mov_b32 v[10:11], v[12:13], v[12:13] op_sel:[0,1]
.LBB39_14:                              ;   in Loop: Header=BB39_10 Depth=1
	s_or_b64 exec, exec, s[2:3]
	s_waitcnt lgkmcnt(0)
	ds_bpermute_b32 v27, v16, v25
	ds_bpermute_b32 v12, v16, v8
	;; [unrolled: 1-line block ×3, first 2 shown]
	s_waitcnt lgkmcnt(2)
	v_cmp_lt_f32_e64 s[6:7], v25, v27
	v_cmp_nlt_f32_e64 s[2:3], v25, v27
	s_and_saveexec_b64 s[22:23], s[2:3]
	s_cbranch_execz .LBB39_16
; %bb.15:                               ;   in Loop: Header=BB39_10 Depth=1
	v_cmp_eq_f32_e64 s[2:3], v25, v27
	s_waitcnt lgkmcnt(0)
	v_cmp_lt_i32_e64 s[4:5], v11, v26
	s_and_b64 s[2:3], s[2:3], s[4:5]
	s_andn2_b64 s[4:5], s[6:7], exec
	s_and_b64 s[2:3], s[2:3], exec
	s_or_b64 s[6:7], s[4:5], s[2:3]
.LBB39_16:                              ;   in Loop: Header=BB39_10 Depth=1
	s_or_b64 exec, exec, s[22:23]
	s_and_saveexec_b64 s[2:3], s[6:7]
	s_cbranch_execz .LBB39_18
; %bb.17:                               ;   in Loop: Header=BB39_10 Depth=1
	v_mov_b32_e32 v25, v27
	s_waitcnt lgkmcnt(1)
	v_mov_b32_e32 v8, v12
	s_waitcnt lgkmcnt(0)
	v_mov_b32_e32 v26, v11
	v_pk_mov_b32 v[10:11], v[12:13], v[12:13] op_sel:[0,1]
.LBB39_18:                              ;   in Loop: Header=BB39_10 Depth=1
	s_or_b64 exec, exec, s[2:3]
	ds_bpermute_b32 v27, v17, v25
	s_waitcnt lgkmcnt(2)
	ds_bpermute_b32 v12, v17, v8
	s_waitcnt lgkmcnt(2)
	;; [unrolled: 2-line block ×3, first 2 shown]
	v_cmp_lt_f32_e64 s[6:7], v25, v27
	v_cmp_nlt_f32_e64 s[2:3], v25, v27
	s_and_saveexec_b64 s[22:23], s[2:3]
	s_cbranch_execz .LBB39_20
; %bb.19:                               ;   in Loop: Header=BB39_10 Depth=1
	v_cmp_eq_f32_e64 s[2:3], v25, v27
	s_waitcnt lgkmcnt(0)
	v_cmp_lt_i32_e64 s[4:5], v11, v26
	s_and_b64 s[2:3], s[2:3], s[4:5]
	s_andn2_b64 s[4:5], s[6:7], exec
	s_and_b64 s[2:3], s[2:3], exec
	s_or_b64 s[6:7], s[4:5], s[2:3]
.LBB39_20:                              ;   in Loop: Header=BB39_10 Depth=1
	s_or_b64 exec, exec, s[22:23]
	s_and_saveexec_b64 s[2:3], s[6:7]
	s_cbranch_execz .LBB39_22
; %bb.21:                               ;   in Loop: Header=BB39_10 Depth=1
	v_mov_b32_e32 v25, v27
	s_waitcnt lgkmcnt(1)
	v_mov_b32_e32 v8, v12
	s_waitcnt lgkmcnt(0)
	v_mov_b32_e32 v26, v11
	v_pk_mov_b32 v[10:11], v[12:13], v[12:13] op_sel:[0,1]
.LBB39_22:                              ;   in Loop: Header=BB39_10 Depth=1
	s_or_b64 exec, exec, s[2:3]
	s_waitcnt lgkmcnt(1)
	ds_bpermute_b32 v12, v18, v25
	ds_bpermute_b32 v27, v18, v26
	s_waitcnt lgkmcnt(2)
	ds_bpermute_b32 v11, v18, v8
	s_waitcnt lgkmcnt(2)
	v_cmp_eq_f32_e64 s[4:5], v25, v12
	s_waitcnt lgkmcnt(1)
	v_cmp_lt_i32_e64 s[6:7], v27, v26
	v_cmp_lt_f32_e64 s[2:3], v25, v12
	s_and_b64 s[4:5], s[4:5], s[6:7]
	s_or_b64 s[2:3], s[2:3], s[4:5]
	v_cndmask_b32_e64 v8, v26, v27, s[2:3]
	s_and_saveexec_b64 s[6:7], s[0:1]
	s_cbranch_execnz .LBB39_24
; %bb.23:                               ;   in Loop: Header=BB39_10 Depth=1
	s_or_b64 exec, exec, s[6:7]
	s_add_i32 s25, s25, 1
	s_cmp_ge_i32 s25, s8
	s_cbranch_scc1 .LBB39_9
	s_branch .LBB39_25
.LBB39_24:                              ;   in Loop: Header=BB39_10 Depth=1
	s_waitcnt lgkmcnt(0)
	v_cndmask_b32_e64 v12, v10, v11, s[2:3]
	v_add_u32_e32 v10, s25, v21
	v_ashrrev_i32_e32 v11, 31, v10
	v_cmp_le_i32_e64 s[2:3], s9, v8
	v_cmp_gt_i32_e64 s[4:5], s10, v8
	v_lshlrev_b64 v[10:11], 2, v[10:11]
	s_and_b64 s[4:5], s[2:3], s[4:5]
	v_mov_b32_e32 v25, s17
	v_add_co_u32_e64 v26, s[2:3], s16, v10
	v_addc_co_u32_e64 v27, s[2:3], v25, v11, s[2:3]
	v_subrev_u32_e32 v25, s9, v8
	s_and_b64 s[2:3], s[18:19], s[4:5]
	global_store_dword v[26:27], v12, off
	v_cndmask_b32_e64 v25, v22, v25, s[2:3]
	v_mov_b32_e32 v27, s13
	v_add_co_u32_e64 v26, s[2:3], s12, v10
	v_addc_co_u32_e64 v27, s[2:3], v27, v11, s[2:3]
	global_store_dword v[26:27], v25, off
	v_mov_b32_e32 v25, s15
	v_add_co_u32_e64 v10, s[2:3], s14, v10
	v_addc_co_u32_e64 v11, s[2:3], v25, v11, s[2:3]
	global_store_dword v[10:11], v24, off
	v_add_f32_e32 v10, v20, v12
	v_cndmask_b32_e32 v20, v20, v10, vcc
	s_or_b64 exec, exec, s[6:7]
	s_add_i32 s25, s25, 1
	s_cmp_ge_i32 s25, s8
	s_cbranch_scc1 .LBB39_9
.LBB39_25:                              ;   in Loop: Header=BB39_10 Depth=1
	s_waitcnt lgkmcnt(0)
	v_ashrrev_i32_e32 v11, 31, v8
	v_lshrrev_b32_e32 v10, 30, v11
	v_add_u32_e32 v12, v8, v10
	v_ashrrev_i32_e32 v10, 2, v12
	v_ashrrev_i32_e32 v12, 31, v12
	v_lshrrev_b32_e32 v12, 27, v12
	v_add_u32_e32 v12, v10, v12
	v_and_b32_e32 v12, 0xffffffe0, v12
	v_sub_u32_e32 v12, v10, v12
	v_cmp_eq_u32_e64 s[2:3], v13, v12
	s_and_saveexec_b64 s[4:5], s[2:3]
	s_cbranch_execz .LBB39_8
; %bb.26:                               ;   in Loop: Header=BB39_10 Depth=1
	v_lshrrev_b32_e32 v11, 25, v11
	v_add_u32_e32 v11, v8, v11
	v_lshlrev_b32_e32 v10, 2, v10
	v_ashrrev_i32_e32 v11, 7, v11
	v_sub_u32_e32 v8, v8, v10
	v_lshl_add_u32 v8, v11, 2, v8
	v_cmp_ne_u32_e64 s[2:3], 3, v8
	v_cndmask_b32_e64 v7, v23, v7, s[2:3]
	v_cmp_ne_u32_e64 s[2:3], 2, v8
	v_cndmask_b32_e64 v6, v23, v6, s[2:3]
	;; [unrolled: 2-line block ×4, first 2 shown]
	s_branch .LBB39_8
.LBB39_27:
                                        ; implicit-def: $vgpr4_vgpr5_vgpr6_vgpr7
	s_andn2_b64 vcc, exec, s[6:7]
	s_cbranch_vccz .LBB39_5
	s_branch .LBB39_6
.LBB39_28:
	v_mov_b32_e32 v20, 0
.LBB39_29:
	v_cmp_eq_u32_e64 s[0:1], 0, v13
	s_and_b64 s[0:1], s[0:1], vcc
	s_and_b64 exec, exec, s[0:1]
	s_cbranch_execz .LBB39_38
; %bb.30:
	s_andn2_b64 vcc, exec, s[20:21]
	s_cbranch_vccnz .LBB39_38
; %bb.31:
	v_cmp_lt_f32_e32 vcc, 0, v20
	s_mov_b32 s2, 0
	v_cndmask_b32_e32 v0, 1.0, v20, vcc
	v_mul_lo_u32 v4, v9, s8
	s_cmp_eq_u32 s8, 1
	s_mov_b64 s[0:1], -1
	s_cbranch_scc1 .LBB39_35
; %bb.32:
	s_and_b32 s2, s8, 0x7ffffffe
	v_mov_b32_e32 v1, v0
	v_mov_b32_e32 v5, s17
	s_mov_b32 s3, s2
	v_mov_b32_e32 v2, v4
.LBB39_33:                              ; =>This Inner Loop Header: Depth=1
	v_ashrrev_i32_e32 v3, 31, v2
	v_lshlrev_b64 v[6:7], 2, v[2:3]
	v_add_co_u32_e32 v6, vcc, s16, v6
	v_addc_co_u32_e32 v7, vcc, v5, v7, vcc
	global_load_dwordx2 v[8:9], v[6:7], off
	s_add_i32 s3, s3, -2
	s_cmp_lg_u32 s3, 0
	v_add_u32_e32 v2, 2, v2
	s_waitcnt vmcnt(0)
	v_div_scale_f32 v3, s[0:1], v1, v1, v9
	s_waitcnt lgkmcnt(0)
	v_div_scale_f32 v11, s[0:1], v0, v0, v8
	v_rcp_f32_e32 v12, v3
	v_rcp_f32_e32 v13, v11
	v_div_scale_f32 v10, vcc, v9, v1, v9
	v_fma_f32 v15, -v3, v12, 1.0
	v_fma_f32 v16, -v11, v13, 1.0
	v_fmac_f32_e32 v12, v15, v12
	v_div_scale_f32 v14, s[0:1], v8, v0, v8
	v_fmac_f32_e32 v13, v16, v13
	v_mul_f32_e32 v15, v10, v12
	v_mul_f32_e32 v16, v14, v13
	v_fma_f32 v17, -v3, v15, v10
	v_fma_f32 v18, -v11, v16, v14
	v_fmac_f32_e32 v15, v17, v12
	v_fmac_f32_e32 v16, v18, v13
	v_fma_f32 v3, -v3, v15, v10
	v_fma_f32 v10, -v11, v16, v14
	v_div_fmas_f32 v3, v3, v12, v15
	s_mov_b64 vcc, s[0:1]
	v_div_fixup_f32 v9, v3, v1, v9
	v_div_fmas_f32 v3, v10, v13, v16
	v_div_fixup_f32 v8, v3, v0, v8
	global_store_dwordx2 v[6:7], v[8:9], off
	s_cbranch_scc1 .LBB39_33
; %bb.34:
	s_cmp_lg_u32 s2, s8
	s_cselect_b64 s[0:1], -1, 0
.LBB39_35:
	s_and_b64 vcc, exec, s[0:1]
	s_cbranch_vccz .LBB39_38
; %bb.36:
	v_ashrrev_i32_e32 v1, 31, v4
	v_add_co_u32_e32 v2, vcc, s2, v4
	v_addc_co_u32_e32 v3, vcc, 0, v1, vcc
	v_lshlrev_b64 v[2:3], 2, v[2:3]
	v_mov_b32_e32 v1, s17
	v_add_co_u32_e32 v2, vcc, s16, v2
	s_sub_i32 s0, s8, s2
	v_addc_co_u32_e32 v3, vcc, v1, v3, vcc
.LBB39_37:                              ; =>This Inner Loop Header: Depth=1
	global_load_dword v1, v[2:3], off
	s_add_i32 s0, s0, -1
	s_cmp_lg_u32 s0, 0
	s_waitcnt vmcnt(0)
	v_div_scale_f32 v4, s[2:3], v0, v0, v1
	v_rcp_f32_e32 v5, v4
	v_div_scale_f32 v6, vcc, v1, v0, v1
	v_fma_f32 v7, -v4, v5, 1.0
	v_fmac_f32_e32 v5, v7, v5
	v_mul_f32_e32 v7, v6, v5
	v_fma_f32 v8, -v4, v7, v6
	v_fmac_f32_e32 v7, v8, v5
	v_fma_f32 v4, -v4, v7, v6
	v_div_fmas_f32 v4, v4, v5, v7
	v_div_fixup_f32 v1, v4, v0, v1
	global_store_dword v[2:3], v1, off
	v_add_co_u32_e32 v2, vcc, 4, v2
	v_addc_co_u32_e32 v3, vcc, 0, v3, vcc
	s_cbranch_scc1 .LBB39_37
.LBB39_38:
	s_endpgm
	.section	.rodata,"a",@progbits
	.p2align	6, 0x0
	.amdhsa_kernel _ZN4vllm3moe10topkGatingILi4ELi128ELi4ELi16ELi32EjfLNS0_11ScoringFuncE0EEEvPKT5_PKbPfiPT4_PiiiibPKf
		.amdhsa_group_segment_fixed_size 0
		.amdhsa_private_segment_fixed_size 0
		.amdhsa_kernarg_size 72
		.amdhsa_user_sgpr_count 6
		.amdhsa_user_sgpr_private_segment_buffer 1
		.amdhsa_user_sgpr_dispatch_ptr 0
		.amdhsa_user_sgpr_queue_ptr 0
		.amdhsa_user_sgpr_kernarg_segment_ptr 1
		.amdhsa_user_sgpr_dispatch_id 0
		.amdhsa_user_sgpr_flat_scratch_init 0
		.amdhsa_user_sgpr_kernarg_preload_length 0
		.amdhsa_user_sgpr_kernarg_preload_offset 0
		.amdhsa_user_sgpr_private_segment_size 0
		.amdhsa_uses_dynamic_stack 0
		.amdhsa_system_sgpr_private_segment_wavefront_offset 0
		.amdhsa_system_sgpr_workgroup_id_x 1
		.amdhsa_system_sgpr_workgroup_id_y 0
		.amdhsa_system_sgpr_workgroup_id_z 0
		.amdhsa_system_sgpr_workgroup_info 0
		.amdhsa_system_vgpr_workitem_id 1
		.amdhsa_next_free_vgpr 29
		.amdhsa_next_free_sgpr 26
		.amdhsa_accum_offset 32
		.amdhsa_reserve_vcc 1
		.amdhsa_reserve_flat_scratch 0
		.amdhsa_float_round_mode_32 0
		.amdhsa_float_round_mode_16_64 0
		.amdhsa_float_denorm_mode_32 3
		.amdhsa_float_denorm_mode_16_64 3
		.amdhsa_dx10_clamp 1
		.amdhsa_ieee_mode 1
		.amdhsa_fp16_overflow 0
		.amdhsa_tg_split 0
		.amdhsa_exception_fp_ieee_invalid_op 0
		.amdhsa_exception_fp_denorm_src 0
		.amdhsa_exception_fp_ieee_div_zero 0
		.amdhsa_exception_fp_ieee_overflow 0
		.amdhsa_exception_fp_ieee_underflow 0
		.amdhsa_exception_fp_ieee_inexact 0
		.amdhsa_exception_int_div_zero 0
	.end_amdhsa_kernel
	.section	.text._ZN4vllm3moe10topkGatingILi4ELi128ELi4ELi16ELi32EjfLNS0_11ScoringFuncE0EEEvPKT5_PKbPfiPT4_PiiiibPKf,"axG",@progbits,_ZN4vllm3moe10topkGatingILi4ELi128ELi4ELi16ELi32EjfLNS0_11ScoringFuncE0EEEvPKT5_PKbPfiPT4_PiiiibPKf,comdat
.Lfunc_end39:
	.size	_ZN4vllm3moe10topkGatingILi4ELi128ELi4ELi16ELi32EjfLNS0_11ScoringFuncE0EEEvPKT5_PKbPfiPT4_PiiiibPKf, .Lfunc_end39-_ZN4vllm3moe10topkGatingILi4ELi128ELi4ELi16ELi32EjfLNS0_11ScoringFuncE0EEEvPKT5_PKbPfiPT4_PiiiibPKf
                                        ; -- End function
	.section	.AMDGPU.csdata,"",@progbits
; Kernel info:
; codeLenInByte = 2668
; NumSgprs: 30
; NumVgprs: 29
; NumAgprs: 0
; TotalNumVgprs: 29
; ScratchSize: 0
; MemoryBound: 0
; FloatMode: 240
; IeeeMode: 1
; LDSByteSize: 0 bytes/workgroup (compile time only)
; SGPRBlocks: 3
; VGPRBlocks: 3
; NumSGPRsForWavesPerEU: 30
; NumVGPRsForWavesPerEU: 29
; AccumOffset: 32
; Occupancy: 8
; WaveLimiterHint : 0
; COMPUTE_PGM_RSRC2:SCRATCH_EN: 0
; COMPUTE_PGM_RSRC2:USER_SGPR: 6
; COMPUTE_PGM_RSRC2:TRAP_HANDLER: 0
; COMPUTE_PGM_RSRC2:TGID_X_EN: 1
; COMPUTE_PGM_RSRC2:TGID_Y_EN: 0
; COMPUTE_PGM_RSRC2:TGID_Z_EN: 0
; COMPUTE_PGM_RSRC2:TIDIG_COMP_CNT: 1
; COMPUTE_PGM_RSRC3_GFX90A:ACCUM_OFFSET: 7
; COMPUTE_PGM_RSRC3_GFX90A:TG_SPLIT: 0
	.section	.text._ZN4vllm3moe10topkGatingILi4ELi256ELi4ELi16ELi64EjfLNS0_11ScoringFuncE0EEEvPKT5_PKbPfiPT4_PiiiibPKf,"axG",@progbits,_ZN4vllm3moe10topkGatingILi4ELi256ELi4ELi16ELi64EjfLNS0_11ScoringFuncE0EEEvPKT5_PKbPfiPT4_PiiiibPKf,comdat
	.protected	_ZN4vllm3moe10topkGatingILi4ELi256ELi4ELi16ELi64EjfLNS0_11ScoringFuncE0EEEvPKT5_PKbPfiPT4_PiiiibPKf ; -- Begin function _ZN4vllm3moe10topkGatingILi4ELi256ELi4ELi16ELi64EjfLNS0_11ScoringFuncE0EEEvPKT5_PKbPfiPT4_PiiiibPKf
	.globl	_ZN4vllm3moe10topkGatingILi4ELi256ELi4ELi16ELi64EjfLNS0_11ScoringFuncE0EEEvPKT5_PKbPfiPT4_PiiiibPKf
	.p2align	8
	.type	_ZN4vllm3moe10topkGatingILi4ELi256ELi4ELi16ELi64EjfLNS0_11ScoringFuncE0EEEvPKT5_PKbPfiPT4_PiiiibPKf,@function
_ZN4vllm3moe10topkGatingILi4ELi256ELi4ELi16ELi64EjfLNS0_11ScoringFuncE0EEEvPKT5_PKbPfiPT4_PiiiibPKf: ; @_ZN4vllm3moe10topkGatingILi4ELi256ELi4ELi16ELi64EjfLNS0_11ScoringFuncE0EEEvPKT5_PKbPfiPT4_PiiiibPKf
; %bb.0:
	s_load_dword s24, s[4:5], 0x18
	v_and_b32_e32 v1, 0x3ff, v0
	s_lshl_b32 s0, s6, 2
	v_lshrrev_b32_e32 v2, 6, v1
	v_bfe_u32 v0, v0, 10, 10
	v_add3_u32 v9, s0, v0, v2
	s_waitcnt lgkmcnt(0)
	v_cmp_gt_i32_e32 vcc, s24, v9
	s_and_saveexec_b64 s[0:1], vcc
	s_cbranch_execz .LBB40_42
; %bb.1:
	s_load_dwordx4 s[0:3], s[4:5], 0x0
	s_load_dwordx2 s[16:17], s[4:5], 0x10
	s_mov_b64 s[6:7], -1
	s_mov_b64 s[18:19], -1
	s_waitcnt lgkmcnt(0)
	s_cmp_eq_u64 s[2:3], 0
	s_cbranch_scc1 .LBB40_3
; %bb.2:
	v_ashrrev_i32_e32 v0, 31, v9
	v_mov_b32_e32 v3, s3
	v_add_co_u32_e32 v2, vcc, s2, v9
	v_addc_co_u32_e32 v3, vcc, v3, v0, vcc
	global_load_ubyte v0, v[2:3], off
	s_waitcnt vmcnt(0)
	v_and_b32_e32 v0, 1, v0
	v_cmp_eq_u32_e32 vcc, 1, v0
	s_xor_b64 s[2:3], vcc, -1
	s_orn2_b64 s[18:19], s[2:3], exec
.LBB40_3:
	v_lshlrev_b32_e32 v2, 8, v9
	v_ashrrev_i32_e32 v3, 31, v2
	v_lshlrev_b64 v[2:3], 2, v[2:3]
	v_mov_b32_e32 v0, s1
	v_add_co_u32_e32 v2, vcc, s0, v2
	v_and_b32_e32 v13, 63, v1
	v_addc_co_u32_e32 v3, vcc, v0, v3, vcc
	v_lshlrev_b32_e32 v0, 4, v13
	v_add_co_u32_e32 v0, vcc, v2, v0
	v_addc_co_u32_e32 v1, vcc, 0, v3, vcc
	global_load_dwordx4 v[0:3], v[0:1], off
	v_mbcnt_lo_u32_b32 v4, -1, 0
	v_mbcnt_hi_u32_b32 v4, -1, v4
	v_and_b32_e32 v5, 64, v4
	v_xor_b32_e32 v6, 32, v4
	v_add_u32_e32 v5, 64, v5
	v_cmp_lt_i32_e32 vcc, v6, v5
	v_cndmask_b32_e32 v6, v4, v6, vcc
	v_lshlrev_b32_e32 v14, 2, v6
	v_xor_b32_e32 v8, 16, v4
	v_cmp_lt_i32_e32 vcc, v8, v5
	v_cndmask_b32_e32 v8, v4, v8, vcc
	v_lshlrev_b32_e32 v15, 2, v8
	v_xor_b32_e32 v8, 8, v4
	;; [unrolled: 4-line block ×5, first 2 shown]
	v_cmp_lt_i32_e32 vcc, v8, v5
	v_cndmask_b32_e32 v4, v4, v8, vcc
	v_lshlrev_b32_e32 v19, 2, v4
	s_mov_b32 s0, 0x3fb8aa3b
	s_mov_b32 s1, 0xc2ce8ed0
	s_mov_b32 s2, 0x42b17218
	s_movk_i32 s8, 0x1f8
	s_waitcnt vmcnt(0)
	v_max_f32_e32 v6, v1, v1
	v_max_f32_e32 v7, v0, v0
	;; [unrolled: 1-line block ×3, first 2 shown]
	v_max3_f32 v6, v6, v2, v3
	ds_bpermute_b32 v7, v14, v6
	s_waitcnt lgkmcnt(0)
	v_max_f32_e32 v7, v7, v7
	v_max_f32_e32 v6, v6, v7
	ds_bpermute_b32 v7, v15, v6
	s_waitcnt lgkmcnt(0)
	v_max_f32_e32 v7, v7, v7
	v_max_f32_e32 v6, v6, v7
	;; [unrolled: 4-line block ×5, first 2 shown]
	ds_bpermute_b32 v5, v19, v4
	v_mov_b32_e32 v6, 0x7f800000
	s_waitcnt lgkmcnt(0)
	v_max_f32_e32 v5, v5, v5
	v_max_f32_e32 v4, v4, v5
	v_pk_add_f32 v[0:1], v[0:1], v[4:5] op_sel_hi:[1,0] neg_lo:[0,1] neg_hi:[0,1]
	v_sub_f32_e32 v2, v2, v4
	v_sub_f32_e32 v3, v3, v4
	v_mul_f32_e32 v4, 0x3fb8aa3b, v1
	v_mul_f32_e32 v5, 0x3fb8aa3b, v0
	v_fma_f32 v10, v1, s0, -v4
	v_rndne_f32_e32 v11, v4
	v_mul_f32_e32 v7, 0x3fb8aa3b, v2
	v_fma_f32 v12, v0, s0, -v5
	v_rndne_f32_e32 v20, v5
	v_fmac_f32_e32 v10, 0x32a5705f, v1
	v_sub_f32_e32 v4, v4, v11
	v_mul_f32_e32 v8, 0x3fb8aa3b, v3
	v_fma_f32 v21, v2, s0, -v7
	v_rndne_f32_e32 v22, v7
	v_fmac_f32_e32 v12, 0x32a5705f, v0
	v_sub_f32_e32 v5, v5, v20
	v_add_f32_e32 v4, v4, v10
	v_fma_f32 v23, v3, s0, -v8
	v_rndne_f32_e32 v24, v8
	v_cvt_i32_f32_e32 v11, v11
	v_fmac_f32_e32 v21, 0x32a5705f, v2
	v_sub_f32_e32 v7, v7, v22
	v_add_f32_e32 v5, v5, v12
	v_exp_f32_e32 v4, v4
	v_cvt_i32_f32_e32 v20, v20
	v_fmac_f32_e32 v23, 0x32a5705f, v3
	v_sub_f32_e32 v8, v8, v24
	v_add_f32_e32 v7, v7, v21
	v_exp_f32_e32 v5, v5
	v_cvt_i32_f32_e32 v22, v22
	v_add_f32_e32 v8, v8, v23
	v_exp_f32_e32 v7, v7
	v_cvt_i32_f32_e32 v24, v24
	v_exp_f32_e32 v8, v8
	v_ldexp_f32 v4, v4, v11
	v_cmp_ngt_f32_e32 vcc, s1, v1
	v_ldexp_f32 v5, v5, v20
	v_cndmask_b32_e32 v4, 0, v4, vcc
	v_cmp_ngt_f32_e32 vcc, s1, v0
	v_ldexp_f32 v7, v7, v22
	v_cndmask_b32_e32 v5, 0, v5, vcc
	;; [unrolled: 3-line block ×3, first 2 shown]
	v_cmp_ngt_f32_e32 vcc, s1, v3
	v_cndmask_b32_e32 v8, 0, v8, vcc
	v_cmp_nlt_f32_e32 vcc, s2, v1
	v_cndmask_b32_e32 v1, v6, v4, vcc
	v_cmp_nlt_f32_e32 vcc, s2, v0
	;; [unrolled: 2-line block ×4, first 2 shown]
	v_add_f32_e32 v4, v0, v1
	v_cndmask_b32_e32 v3, v6, v8, vcc
	v_add_f32_e32 v4, v4, v2
	v_add_f32_e32 v4, v4, v3
	ds_bpermute_b32 v5, v14, v4
	s_load_dwordx2 s[0:1], s[4:5], 0x40
	v_lshlrev_b32_e32 v20, 2, v13
	s_waitcnt lgkmcnt(0)
	v_add_f32_e32 v4, v4, v5
	ds_bpermute_b32 v5, v15, v4
	s_cmp_eq_u64 s[0:1], 0
	s_waitcnt lgkmcnt(0)
	v_add_f32_e32 v4, v4, v5
	ds_bpermute_b32 v5, v16, v4
	s_waitcnt lgkmcnt(0)
	v_add_f32_e32 v4, v4, v5
	ds_bpermute_b32 v5, v17, v4
	;; [unrolled: 3-line block ×4, first 2 shown]
	s_waitcnt lgkmcnt(0)
	v_add_f32_e32 v4, v4, v5
	v_div_scale_f32 v5, s[2:3], v4, v4, 1.0
	v_rcp_f32_e32 v6, v5
	v_div_scale_f32 v7, vcc, 1.0, v4, 1.0
	v_fma_f32 v8, -v5, v6, 1.0
	v_fmac_f32_e32 v6, v8, v6
	v_mul_f32_e32 v8, v7, v6
	v_fma_f32 v10, -v5, v8, v7
	v_fmac_f32_e32 v8, v10, v6
	v_fma_f32 v5, -v5, v8, v7
	v_div_fmas_f32 v5, v5, v6, v8
	v_div_fixup_f32 v4, v5, v4, 1.0
	v_mul_f32_e32 v0, v4, v0
	v_mul_f32_e32 v1, v4, v1
	v_cmp_class_f32_e64 vcc, v0, s8
	v_mul_f32_e32 v2, v4, v2
	v_cndmask_b32_e32 v0, 0, v0, vcc
	v_cmp_class_f32_e64 vcc, v1, s8
	v_mul_f32_e32 v3, v4, v3
	v_cndmask_b32_e32 v1, 0, v1, vcc
	v_cmp_class_f32_e64 vcc, v2, s8
	v_cndmask_b32_e32 v2, 0, v2, vcc
	v_cmp_class_f32_e64 vcc, v3, s8
	v_cndmask_b32_e32 v3, 0, v3, vcc
	s_cbranch_scc1 .LBB40_31
; %bb.4:
	v_lshlrev_b32_e32 v4, 2, v20
	global_load_dwordx4 v[4:7], v4, s[0:1]
	s_waitcnt vmcnt(0)
	v_pk_add_f32 v[4:5], v[4:5], v[0:1]
	v_pk_add_f32 v[6:7], v[6:7], v[2:3]
	s_cbranch_execnz .LBB40_6
.LBB40_5:
	v_pk_mov_b32 v[6:7], v[2:3], v[2:3] op_sel:[0,1]
	v_pk_mov_b32 v[4:5], v[0:1], v[0:1] op_sel:[0,1]
.LBB40_6:
	s_load_dwordx4 s[8:11], s[4:5], 0x30
	s_mov_b32 s25, 0
	v_cmp_eq_u32_e64 s[0:1], 0, v13
	s_waitcnt lgkmcnt(0)
	s_bitcmp1_b32 s11, 0
	s_cselect_b64 vcc, -1, 0
	s_cmp_gt_i32 s8, 0
	s_cselect_b64 s[20:21], -1, 0
	s_cmp_lt_i32 s8, 1
	s_cbranch_scc1 .LBB40_32
; %bb.7:
	s_load_dwordx4 s[12:15], s[4:5], 0x20
	v_mul_lo_u32 v22, v9, s8
	v_mov_b32_e32 v21, 0
	v_mov_b32_e32 v23, 0x100
	v_mov_b32_e32 v24, 0xc61c4000
	v_mov_b32_e32 v25, v9
	s_branch .LBB40_10
.LBB40_8:                               ;   in Loop: Header=BB40_10 Depth=1
	s_or_b64 exec, exec, s[4:5]
.LBB40_9:                               ;   in Loop: Header=BB40_10 Depth=1
	s_cmp_eq_u32 s8, s25
	v_add_u32_e32 v25, s24, v25
	s_cbranch_scc1 .LBB40_33
.LBB40_10:                              ; =>This Inner Loop Header: Depth=1
	v_cmp_gt_f32_e64 s[2:3], v5, v4
	v_cndmask_b32_e64 v8, v4, v5, s[2:3]
	v_cndmask_b32_e64 v10, v0, v1, s[2:3]
	s_waitcnt lgkmcnt(0)
	v_cndmask_b32_e64 v11, 0, 1, s[2:3]
	v_cmp_gt_f32_e64 s[2:3], v6, v8
	v_cndmask_b32_e64 v8, v8, v6, s[2:3]
	v_cndmask_b32_e64 v10, v10, v2, s[2:3]
	;; [unrolled: 1-line block ×3, first 2 shown]
	v_cmp_gt_f32_e64 s[2:3], v7, v8
	v_cndmask_b32_e64 v11, v11, 3, s[2:3]
	v_cndmask_b32_e64 v8, v8, v7, s[2:3]
	v_or_b32_e32 v11, v20, v11
	ds_bpermute_b32 v12, v14, v8
	ds_bpermute_b32 v26, v14, v11
	v_cndmask_b32_e64 v10, v10, v3, s[2:3]
	ds_bpermute_b32 v28, v14, v10
	s_waitcnt lgkmcnt(0)
	v_cmp_eq_f32_e64 s[4:5], v8, v12
	v_cmp_lt_i32_e64 s[6:7], v26, v11
	v_cmp_lt_f32_e64 s[2:3], v8, v12
	s_and_b64 s[4:5], s[4:5], s[6:7]
	s_or_b64 s[2:3], s[2:3], s[4:5]
	v_cndmask_b32_e64 v27, v11, v26, s[2:3]
	v_cndmask_b32_e64 v26, v8, v12, s[2:3]
	;; [unrolled: 1-line block ×3, first 2 shown]
	ds_bpermute_b32 v29, v15, v26
	ds_bpermute_b32 v12, v15, v8
	;; [unrolled: 1-line block ×3, first 2 shown]
                                        ; implicit-def: $vgpr10_vgpr11
	s_waitcnt lgkmcnt(2)
	v_cmp_lt_f32_e64 s[6:7], v26, v29
	v_cmp_nlt_f32_e64 s[2:3], v26, v29
	s_and_saveexec_b64 s[22:23], s[2:3]
	s_cbranch_execz .LBB40_12
; %bb.11:                               ;   in Loop: Header=BB40_10 Depth=1
	v_cmp_eq_f32_e64 s[2:3], v26, v29
	s_waitcnt lgkmcnt(0)
	v_cmp_lt_i32_e64 s[4:5], v28, v27
	s_and_b64 s[2:3], s[2:3], s[4:5]
	s_andn2_b64 s[4:5], s[6:7], exec
	s_and_b64 s[2:3], s[2:3], exec
	s_or_b64 s[6:7], s[4:5], s[2:3]
	v_pk_mov_b32 v[10:11], v[8:9], v[8:9] op_sel:[0,1]
.LBB40_12:                              ;   in Loop: Header=BB40_10 Depth=1
	s_or_b64 exec, exec, s[22:23]
	s_and_saveexec_b64 s[2:3], s[6:7]
	s_cbranch_execz .LBB40_14
; %bb.13:                               ;   in Loop: Header=BB40_10 Depth=1
	v_mov_b32_e32 v26, v29
	s_waitcnt lgkmcnt(1)
	v_mov_b32_e32 v8, v12
	s_waitcnt lgkmcnt(0)
	v_mov_b32_e32 v27, v28
	v_pk_mov_b32 v[10:11], v[12:13], v[12:13] op_sel:[0,1]
.LBB40_14:                              ;   in Loop: Header=BB40_10 Depth=1
	s_or_b64 exec, exec, s[2:3]
	s_waitcnt lgkmcnt(0)
	ds_bpermute_b32 v28, v16, v26
	ds_bpermute_b32 v12, v16, v8
	;; [unrolled: 1-line block ×3, first 2 shown]
	s_waitcnt lgkmcnt(2)
	v_cmp_lt_f32_e64 s[6:7], v26, v28
	v_cmp_nlt_f32_e64 s[2:3], v26, v28
	s_and_saveexec_b64 s[22:23], s[2:3]
	s_cbranch_execz .LBB40_16
; %bb.15:                               ;   in Loop: Header=BB40_10 Depth=1
	v_cmp_eq_f32_e64 s[2:3], v26, v28
	s_waitcnt lgkmcnt(0)
	v_cmp_lt_i32_e64 s[4:5], v11, v27
	s_and_b64 s[2:3], s[2:3], s[4:5]
	s_andn2_b64 s[4:5], s[6:7], exec
	s_and_b64 s[2:3], s[2:3], exec
	s_or_b64 s[6:7], s[4:5], s[2:3]
.LBB40_16:                              ;   in Loop: Header=BB40_10 Depth=1
	s_or_b64 exec, exec, s[22:23]
	s_and_saveexec_b64 s[2:3], s[6:7]
	s_cbranch_execz .LBB40_18
; %bb.17:                               ;   in Loop: Header=BB40_10 Depth=1
	v_mov_b32_e32 v26, v28
	s_waitcnt lgkmcnt(1)
	v_mov_b32_e32 v8, v12
	s_waitcnt lgkmcnt(0)
	v_mov_b32_e32 v27, v11
	v_pk_mov_b32 v[10:11], v[12:13], v[12:13] op_sel:[0,1]
.LBB40_18:                              ;   in Loop: Header=BB40_10 Depth=1
	s_or_b64 exec, exec, s[2:3]
	ds_bpermute_b32 v28, v17, v26
	s_waitcnt lgkmcnt(2)
	ds_bpermute_b32 v12, v17, v8
	s_waitcnt lgkmcnt(2)
	;; [unrolled: 2-line block ×3, first 2 shown]
	v_cmp_lt_f32_e64 s[6:7], v26, v28
	v_cmp_nlt_f32_e64 s[2:3], v26, v28
	s_and_saveexec_b64 s[22:23], s[2:3]
	s_cbranch_execz .LBB40_20
; %bb.19:                               ;   in Loop: Header=BB40_10 Depth=1
	v_cmp_eq_f32_e64 s[2:3], v26, v28
	s_waitcnt lgkmcnt(0)
	v_cmp_lt_i32_e64 s[4:5], v11, v27
	s_and_b64 s[2:3], s[2:3], s[4:5]
	s_andn2_b64 s[4:5], s[6:7], exec
	s_and_b64 s[2:3], s[2:3], exec
	s_or_b64 s[6:7], s[4:5], s[2:3]
.LBB40_20:                              ;   in Loop: Header=BB40_10 Depth=1
	s_or_b64 exec, exec, s[22:23]
	s_and_saveexec_b64 s[2:3], s[6:7]
	s_cbranch_execz .LBB40_22
; %bb.21:                               ;   in Loop: Header=BB40_10 Depth=1
	v_mov_b32_e32 v26, v28
	s_waitcnt lgkmcnt(1)
	v_mov_b32_e32 v8, v12
	s_waitcnt lgkmcnt(0)
	v_mov_b32_e32 v27, v11
	v_pk_mov_b32 v[10:11], v[12:13], v[12:13] op_sel:[0,1]
.LBB40_22:                              ;   in Loop: Header=BB40_10 Depth=1
	s_or_b64 exec, exec, s[2:3]
	ds_bpermute_b32 v28, v18, v26
	s_waitcnt lgkmcnt(2)
	ds_bpermute_b32 v12, v18, v8
	s_waitcnt lgkmcnt(2)
	;; [unrolled: 2-line block ×3, first 2 shown]
	v_cmp_lt_f32_e64 s[6:7], v26, v28
	v_cmp_nlt_f32_e64 s[2:3], v26, v28
	s_and_saveexec_b64 s[22:23], s[2:3]
	s_cbranch_execz .LBB40_24
; %bb.23:                               ;   in Loop: Header=BB40_10 Depth=1
	v_cmp_eq_f32_e64 s[2:3], v26, v28
	s_waitcnt lgkmcnt(0)
	v_cmp_lt_i32_e64 s[4:5], v11, v27
	s_and_b64 s[2:3], s[2:3], s[4:5]
	s_andn2_b64 s[4:5], s[6:7], exec
	s_and_b64 s[2:3], s[2:3], exec
	s_or_b64 s[6:7], s[4:5], s[2:3]
.LBB40_24:                              ;   in Loop: Header=BB40_10 Depth=1
	s_or_b64 exec, exec, s[22:23]
	s_and_saveexec_b64 s[2:3], s[6:7]
	s_cbranch_execz .LBB40_26
; %bb.25:                               ;   in Loop: Header=BB40_10 Depth=1
	v_mov_b32_e32 v26, v28
	s_waitcnt lgkmcnt(1)
	v_mov_b32_e32 v8, v12
	s_waitcnt lgkmcnt(0)
	v_mov_b32_e32 v27, v11
	v_pk_mov_b32 v[10:11], v[12:13], v[12:13] op_sel:[0,1]
.LBB40_26:                              ;   in Loop: Header=BB40_10 Depth=1
	s_or_b64 exec, exec, s[2:3]
	s_waitcnt lgkmcnt(1)
	ds_bpermute_b32 v12, v19, v26
	ds_bpermute_b32 v28, v19, v27
	s_waitcnt lgkmcnt(2)
	ds_bpermute_b32 v11, v19, v8
	s_waitcnt lgkmcnt(2)
	v_cmp_eq_f32_e64 s[4:5], v26, v12
	s_waitcnt lgkmcnt(1)
	v_cmp_lt_i32_e64 s[6:7], v28, v27
	v_cmp_lt_f32_e64 s[2:3], v26, v12
	s_and_b64 s[4:5], s[4:5], s[6:7]
	s_or_b64 s[2:3], s[2:3], s[4:5]
	v_cndmask_b32_e64 v8, v27, v28, s[2:3]
	s_and_saveexec_b64 s[6:7], s[0:1]
	s_cbranch_execnz .LBB40_28
; %bb.27:                               ;   in Loop: Header=BB40_10 Depth=1
	s_or_b64 exec, exec, s[6:7]
	s_add_i32 s25, s25, 1
	s_cmp_ge_i32 s25, s8
	s_cbranch_scc1 .LBB40_9
	s_branch .LBB40_29
.LBB40_28:                              ;   in Loop: Header=BB40_10 Depth=1
	s_waitcnt lgkmcnt(0)
	v_cndmask_b32_e64 v12, v10, v11, s[2:3]
	v_add_u32_e32 v10, s25, v22
	v_ashrrev_i32_e32 v11, 31, v10
	v_cmp_le_i32_e64 s[2:3], s9, v8
	v_cmp_gt_i32_e64 s[4:5], s10, v8
	v_lshlrev_b64 v[10:11], 2, v[10:11]
	s_and_b64 s[4:5], s[2:3], s[4:5]
	v_mov_b32_e32 v27, s17
	v_add_co_u32_e64 v26, s[2:3], s16, v10
	v_addc_co_u32_e64 v27, s[2:3], v27, v11, s[2:3]
	global_store_dword v[26:27], v12, off
	v_subrev_u32_e32 v26, s9, v8
	s_and_b64 s[2:3], s[18:19], s[4:5]
	v_cndmask_b32_e64 v28, v23, v26, s[2:3]
	v_mov_b32_e32 v27, s13
	v_add_co_u32_e64 v26, s[2:3], s12, v10
	v_addc_co_u32_e64 v27, s[2:3], v27, v11, s[2:3]
	global_store_dword v[26:27], v28, off
	v_mov_b32_e32 v26, s15
	v_add_co_u32_e64 v10, s[2:3], s14, v10
	v_addc_co_u32_e64 v11, s[2:3], v26, v11, s[2:3]
	global_store_dword v[10:11], v25, off
	v_add_f32_e32 v10, v21, v12
	v_cndmask_b32_e32 v21, v21, v10, vcc
	s_or_b64 exec, exec, s[6:7]
	s_add_i32 s25, s25, 1
	s_cmp_ge_i32 s25, s8
	s_cbranch_scc1 .LBB40_9
.LBB40_29:                              ;   in Loop: Header=BB40_10 Depth=1
	v_ashrrev_i32_e32 v10, 31, v8
	s_waitcnt lgkmcnt(0)
	v_lshrrev_b32_e32 v11, 30, v10
	v_add_u32_e32 v12, v8, v11
	v_ashrrev_i32_e32 v11, 2, v12
	v_ashrrev_i32_e32 v12, 31, v12
	v_lshrrev_b32_e32 v12, 26, v12
	v_add_u32_e32 v12, v11, v12
	v_and_b32_e32 v12, 0xffffffc0, v12
	v_sub_u32_e32 v12, v11, v12
	v_cmp_eq_u32_e64 s[2:3], v13, v12
	s_and_saveexec_b64 s[4:5], s[2:3]
	s_cbranch_execz .LBB40_8
; %bb.30:                               ;   in Loop: Header=BB40_10 Depth=1
	v_add_u32_sdwa v10, v8, v10 dst_sel:DWORD dst_unused:UNUSED_PAD src0_sel:DWORD src1_sel:BYTE_3
	v_lshlrev_b32_e32 v11, 2, v11
	v_ashrrev_i32_e32 v10, 8, v10
	v_sub_u32_e32 v8, v8, v11
	v_lshl_add_u32 v8, v10, 2, v8
	v_cmp_ne_u32_e64 s[2:3], 3, v8
	v_cndmask_b32_e64 v7, v24, v7, s[2:3]
	v_cmp_ne_u32_e64 s[2:3], 2, v8
	v_cndmask_b32_e64 v6, v24, v6, s[2:3]
	;; [unrolled: 2-line block ×4, first 2 shown]
	s_branch .LBB40_8
.LBB40_31:
                                        ; implicit-def: $vgpr4_vgpr5_vgpr6_vgpr7
	s_andn2_b64 vcc, exec, s[6:7]
	s_cbranch_vccz .LBB40_5
	s_branch .LBB40_6
.LBB40_32:
	v_mov_b32_e32 v21, 0
.LBB40_33:
	v_cmp_eq_u32_e64 s[0:1], 0, v13
	s_and_b64 s[0:1], s[0:1], vcc
	s_and_b64 exec, exec, s[0:1]
	s_cbranch_execz .LBB40_42
; %bb.34:
	s_andn2_b64 vcc, exec, s[20:21]
	s_cbranch_vccnz .LBB40_42
; %bb.35:
	v_cmp_lt_f32_e32 vcc, 0, v21
	s_mov_b32 s2, 0
	v_cndmask_b32_e32 v0, 1.0, v21, vcc
	v_mul_lo_u32 v4, v9, s8
	s_cmp_eq_u32 s8, 1
	s_mov_b64 s[0:1], -1
	s_cbranch_scc1 .LBB40_39
; %bb.36:
	s_and_b32 s2, s8, 0x7ffffffe
	v_mov_b32_e32 v1, v0
	v_mov_b32_e32 v5, s17
	s_mov_b32 s3, s2
	v_mov_b32_e32 v2, v4
.LBB40_37:                              ; =>This Inner Loop Header: Depth=1
	v_ashrrev_i32_e32 v3, 31, v2
	v_lshlrev_b64 v[6:7], 2, v[2:3]
	v_add_co_u32_e32 v6, vcc, s16, v6
	v_addc_co_u32_e32 v7, vcc, v5, v7, vcc
	global_load_dwordx2 v[8:9], v[6:7], off
	s_add_i32 s3, s3, -2
	s_cmp_lg_u32 s3, 0
	v_add_u32_e32 v2, 2, v2
	s_waitcnt vmcnt(0)
	v_div_scale_f32 v3, s[0:1], v1, v1, v9
	s_waitcnt lgkmcnt(0)
	v_div_scale_f32 v11, s[0:1], v0, v0, v8
	v_rcp_f32_e32 v12, v3
	v_rcp_f32_e32 v13, v11
	v_div_scale_f32 v10, vcc, v9, v1, v9
	v_fma_f32 v15, -v3, v12, 1.0
	v_fma_f32 v16, -v11, v13, 1.0
	v_fmac_f32_e32 v12, v15, v12
	v_div_scale_f32 v14, s[0:1], v8, v0, v8
	v_fmac_f32_e32 v13, v16, v13
	v_mul_f32_e32 v15, v10, v12
	v_mul_f32_e32 v16, v14, v13
	v_fma_f32 v17, -v3, v15, v10
	v_fma_f32 v18, -v11, v16, v14
	v_fmac_f32_e32 v15, v17, v12
	v_fmac_f32_e32 v16, v18, v13
	v_fma_f32 v3, -v3, v15, v10
	v_fma_f32 v10, -v11, v16, v14
	v_div_fmas_f32 v3, v3, v12, v15
	s_mov_b64 vcc, s[0:1]
	v_div_fixup_f32 v9, v3, v1, v9
	v_div_fmas_f32 v3, v10, v13, v16
	v_div_fixup_f32 v8, v3, v0, v8
	global_store_dwordx2 v[6:7], v[8:9], off
	s_cbranch_scc1 .LBB40_37
; %bb.38:
	s_cmp_lg_u32 s2, s8
	s_cselect_b64 s[0:1], -1, 0
.LBB40_39:
	s_and_b64 vcc, exec, s[0:1]
	s_cbranch_vccz .LBB40_42
; %bb.40:
	v_ashrrev_i32_e32 v1, 31, v4
	v_add_co_u32_e32 v2, vcc, s2, v4
	v_addc_co_u32_e32 v3, vcc, 0, v1, vcc
	v_lshlrev_b64 v[2:3], 2, v[2:3]
	v_mov_b32_e32 v1, s17
	v_add_co_u32_e32 v2, vcc, s16, v2
	s_sub_i32 s0, s8, s2
	v_addc_co_u32_e32 v3, vcc, v1, v3, vcc
.LBB40_41:                              ; =>This Inner Loop Header: Depth=1
	global_load_dword v1, v[2:3], off
	s_add_i32 s0, s0, -1
	s_cmp_lg_u32 s0, 0
	s_waitcnt vmcnt(0)
	v_div_scale_f32 v4, s[2:3], v0, v0, v1
	v_rcp_f32_e32 v5, v4
	v_div_scale_f32 v6, vcc, v1, v0, v1
	v_fma_f32 v7, -v4, v5, 1.0
	v_fmac_f32_e32 v5, v7, v5
	v_mul_f32_e32 v7, v6, v5
	v_fma_f32 v8, -v4, v7, v6
	v_fmac_f32_e32 v7, v8, v5
	v_fma_f32 v4, -v4, v7, v6
	v_div_fmas_f32 v4, v4, v5, v7
	v_div_fixup_f32 v1, v4, v0, v1
	global_store_dword v[2:3], v1, off
	v_add_co_u32_e32 v2, vcc, 4, v2
	v_addc_co_u32_e32 v3, vcc, 0, v3, vcc
	s_cbranch_scc1 .LBB40_41
.LBB40_42:
	s_endpgm
	.section	.rodata,"a",@progbits
	.p2align	6, 0x0
	.amdhsa_kernel _ZN4vllm3moe10topkGatingILi4ELi256ELi4ELi16ELi64EjfLNS0_11ScoringFuncE0EEEvPKT5_PKbPfiPT4_PiiiibPKf
		.amdhsa_group_segment_fixed_size 0
		.amdhsa_private_segment_fixed_size 0
		.amdhsa_kernarg_size 72
		.amdhsa_user_sgpr_count 6
		.amdhsa_user_sgpr_private_segment_buffer 1
		.amdhsa_user_sgpr_dispatch_ptr 0
		.amdhsa_user_sgpr_queue_ptr 0
		.amdhsa_user_sgpr_kernarg_segment_ptr 1
		.amdhsa_user_sgpr_dispatch_id 0
		.amdhsa_user_sgpr_flat_scratch_init 0
		.amdhsa_user_sgpr_kernarg_preload_length 0
		.amdhsa_user_sgpr_kernarg_preload_offset 0
		.amdhsa_user_sgpr_private_segment_size 0
		.amdhsa_uses_dynamic_stack 0
		.amdhsa_system_sgpr_private_segment_wavefront_offset 0
		.amdhsa_system_sgpr_workgroup_id_x 1
		.amdhsa_system_sgpr_workgroup_id_y 0
		.amdhsa_system_sgpr_workgroup_id_z 0
		.amdhsa_system_sgpr_workgroup_info 0
		.amdhsa_system_vgpr_workitem_id 1
		.amdhsa_next_free_vgpr 30
		.amdhsa_next_free_sgpr 26
		.amdhsa_accum_offset 32
		.amdhsa_reserve_vcc 1
		.amdhsa_reserve_flat_scratch 0
		.amdhsa_float_round_mode_32 0
		.amdhsa_float_round_mode_16_64 0
		.amdhsa_float_denorm_mode_32 3
		.amdhsa_float_denorm_mode_16_64 3
		.amdhsa_dx10_clamp 1
		.amdhsa_ieee_mode 1
		.amdhsa_fp16_overflow 0
		.amdhsa_tg_split 0
		.amdhsa_exception_fp_ieee_invalid_op 0
		.amdhsa_exception_fp_denorm_src 0
		.amdhsa_exception_fp_ieee_div_zero 0
		.amdhsa_exception_fp_ieee_overflow 0
		.amdhsa_exception_fp_ieee_underflow 0
		.amdhsa_exception_fp_ieee_inexact 0
		.amdhsa_exception_int_div_zero 0
	.end_amdhsa_kernel
	.section	.text._ZN4vllm3moe10topkGatingILi4ELi256ELi4ELi16ELi64EjfLNS0_11ScoringFuncE0EEEvPKT5_PKbPfiPT4_PiiiibPKf,"axG",@progbits,_ZN4vllm3moe10topkGatingILi4ELi256ELi4ELi16ELi64EjfLNS0_11ScoringFuncE0EEEvPKT5_PKbPfiPT4_PiiiibPKf,comdat
.Lfunc_end40:
	.size	_ZN4vllm3moe10topkGatingILi4ELi256ELi4ELi16ELi64EjfLNS0_11ScoringFuncE0EEEvPKT5_PKbPfiPT4_PiiiibPKf, .Lfunc_end40-_ZN4vllm3moe10topkGatingILi4ELi256ELi4ELi16ELi64EjfLNS0_11ScoringFuncE0EEEvPKT5_PKbPfiPT4_PiiiibPKf
                                        ; -- End function
	.section	.AMDGPU.csdata,"",@progbits
; Kernel info:
; codeLenInByte = 2856
; NumSgprs: 30
; NumVgprs: 30
; NumAgprs: 0
; TotalNumVgprs: 30
; ScratchSize: 0
; MemoryBound: 0
; FloatMode: 240
; IeeeMode: 1
; LDSByteSize: 0 bytes/workgroup (compile time only)
; SGPRBlocks: 3
; VGPRBlocks: 3
; NumSGPRsForWavesPerEU: 30
; NumVGPRsForWavesPerEU: 30
; AccumOffset: 32
; Occupancy: 8
; WaveLimiterHint : 0
; COMPUTE_PGM_RSRC2:SCRATCH_EN: 0
; COMPUTE_PGM_RSRC2:USER_SGPR: 6
; COMPUTE_PGM_RSRC2:TRAP_HANDLER: 0
; COMPUTE_PGM_RSRC2:TGID_X_EN: 1
; COMPUTE_PGM_RSRC2:TGID_Y_EN: 0
; COMPUTE_PGM_RSRC2:TGID_Z_EN: 0
; COMPUTE_PGM_RSRC2:TIDIG_COMP_CNT: 1
; COMPUTE_PGM_RSRC3_GFX90A:ACCUM_OFFSET: 7
; COMPUTE_PGM_RSRC3_GFX90A:TG_SPLIT: 0
	.section	.text._ZN4vllm3moe10topkGatingILi8ELi256ELi4ELi16ELi32EjfLNS0_11ScoringFuncE0EEEvPKT5_PKbPfiPT4_PiiiibPKf,"axG",@progbits,_ZN4vllm3moe10topkGatingILi8ELi256ELi4ELi16ELi32EjfLNS0_11ScoringFuncE0EEEvPKT5_PKbPfiPT4_PiiiibPKf,comdat
	.protected	_ZN4vllm3moe10topkGatingILi8ELi256ELi4ELi16ELi32EjfLNS0_11ScoringFuncE0EEEvPKT5_PKbPfiPT4_PiiiibPKf ; -- Begin function _ZN4vllm3moe10topkGatingILi8ELi256ELi4ELi16ELi32EjfLNS0_11ScoringFuncE0EEEvPKT5_PKbPfiPT4_PiiiibPKf
	.globl	_ZN4vllm3moe10topkGatingILi8ELi256ELi4ELi16ELi32EjfLNS0_11ScoringFuncE0EEEvPKT5_PKbPfiPT4_PiiiibPKf
	.p2align	8
	.type	_ZN4vllm3moe10topkGatingILi8ELi256ELi4ELi16ELi32EjfLNS0_11ScoringFuncE0EEEvPKT5_PKbPfiPT4_PiiiibPKf,@function
_ZN4vllm3moe10topkGatingILi8ELi256ELi4ELi16ELi32EjfLNS0_11ScoringFuncE0EEEvPKT5_PKbPfiPT4_PiiiibPKf: ; @_ZN4vllm3moe10topkGatingILi8ELi256ELi4ELi16ELi32EjfLNS0_11ScoringFuncE0EEEvPKT5_PKbPfiPT4_PiiiibPKf
; %bb.0:
	s_load_dword s24, s[4:5], 0x18
	v_and_b32_e32 v1, 0x3ff, v0
	s_lshl_b32 s0, s6, 2
	v_lshrrev_b32_e32 v2, 5, v1
	v_bfe_u32 v0, v0, 10, 10
	v_add3_u32 v17, s0, v0, v2
	s_waitcnt lgkmcnt(0)
	v_cmp_gt_i32_e32 vcc, s24, v17
	s_and_saveexec_b64 s[0:1], vcc
	s_cbranch_execz .LBB41_38
; %bb.1:
	s_load_dwordx4 s[0:3], s[4:5], 0x0
	s_load_dwordx2 s[16:17], s[4:5], 0x10
	s_mov_b64 s[6:7], -1
	s_mov_b64 s[18:19], -1
	s_waitcnt lgkmcnt(0)
	s_cmp_eq_u64 s[2:3], 0
	s_cbranch_scc1 .LBB41_3
; %bb.2:
	v_ashrrev_i32_e32 v0, 31, v17
	v_mov_b32_e32 v3, s3
	v_add_co_u32_e32 v2, vcc, s2, v17
	v_addc_co_u32_e32 v3, vcc, v3, v0, vcc
	global_load_ubyte v0, v[2:3], off
	s_waitcnt vmcnt(0)
	v_and_b32_e32 v0, 1, v0
	v_cmp_eq_u32_e32 vcc, 1, v0
	s_xor_b64 s[2:3], vcc, -1
	s_orn2_b64 s[18:19], s[2:3], exec
.LBB41_3:
	v_lshlrev_b32_e32 v2, 8, v17
	v_ashrrev_i32_e32 v3, 31, v2
	v_lshlrev_b64 v[2:3], 2, v[2:3]
	v_mov_b32_e32 v0, s1
	v_add_co_u32_e32 v2, vcc, s0, v2
	v_and_b32_e32 v21, 31, v1
	v_addc_co_u32_e32 v0, vcc, v0, v3, vcc
	v_lshlrev_b32_e32 v1, 4, v21
	v_add_co_u32_e32 v8, vcc, v2, v1
	v_addc_co_u32_e32 v9, vcc, 0, v0, vcc
	global_load_dwordx4 v[0:3], v[8:9], off
	global_load_dwordx4 v[4:7], v[8:9], off offset:512
	v_mbcnt_lo_u32_b32 v8, -1, 0
	v_mbcnt_hi_u32_b32 v8, -1, v8
	v_and_b32_e32 v9, 0x60, v8
	v_xor_b32_e32 v10, 16, v8
	v_add_u32_e32 v9, 32, v9
	v_cmp_lt_i32_e32 vcc, v10, v9
	v_cndmask_b32_e32 v10, v8, v10, vcc
	v_lshlrev_b32_e32 v22, 2, v10
	v_xor_b32_e32 v13, 8, v8
	v_cmp_lt_i32_e32 vcc, v13, v9
	v_cndmask_b32_e32 v13, v8, v13, vcc
	v_lshlrev_b32_e32 v23, 2, v13
	v_xor_b32_e32 v13, 4, v8
	;; [unrolled: 4-line block ×4, first 2 shown]
	v_cmp_lt_i32_e32 vcc, v13, v9
	v_cndmask_b32_e32 v8, v8, v13, vcc
	v_lshlrev_b32_e32 v26, 2, v8
	s_mov_b32 s2, 0x3fb8aa3b
	s_mov_b32 s0, 0xc2ce8ed0
	;; [unrolled: 1-line block ×3, first 2 shown]
	v_mov_b32_e32 v12, 0x7f800000
	s_waitcnt vmcnt(1)
	v_max_f32_e32 v10, v1, v1
	v_max_f32_e32 v11, v0, v0
	;; [unrolled: 1-line block ×3, first 2 shown]
	v_max3_f32 v10, v10, v2, v3
	s_waitcnt vmcnt(0)
	v_max3_f32 v10, v10, v4, v5
	v_max3_f32 v10, v10, v6, v7
	ds_bpermute_b32 v11, v22, v10
	v_mov_b32_e32 v9, v6
	s_waitcnt lgkmcnt(0)
	v_max_f32_e32 v11, v11, v11
	v_max_f32_e32 v10, v10, v11
	ds_bpermute_b32 v11, v23, v10
	s_waitcnt lgkmcnt(0)
	v_max_f32_e32 v11, v11, v11
	v_max_f32_e32 v10, v10, v11
	ds_bpermute_b32 v11, v24, v10
	;; [unrolled: 4-line block ×4, first 2 shown]
	v_mov_b32_e32 v10, v3
	v_mov_b32_e32 v11, v4
	;; [unrolled: 1-line block ×3, first 2 shown]
	s_waitcnt lgkmcnt(0)
	v_max_f32_e32 v3, v14, v14
	v_max_f32_e32 v4, v13, v3
	v_sub_f32_e32 v3, v0, v4
	v_sub_f32_e32 v5, v1, v4
	;; [unrolled: 1-line block ×3, first 2 shown]
	v_mul_f32_e32 v7, 0x3fb8aa3b, v3
	v_sub_f32_e32 v2, v2, v4
	v_pk_add_f32 v[0:1], v[8:9], v[4:5] op_sel_hi:[1,0] neg_lo:[0,1] neg_hi:[0,1]
	v_mul_f32_e32 v8, 0x3fb8aa3b, v5
	v_fma_f32 v16, v3, s2, -v7
	v_rndne_f32_e32 v18, v7
	v_mul_f32_e32 v9, 0x3fb8aa3b, v2
	v_fma_f32 v19, v5, s2, -v8
	v_rndne_f32_e32 v20, v8
	v_fmac_f32_e32 v16, 0x32a5705f, v3
	v_sub_f32_e32 v7, v7, v18
	v_mul_f32_e32 v13, 0x3fb8aa3b, v1
	v_fma_f32 v27, v2, s2, -v9
	v_rndne_f32_e32 v28, v9
	v_fmac_f32_e32 v19, 0x32a5705f, v5
	v_sub_f32_e32 v8, v8, v20
	v_add_f32_e32 v7, v7, v16
	v_fma_f32 v29, v1, s2, -v13
	v_rndne_f32_e32 v30, v13
	v_cvt_i32_f32_e32 v18, v18
	v_fmac_f32_e32 v27, 0x32a5705f, v2
	v_sub_f32_e32 v9, v9, v28
	v_add_f32_e32 v8, v8, v19
	v_exp_f32_e32 v7, v7
	v_cvt_i32_f32_e32 v20, v20
	v_fmac_f32_e32 v29, 0x32a5705f, v1
	v_sub_f32_e32 v13, v13, v30
	v_add_f32_e32 v9, v9, v27
	v_exp_f32_e32 v8, v8
	v_cvt_i32_f32_e32 v28, v28
	v_add_f32_e32 v13, v13, v29
	v_exp_f32_e32 v9, v9
	v_cvt_i32_f32_e32 v30, v30
	v_exp_f32_e32 v13, v13
	v_ldexp_f32 v7, v7, v18
	v_cmp_ngt_f32_e32 vcc, s0, v3
	v_ldexp_f32 v8, v8, v20
	v_cndmask_b32_e32 v7, 0, v7, vcc
	v_cmp_ngt_f32_e32 vcc, s0, v5
	v_ldexp_f32 v9, v9, v28
	v_cndmask_b32_e32 v8, 0, v8, vcc
	;; [unrolled: 3-line block ×3, first 2 shown]
	v_cmp_ngt_f32_e32 vcc, s0, v1
	v_cndmask_b32_e32 v13, 0, v13, vcc
	v_cmp_nlt_f32_e32 vcc, s1, v3
	v_mul_f32_e32 v14, 0x3fb8aa3b, v0
	v_cndmask_b32_e32 v7, v12, v7, vcc
	v_cmp_nlt_f32_e32 vcc, s1, v5
	v_fma_f32 v31, v0, s2, -v14
	v_rndne_f32_e32 v32, v14
	v_cndmask_b32_e32 v5, v12, v8, vcc
	v_cmp_nlt_f32_e32 vcc, s1, v2
	v_mul_f32_e32 v15, 0x3fb8aa3b, v6
	v_fmac_f32_e32 v31, 0x32a5705f, v0
	v_sub_f32_e32 v14, v14, v32
	v_cndmask_b32_e32 v8, v12, v9, vcc
	v_add_f32_e32 v2, v7, v5
	v_fma_f32 v33, v6, s2, -v15
	v_add_f32_e32 v14, v14, v31
	v_add_f32_e32 v9, v2, v8
	v_rndne_f32_e32 v2, v15
	v_cvt_i32_f32_e32 v32, v32
	v_exp_f32_e32 v14, v14
	v_fmac_f32_e32 v33, 0x32a5705f, v6
	v_sub_f32_e32 v3, v15, v2
	v_add_f32_e32 v3, v3, v33
	v_exp_f32_e32 v3, v3
	v_cvt_i32_f32_e32 v2, v2
	v_cmp_nlt_f32_e32 vcc, s1, v1
	v_ldexp_f32 v14, v14, v32
	v_cndmask_b32_e32 v1, v12, v13, vcc
	v_cmp_ngt_f32_e32 vcc, s0, v0
	v_cndmask_b32_e32 v13, 0, v14, vcc
	v_cmp_nlt_f32_e32 vcc, s1, v0
	v_cndmask_b32_e32 v0, v12, v13, vcc
	v_ldexp_f32 v13, v3, v2
	v_pk_add_f32 v[2:3], v[10:11], v[4:5] op_sel_hi:[1,0] neg_lo:[0,1] neg_hi:[0,1]
	v_mul_f32_e32 v4, 0x3fb8aa3b, v3
	v_fma_f32 v10, v3, s2, -v4
	v_rndne_f32_e32 v11, v4
	v_fmac_f32_e32 v10, 0x32a5705f, v3
	v_sub_f32_e32 v4, v4, v11
	v_add_f32_e32 v4, v4, v10
	v_exp_f32_e32 v4, v4
	v_cvt_i32_f32_e32 v10, v11
	v_cmp_ngt_f32_e32 vcc, s0, v6
	v_cndmask_b32_e32 v11, 0, v13, vcc
	v_cmp_nlt_f32_e32 vcc, s1, v6
	v_mul_f32_e32 v6, 0x3fb8aa3b, v2
	v_ldexp_f32 v4, v4, v10
	v_fma_f32 v10, v2, s2, -v6
	v_rndne_f32_e32 v13, v6
	v_fmac_f32_e32 v10, 0x32a5705f, v2
	v_sub_f32_e32 v6, v6, v13
	v_add_f32_e32 v6, v6, v10
	v_exp_f32_e32 v6, v6
	v_cvt_i32_f32_e32 v10, v13
	v_cndmask_b32_e32 v11, v12, v11, vcc
	v_cmp_ngt_f32_e32 vcc, s0, v3
	v_cndmask_b32_e32 v4, 0, v4, vcc
	v_cmp_nlt_f32_e32 vcc, s1, v3
	v_cndmask_b32_e32 v3, v12, v4, vcc
	v_ldexp_f32 v4, v6, v10
	v_cmp_ngt_f32_e32 vcc, s0, v2
	v_cndmask_b32_e32 v4, 0, v4, vcc
	v_cmp_nlt_f32_e32 vcc, s1, v2
	v_cndmask_b32_e32 v2, v12, v4, vcc
	v_add_f32_e32 v4, v9, v2
	v_add_f32_e32 v4, v4, v3
	;; [unrolled: 1-line block ×5, first 2 shown]
	ds_bpermute_b32 v6, v22, v4
	s_movk_i32 s2, 0x1f8
	v_lshlrev_b32_e32 v27, 2, v21
	s_waitcnt lgkmcnt(0)
	v_add_f32_e32 v4, v4, v6
	ds_bpermute_b32 v6, v23, v4
	s_waitcnt lgkmcnt(0)
	v_add_f32_e32 v4, v4, v6
	ds_bpermute_b32 v6, v24, v4
	;; [unrolled: 3-line block ×4, first 2 shown]
	s_waitcnt lgkmcnt(0)
	v_add_f32_e32 v4, v4, v6
	v_div_scale_f32 v6, s[0:1], v4, v4, 1.0
	v_rcp_f32_e32 v9, v6
	s_load_dwordx2 s[0:1], s[4:5], 0x40
	v_fma_f32 v10, -v6, v9, 1.0
	v_fmac_f32_e32 v9, v10, v9
	v_div_scale_f32 v10, vcc, 1.0, v4, 1.0
	v_mul_f32_e32 v12, v10, v9
	v_fma_f32 v13, -v6, v12, v10
	v_fmac_f32_e32 v12, v13, v9
	v_fma_f32 v6, -v6, v12, v10
	v_div_fmas_f32 v6, v6, v9, v12
	v_div_fixup_f32 v4, v6, v4, 1.0
	v_mul_f32_e32 v10, v4, v7
	v_mul_f32_e32 v5, v4, v5
	v_cmp_class_f32_e64 vcc, v10, s2
	v_mul_f32_e32 v12, v4, v8
	v_pk_mul_f32 v[8:9], v[4:5], v[0:1] op_sel_hi:[0,1]
	v_cndmask_b32_e32 v0, 0, v10, vcc
	v_cmp_class_f32_e64 vcc, v5, s2
	v_pk_mul_f32 v[6:7], v[4:5], v[2:3] op_sel_hi:[0,1]
	v_cndmask_b32_e32 v1, 0, v5, vcc
	v_cmp_class_f32_e64 vcc, v12, s2
	v_mov_b32_e32 v5, 0x207
	v_cndmask_b32_e32 v2, 0, v12, vcc
	v_cmp_class_f32_e32 vcc, v7, v5
	v_mul_f32_e32 v11, v4, v11
	v_cndmask_b32_e64 v4, v7, 0, vcc
	v_cmp_class_f32_e32 vcc, v6, v5
	v_cndmask_b32_e64 v3, v6, 0, vcc
	v_cmp_class_f32_e32 vcc, v9, v5
	;; [unrolled: 2-line block ×3, first 2 shown]
	v_cndmask_b32_e64 v5, v8, 0, vcc
	v_cmp_class_f32_e64 vcc, v11, s2
	s_waitcnt lgkmcnt(0)
	s_cmp_eq_u64 s[0:1], 0
	v_cndmask_b32_e32 v7, 0, v11, vcc
	s_cbranch_scc1 .LBB41_27
; %bb.4:
	v_lshlrev_b32_e32 v16, 2, v27
	global_load_dwordx4 v[8:11], v16, s[0:1]
	global_load_dwordx4 v[12:15], v16, s[0:1] offset:512
	s_waitcnt vmcnt(1)
	v_pk_add_f32 v[8:9], v[8:9], v[0:1]
	v_pk_add_f32 v[10:11], v[10:11], v[2:3]
	s_waitcnt vmcnt(0)
	v_pk_add_f32 v[12:13], v[12:13], v[4:5]
	v_pk_add_f32 v[14:15], v[14:15], v[6:7]
	s_cbranch_execnz .LBB41_6
.LBB41_5:
	v_pk_mov_b32 v[14:15], v[6:7], v[6:7] op_sel:[0,1]
	v_pk_mov_b32 v[12:13], v[4:5], v[4:5] op_sel:[0,1]
	;; [unrolled: 1-line block ×4, first 2 shown]
.LBB41_6:
	s_load_dwordx4 s[8:11], s[4:5], 0x30
	s_mov_b32 s25, 0
	v_cmp_eq_u32_e64 s[0:1], 0, v21
	s_waitcnt lgkmcnt(0)
	s_bitcmp1_b32 s11, 0
	s_cselect_b64 vcc, -1, 0
	s_cmp_gt_i32 s8, 0
	s_cselect_b64 s[20:21], -1, 0
	s_cmp_lt_i32 s8, 1
	s_cbranch_scc1 .LBB41_28
; %bb.7:
	s_load_dwordx4 s[12:15], s[4:5], 0x20
	v_mul_lo_u32 v29, v17, s8
	v_mov_b32_e32 v28, 0
	v_mov_b32_e32 v30, 0x80
	;; [unrolled: 1-line block ×8, first 2 shown]
	s_branch .LBB41_10
.LBB41_8:                               ;   in Loop: Header=BB41_10 Depth=1
	s_or_b64 exec, exec, s[4:5]
.LBB41_9:                               ;   in Loop: Header=BB41_10 Depth=1
	s_cmp_eq_u32 s8, s25
	v_add_u32_e32 v36, s24, v36
	s_cbranch_scc1 .LBB41_29
.LBB41_10:                              ; =>This Inner Loop Header: Depth=1
	v_cmp_gt_f32_e64 s[2:3], v9, v8
	v_cndmask_b32_e64 v16, v8, v9, s[2:3]
	v_cndmask_b32_e64 v18, v0, v1, s[2:3]
	s_waitcnt lgkmcnt(0)
	v_cndmask_b32_e64 v19, 0, 1, s[2:3]
	v_cmp_gt_f32_e64 s[2:3], v10, v16
	v_cndmask_b32_e64 v16, v16, v10, s[2:3]
	v_cndmask_b32_e64 v18, v18, v2, s[2:3]
	v_cndmask_b32_e64 v19, v19, 2, s[2:3]
	v_cmp_gt_f32_e64 s[2:3], v11, v16
	v_cndmask_b32_e64 v16, v16, v11, s[2:3]
	v_cndmask_b32_e64 v18, v18, v3, s[2:3]
	;; [unrolled: 4-line block ×6, first 2 shown]
	v_or_b32_e32 v19, v27, v19
	ds_bpermute_b32 v20, v22, v16
	ds_bpermute_b32 v37, v22, v19
	v_cndmask_b32_e64 v18, v18, v7, s[2:3]
	ds_bpermute_b32 v39, v22, v18
	s_waitcnt lgkmcnt(0)
	v_cmp_eq_f32_e64 s[4:5], v16, v20
	v_cmp_lt_i32_e64 s[6:7], v37, v19
	v_cmp_lt_f32_e64 s[2:3], v16, v20
	s_and_b64 s[4:5], s[4:5], s[6:7]
	s_or_b64 s[2:3], s[2:3], s[4:5]
	v_cndmask_b32_e64 v38, v19, v37, s[2:3]
	v_cndmask_b32_e64 v37, v16, v20, s[2:3]
	;; [unrolled: 1-line block ×3, first 2 shown]
	ds_bpermute_b32 v40, v23, v37
	ds_bpermute_b32 v20, v23, v16
	;; [unrolled: 1-line block ×3, first 2 shown]
                                        ; implicit-def: $vgpr18_vgpr19
	s_waitcnt lgkmcnt(2)
	v_cmp_lt_f32_e64 s[6:7], v37, v40
	v_cmp_nlt_f32_e64 s[2:3], v37, v40
	s_and_saveexec_b64 s[22:23], s[2:3]
	s_cbranch_execz .LBB41_12
; %bb.11:                               ;   in Loop: Header=BB41_10 Depth=1
	v_cmp_eq_f32_e64 s[2:3], v37, v40
	s_waitcnt lgkmcnt(0)
	v_cmp_lt_i32_e64 s[4:5], v39, v38
	s_and_b64 s[2:3], s[2:3], s[4:5]
	s_andn2_b64 s[4:5], s[6:7], exec
	s_and_b64 s[2:3], s[2:3], exec
	s_or_b64 s[6:7], s[4:5], s[2:3]
	v_pk_mov_b32 v[18:19], v[16:17], v[16:17] op_sel:[0,1]
.LBB41_12:                              ;   in Loop: Header=BB41_10 Depth=1
	s_or_b64 exec, exec, s[22:23]
	s_and_saveexec_b64 s[2:3], s[6:7]
	s_cbranch_execz .LBB41_14
; %bb.13:                               ;   in Loop: Header=BB41_10 Depth=1
	v_mov_b32_e32 v37, v40
	s_waitcnt lgkmcnt(1)
	v_mov_b32_e32 v16, v20
	s_waitcnt lgkmcnt(0)
	v_mov_b32_e32 v38, v39
	v_pk_mov_b32 v[18:19], v[20:21], v[20:21] op_sel:[0,1]
.LBB41_14:                              ;   in Loop: Header=BB41_10 Depth=1
	s_or_b64 exec, exec, s[2:3]
	s_waitcnt lgkmcnt(0)
	ds_bpermute_b32 v39, v24, v37
	ds_bpermute_b32 v20, v24, v16
	;; [unrolled: 1-line block ×3, first 2 shown]
	s_waitcnt lgkmcnt(2)
	v_cmp_lt_f32_e64 s[6:7], v37, v39
	v_cmp_nlt_f32_e64 s[2:3], v37, v39
	s_and_saveexec_b64 s[22:23], s[2:3]
	s_cbranch_execz .LBB41_16
; %bb.15:                               ;   in Loop: Header=BB41_10 Depth=1
	v_cmp_eq_f32_e64 s[2:3], v37, v39
	s_waitcnt lgkmcnt(0)
	v_cmp_lt_i32_e64 s[4:5], v19, v38
	s_and_b64 s[2:3], s[2:3], s[4:5]
	s_andn2_b64 s[4:5], s[6:7], exec
	s_and_b64 s[2:3], s[2:3], exec
	s_or_b64 s[6:7], s[4:5], s[2:3]
.LBB41_16:                              ;   in Loop: Header=BB41_10 Depth=1
	s_or_b64 exec, exec, s[22:23]
	s_and_saveexec_b64 s[2:3], s[6:7]
	s_cbranch_execz .LBB41_18
; %bb.17:                               ;   in Loop: Header=BB41_10 Depth=1
	v_mov_b32_e32 v37, v39
	s_waitcnt lgkmcnt(1)
	v_mov_b32_e32 v16, v20
	s_waitcnt lgkmcnt(0)
	v_mov_b32_e32 v38, v19
	v_pk_mov_b32 v[18:19], v[20:21], v[20:21] op_sel:[0,1]
.LBB41_18:                              ;   in Loop: Header=BB41_10 Depth=1
	s_or_b64 exec, exec, s[2:3]
	ds_bpermute_b32 v39, v25, v37
	s_waitcnt lgkmcnt(2)
	ds_bpermute_b32 v20, v25, v16
	s_waitcnt lgkmcnt(2)
	;; [unrolled: 2-line block ×3, first 2 shown]
	v_cmp_lt_f32_e64 s[6:7], v37, v39
	v_cmp_nlt_f32_e64 s[2:3], v37, v39
	s_and_saveexec_b64 s[22:23], s[2:3]
	s_cbranch_execz .LBB41_20
; %bb.19:                               ;   in Loop: Header=BB41_10 Depth=1
	v_cmp_eq_f32_e64 s[2:3], v37, v39
	s_waitcnt lgkmcnt(0)
	v_cmp_lt_i32_e64 s[4:5], v19, v38
	s_and_b64 s[2:3], s[2:3], s[4:5]
	s_andn2_b64 s[4:5], s[6:7], exec
	s_and_b64 s[2:3], s[2:3], exec
	s_or_b64 s[6:7], s[4:5], s[2:3]
.LBB41_20:                              ;   in Loop: Header=BB41_10 Depth=1
	s_or_b64 exec, exec, s[22:23]
	s_and_saveexec_b64 s[2:3], s[6:7]
	s_cbranch_execz .LBB41_22
; %bb.21:                               ;   in Loop: Header=BB41_10 Depth=1
	v_mov_b32_e32 v37, v39
	s_waitcnt lgkmcnt(1)
	v_mov_b32_e32 v16, v20
	s_waitcnt lgkmcnt(0)
	v_mov_b32_e32 v38, v19
	v_pk_mov_b32 v[18:19], v[20:21], v[20:21] op_sel:[0,1]
.LBB41_22:                              ;   in Loop: Header=BB41_10 Depth=1
	s_or_b64 exec, exec, s[2:3]
	s_waitcnt lgkmcnt(1)
	ds_bpermute_b32 v20, v26, v37
	ds_bpermute_b32 v39, v26, v38
	s_waitcnt lgkmcnt(2)
	ds_bpermute_b32 v19, v26, v16
	s_waitcnt lgkmcnt(2)
	v_cmp_eq_f32_e64 s[4:5], v37, v20
	s_waitcnt lgkmcnt(1)
	v_cmp_lt_i32_e64 s[6:7], v39, v38
	v_cmp_lt_f32_e64 s[2:3], v37, v20
	s_and_b64 s[4:5], s[4:5], s[6:7]
	s_or_b64 s[2:3], s[2:3], s[4:5]
	v_cndmask_b32_e64 v16, v38, v39, s[2:3]
	s_and_saveexec_b64 s[6:7], s[0:1]
	s_cbranch_execnz .LBB41_24
; %bb.23:                               ;   in Loop: Header=BB41_10 Depth=1
	s_or_b64 exec, exec, s[6:7]
	s_add_i32 s25, s25, 1
	s_cmp_ge_i32 s25, s8
	s_cbranch_scc1 .LBB41_9
	s_branch .LBB41_25
.LBB41_24:                              ;   in Loop: Header=BB41_10 Depth=1
	s_waitcnt lgkmcnt(0)
	v_cndmask_b32_e64 v20, v18, v19, s[2:3]
	v_add_u32_e32 v18, s25, v29
	v_ashrrev_i32_e32 v19, 31, v18
	v_cmp_le_i32_e64 s[2:3], s9, v16
	v_cmp_gt_i32_e64 s[4:5], s10, v16
	v_lshlrev_b64 v[18:19], 2, v[18:19]
	s_and_b64 s[4:5], s[2:3], s[4:5]
	v_mov_b32_e32 v37, s17
	v_add_co_u32_e64 v38, s[2:3], s16, v18
	v_addc_co_u32_e64 v39, s[2:3], v37, v19, s[2:3]
	v_subrev_u32_e32 v37, s9, v16
	s_and_b64 s[2:3], s[18:19], s[4:5]
	global_store_dword v[38:39], v20, off
	v_cndmask_b32_e64 v37, v34, v37, s[2:3]
	v_mov_b32_e32 v39, s13
	v_add_co_u32_e64 v38, s[2:3], s12, v18
	v_addc_co_u32_e64 v39, s[2:3], v39, v19, s[2:3]
	global_store_dword v[38:39], v37, off
	v_mov_b32_e32 v37, s15
	v_add_co_u32_e64 v18, s[2:3], s14, v18
	v_addc_co_u32_e64 v19, s[2:3], v37, v19, s[2:3]
	global_store_dword v[18:19], v36, off
	v_add_f32_e32 v18, v28, v20
	v_cndmask_b32_e32 v28, v28, v18, vcc
	s_or_b64 exec, exec, s[6:7]
	s_add_i32 s25, s25, 1
	s_cmp_ge_i32 s25, s8
	s_cbranch_scc1 .LBB41_9
.LBB41_25:                              ;   in Loop: Header=BB41_10 Depth=1
	s_waitcnt lgkmcnt(0)
	v_ashrrev_i32_e32 v19, 31, v16
	v_lshrrev_b32_e32 v18, 30, v19
	v_add_u32_e32 v20, v16, v18
	v_ashrrev_i32_e32 v18, 2, v20
	v_ashrrev_i32_e32 v20, 31, v20
	v_lshrrev_b32_e32 v20, 27, v20
	v_add_u32_e32 v20, v18, v20
	v_and_b32_e32 v20, 0xffffffe0, v20
	v_sub_u32_e32 v20, v18, v20
	v_cmp_eq_u32_e64 s[2:3], v21, v20
	s_and_saveexec_b64 s[4:5], s[2:3]
	s_cbranch_execz .LBB41_8
; %bb.26:                               ;   in Loop: Header=BB41_10 Depth=1
	v_lshrrev_b32_e32 v19, 25, v19
	v_add_u32_e32 v19, v16, v19
	v_lshlrev_b32_e32 v18, 2, v18
	v_ashrrev_i32_e32 v19, 7, v19
	v_sub_u32_e32 v16, v16, v18
	v_lshl_add_u32 v16, v19, 2, v16
	v_cmp_ne_u32_e64 s[2:3], 7, v16
	v_cndmask_b32_e64 v15, v35, v15, s[2:3]
	v_cmp_ne_u32_e64 s[2:3], 6, v16
	v_cndmask_b32_e64 v14, v35, v14, s[2:3]
	;; [unrolled: 2-line block ×8, first 2 shown]
	s_branch .LBB41_8
.LBB41_27:
                                        ; implicit-def: $vgpr8_vgpr9_vgpr10_vgpr11_vgpr12_vgpr13_vgpr14_vgpr15
	s_andn2_b64 vcc, exec, s[6:7]
	s_cbranch_vccz .LBB41_5
	s_branch .LBB41_6
.LBB41_28:
	v_mov_b32_e32 v28, 0
.LBB41_29:
	v_cmp_eq_u32_e64 s[0:1], 0, v21
	s_and_b64 s[0:1], s[0:1], vcc
	s_and_b64 exec, exec, s[0:1]
	s_cbranch_execz .LBB41_38
; %bb.30:
	s_andn2_b64 vcc, exec, s[20:21]
	s_cbranch_vccnz .LBB41_38
; %bb.31:
	v_cmp_lt_f32_e32 vcc, 0, v28
	s_mov_b32 s2, 0
	v_cndmask_b32_e32 v0, 1.0, v28, vcc
	v_mul_lo_u32 v4, v17, s8
	s_cmp_eq_u32 s8, 1
	s_mov_b64 s[0:1], -1
	s_cbranch_scc1 .LBB41_35
; %bb.32:
	s_and_b32 s2, s8, 0x7ffffffe
	v_mov_b32_e32 v1, v0
	v_mov_b32_e32 v5, s17
	s_mov_b32 s3, s2
	v_mov_b32_e32 v2, v4
.LBB41_33:                              ; =>This Inner Loop Header: Depth=1
	v_ashrrev_i32_e32 v3, 31, v2
	v_lshlrev_b64 v[6:7], 2, v[2:3]
	v_add_co_u32_e32 v6, vcc, s16, v6
	v_addc_co_u32_e32 v7, vcc, v5, v7, vcc
	global_load_dwordx2 v[8:9], v[6:7], off
	s_add_i32 s3, s3, -2
	s_cmp_lg_u32 s3, 0
	v_add_u32_e32 v2, 2, v2
	s_waitcnt vmcnt(0)
	v_div_scale_f32 v3, s[0:1], v1, v1, v9
	v_div_scale_f32 v11, s[0:1], v0, v0, v8
	v_rcp_f32_e32 v12, v3
	v_rcp_f32_e32 v13, v11
	v_div_scale_f32 v10, vcc, v9, v1, v9
	v_fma_f32 v15, -v3, v12, 1.0
	v_fma_f32 v16, -v11, v13, 1.0
	v_fmac_f32_e32 v12, v15, v12
	v_div_scale_f32 v14, s[0:1], v8, v0, v8
	v_fmac_f32_e32 v13, v16, v13
	v_mul_f32_e32 v15, v10, v12
	v_mul_f32_e32 v16, v14, v13
	v_fma_f32 v17, -v3, v15, v10
	v_fma_f32 v18, -v11, v16, v14
	v_fmac_f32_e32 v15, v17, v12
	v_fmac_f32_e32 v16, v18, v13
	v_fma_f32 v3, -v3, v15, v10
	v_fma_f32 v10, -v11, v16, v14
	v_div_fmas_f32 v3, v3, v12, v15
	s_mov_b64 vcc, s[0:1]
	v_div_fixup_f32 v9, v3, v1, v9
	v_div_fmas_f32 v3, v10, v13, v16
	v_div_fixup_f32 v8, v3, v0, v8
	global_store_dwordx2 v[6:7], v[8:9], off
	s_cbranch_scc1 .LBB41_33
; %bb.34:
	s_cmp_lg_u32 s2, s8
	s_cselect_b64 s[0:1], -1, 0
.LBB41_35:
	s_and_b64 vcc, exec, s[0:1]
	s_cbranch_vccz .LBB41_38
; %bb.36:
	v_ashrrev_i32_e32 v1, 31, v4
	v_add_co_u32_e32 v2, vcc, s2, v4
	v_addc_co_u32_e32 v3, vcc, 0, v1, vcc
	v_lshlrev_b64 v[2:3], 2, v[2:3]
	v_mov_b32_e32 v1, s17
	v_add_co_u32_e32 v2, vcc, s16, v2
	s_sub_i32 s0, s8, s2
	v_addc_co_u32_e32 v3, vcc, v1, v3, vcc
.LBB41_37:                              ; =>This Inner Loop Header: Depth=1
	global_load_dword v1, v[2:3], off
	s_add_i32 s0, s0, -1
	s_cmp_lg_u32 s0, 0
	s_waitcnt vmcnt(0)
	v_div_scale_f32 v4, s[2:3], v0, v0, v1
	v_rcp_f32_e32 v5, v4
	v_div_scale_f32 v6, vcc, v1, v0, v1
	v_fma_f32 v7, -v4, v5, 1.0
	v_fmac_f32_e32 v5, v7, v5
	v_mul_f32_e32 v7, v6, v5
	v_fma_f32 v8, -v4, v7, v6
	v_fmac_f32_e32 v7, v8, v5
	v_fma_f32 v4, -v4, v7, v6
	v_div_fmas_f32 v4, v4, v5, v7
	v_div_fixup_f32 v1, v4, v0, v1
	global_store_dword v[2:3], v1, off
	v_add_co_u32_e32 v2, vcc, 4, v2
	v_addc_co_u32_e32 v3, vcc, 0, v3, vcc
	s_cbranch_scc1 .LBB41_37
.LBB41_38:
	s_endpgm
	.section	.rodata,"a",@progbits
	.p2align	6, 0x0
	.amdhsa_kernel _ZN4vllm3moe10topkGatingILi8ELi256ELi4ELi16ELi32EjfLNS0_11ScoringFuncE0EEEvPKT5_PKbPfiPT4_PiiiibPKf
		.amdhsa_group_segment_fixed_size 0
		.amdhsa_private_segment_fixed_size 0
		.amdhsa_kernarg_size 72
		.amdhsa_user_sgpr_count 6
		.amdhsa_user_sgpr_private_segment_buffer 1
		.amdhsa_user_sgpr_dispatch_ptr 0
		.amdhsa_user_sgpr_queue_ptr 0
		.amdhsa_user_sgpr_kernarg_segment_ptr 1
		.amdhsa_user_sgpr_dispatch_id 0
		.amdhsa_user_sgpr_flat_scratch_init 0
		.amdhsa_user_sgpr_kernarg_preload_length 0
		.amdhsa_user_sgpr_kernarg_preload_offset 0
		.amdhsa_user_sgpr_private_segment_size 0
		.amdhsa_uses_dynamic_stack 0
		.amdhsa_system_sgpr_private_segment_wavefront_offset 0
		.amdhsa_system_sgpr_workgroup_id_x 1
		.amdhsa_system_sgpr_workgroup_id_y 0
		.amdhsa_system_sgpr_workgroup_id_z 0
		.amdhsa_system_sgpr_workgroup_info 0
		.amdhsa_system_vgpr_workitem_id 1
		.amdhsa_next_free_vgpr 41
		.amdhsa_next_free_sgpr 26
		.amdhsa_accum_offset 44
		.amdhsa_reserve_vcc 1
		.amdhsa_reserve_flat_scratch 0
		.amdhsa_float_round_mode_32 0
		.amdhsa_float_round_mode_16_64 0
		.amdhsa_float_denorm_mode_32 3
		.amdhsa_float_denorm_mode_16_64 3
		.amdhsa_dx10_clamp 1
		.amdhsa_ieee_mode 1
		.amdhsa_fp16_overflow 0
		.amdhsa_tg_split 0
		.amdhsa_exception_fp_ieee_invalid_op 0
		.amdhsa_exception_fp_denorm_src 0
		.amdhsa_exception_fp_ieee_div_zero 0
		.amdhsa_exception_fp_ieee_overflow 0
		.amdhsa_exception_fp_ieee_underflow 0
		.amdhsa_exception_fp_ieee_inexact 0
		.amdhsa_exception_int_div_zero 0
	.end_amdhsa_kernel
	.section	.text._ZN4vllm3moe10topkGatingILi8ELi256ELi4ELi16ELi32EjfLNS0_11ScoringFuncE0EEEvPKT5_PKbPfiPT4_PiiiibPKf,"axG",@progbits,_ZN4vllm3moe10topkGatingILi8ELi256ELi4ELi16ELi32EjfLNS0_11ScoringFuncE0EEEvPKT5_PKbPfiPT4_PiiiibPKf,comdat
.Lfunc_end41:
	.size	_ZN4vllm3moe10topkGatingILi8ELi256ELi4ELi16ELi32EjfLNS0_11ScoringFuncE0EEEvPKT5_PKbPfiPT4_PiiiibPKf, .Lfunc_end41-_ZN4vllm3moe10topkGatingILi8ELi256ELi4ELi16ELi32EjfLNS0_11ScoringFuncE0EEEvPKT5_PKbPfiPT4_PiiiibPKf
                                        ; -- End function
	.section	.AMDGPU.csdata,"",@progbits
; Kernel info:
; codeLenInByte = 3356
; NumSgprs: 30
; NumVgprs: 41
; NumAgprs: 0
; TotalNumVgprs: 41
; ScratchSize: 0
; MemoryBound: 0
; FloatMode: 240
; IeeeMode: 1
; LDSByteSize: 0 bytes/workgroup (compile time only)
; SGPRBlocks: 3
; VGPRBlocks: 5
; NumSGPRsForWavesPerEU: 30
; NumVGPRsForWavesPerEU: 41
; AccumOffset: 44
; Occupancy: 8
; WaveLimiterHint : 1
; COMPUTE_PGM_RSRC2:SCRATCH_EN: 0
; COMPUTE_PGM_RSRC2:USER_SGPR: 6
; COMPUTE_PGM_RSRC2:TRAP_HANDLER: 0
; COMPUTE_PGM_RSRC2:TGID_X_EN: 1
; COMPUTE_PGM_RSRC2:TGID_Y_EN: 0
; COMPUTE_PGM_RSRC2:TGID_Z_EN: 0
; COMPUTE_PGM_RSRC2:TIDIG_COMP_CNT: 1
; COMPUTE_PGM_RSRC3_GFX90A:ACCUM_OFFSET: 10
; COMPUTE_PGM_RSRC3_GFX90A:TG_SPLIT: 0
	.section	.text._ZN4vllm3moe10topkGatingILi8ELi512ELi4ELi16ELi64EjfLNS0_11ScoringFuncE0EEEvPKT5_PKbPfiPT4_PiiiibPKf,"axG",@progbits,_ZN4vllm3moe10topkGatingILi8ELi512ELi4ELi16ELi64EjfLNS0_11ScoringFuncE0EEEvPKT5_PKbPfiPT4_PiiiibPKf,comdat
	.protected	_ZN4vllm3moe10topkGatingILi8ELi512ELi4ELi16ELi64EjfLNS0_11ScoringFuncE0EEEvPKT5_PKbPfiPT4_PiiiibPKf ; -- Begin function _ZN4vllm3moe10topkGatingILi8ELi512ELi4ELi16ELi64EjfLNS0_11ScoringFuncE0EEEvPKT5_PKbPfiPT4_PiiiibPKf
	.globl	_ZN4vllm3moe10topkGatingILi8ELi512ELi4ELi16ELi64EjfLNS0_11ScoringFuncE0EEEvPKT5_PKbPfiPT4_PiiiibPKf
	.p2align	8
	.type	_ZN4vllm3moe10topkGatingILi8ELi512ELi4ELi16ELi64EjfLNS0_11ScoringFuncE0EEEvPKT5_PKbPfiPT4_PiiiibPKf,@function
_ZN4vllm3moe10topkGatingILi8ELi512ELi4ELi16ELi64EjfLNS0_11ScoringFuncE0EEEvPKT5_PKbPfiPT4_PiiiibPKf: ; @_ZN4vllm3moe10topkGatingILi8ELi512ELi4ELi16ELi64EjfLNS0_11ScoringFuncE0EEEvPKT5_PKbPfiPT4_PiiiibPKf
; %bb.0:
	s_load_dword s24, s[4:5], 0x18
	v_and_b32_e32 v1, 0x3ff, v0
	s_lshl_b32 s0, s6, 2
	v_lshrrev_b32_e32 v2, 6, v1
	v_bfe_u32 v0, v0, 10, 10
	v_add3_u32 v17, s0, v0, v2
	s_waitcnt lgkmcnt(0)
	v_cmp_gt_i32_e32 vcc, s24, v17
	s_and_saveexec_b64 s[0:1], vcc
	s_cbranch_execz .LBB42_42
; %bb.1:
	s_load_dwordx4 s[0:3], s[4:5], 0x0
	s_load_dwordx2 s[16:17], s[4:5], 0x10
	s_mov_b64 s[6:7], -1
	s_mov_b64 s[18:19], -1
	s_waitcnt lgkmcnt(0)
	s_cmp_eq_u64 s[2:3], 0
	s_cbranch_scc1 .LBB42_3
; %bb.2:
	v_ashrrev_i32_e32 v0, 31, v17
	v_mov_b32_e32 v3, s3
	v_add_co_u32_e32 v2, vcc, s2, v17
	v_addc_co_u32_e32 v3, vcc, v3, v0, vcc
	global_load_ubyte v0, v[2:3], off
	s_waitcnt vmcnt(0)
	v_and_b32_e32 v0, 1, v0
	v_cmp_eq_u32_e32 vcc, 1, v0
	s_xor_b64 s[2:3], vcc, -1
	s_orn2_b64 s[18:19], s[2:3], exec
.LBB42_3:
	v_lshlrev_b32_e32 v2, 9, v17
	v_ashrrev_i32_e32 v3, 31, v2
	v_lshlrev_b64 v[2:3], 2, v[2:3]
	v_mov_b32_e32 v0, s1
	v_add_co_u32_e32 v2, vcc, s0, v2
	v_and_b32_e32 v21, 63, v1
	v_addc_co_u32_e32 v0, vcc, v0, v3, vcc
	v_lshlrev_b32_e32 v1, 4, v21
	v_add_co_u32_e32 v8, vcc, v2, v1
	v_addc_co_u32_e32 v9, vcc, 0, v0, vcc
	global_load_dwordx4 v[0:3], v[8:9], off
	global_load_dwordx4 v[4:7], v[8:9], off offset:1024
	v_mbcnt_lo_u32_b32 v8, -1, 0
	v_mbcnt_hi_u32_b32 v8, -1, v8
	v_and_b32_e32 v9, 64, v8
	v_xor_b32_e32 v10, 32, v8
	v_add_u32_e32 v9, 64, v9
	v_cmp_lt_i32_e32 vcc, v10, v9
	v_cndmask_b32_e32 v10, v8, v10, vcc
	v_lshlrev_b32_e32 v22, 2, v10
	v_xor_b32_e32 v13, 16, v8
	v_cmp_lt_i32_e32 vcc, v13, v9
	v_cndmask_b32_e32 v13, v8, v13, vcc
	v_lshlrev_b32_e32 v23, 2, v13
	v_xor_b32_e32 v13, 8, v8
	;; [unrolled: 4-line block ×5, first 2 shown]
	v_cmp_lt_i32_e32 vcc, v13, v9
	v_cndmask_b32_e32 v8, v8, v13, vcc
	v_lshlrev_b32_e32 v27, 2, v8
	s_mov_b32 s2, 0x3fb8aa3b
	s_mov_b32 s0, 0xc2ce8ed0
	;; [unrolled: 1-line block ×3, first 2 shown]
	v_mov_b32_e32 v12, 0x7f800000
	s_waitcnt vmcnt(1)
	v_max_f32_e32 v10, v1, v1
	v_max_f32_e32 v11, v0, v0
	;; [unrolled: 1-line block ×3, first 2 shown]
	v_max3_f32 v10, v10, v2, v3
	s_waitcnt vmcnt(0)
	v_max3_f32 v10, v10, v4, v5
	v_max3_f32 v10, v10, v6, v7
	ds_bpermute_b32 v11, v22, v10
	v_mov_b32_e32 v9, v6
	s_waitcnt lgkmcnt(0)
	v_max_f32_e32 v11, v11, v11
	v_max_f32_e32 v10, v10, v11
	ds_bpermute_b32 v11, v23, v10
	s_waitcnt lgkmcnt(0)
	v_max_f32_e32 v11, v11, v11
	v_max_f32_e32 v10, v10, v11
	ds_bpermute_b32 v11, v24, v10
	;; [unrolled: 4-line block ×5, first 2 shown]
	v_mov_b32_e32 v10, v3
	v_mov_b32_e32 v11, v4
	;; [unrolled: 1-line block ×3, first 2 shown]
	s_waitcnt lgkmcnt(0)
	v_max_f32_e32 v3, v14, v14
	v_max_f32_e32 v4, v13, v3
	v_sub_f32_e32 v3, v0, v4
	v_sub_f32_e32 v5, v1, v4
	;; [unrolled: 1-line block ×3, first 2 shown]
	v_mul_f32_e32 v7, 0x3fb8aa3b, v3
	v_sub_f32_e32 v2, v2, v4
	v_pk_add_f32 v[0:1], v[8:9], v[4:5] op_sel_hi:[1,0] neg_lo:[0,1] neg_hi:[0,1]
	v_mul_f32_e32 v8, 0x3fb8aa3b, v5
	v_fma_f32 v16, v3, s2, -v7
	v_rndne_f32_e32 v18, v7
	v_mul_f32_e32 v9, 0x3fb8aa3b, v2
	v_fma_f32 v19, v5, s2, -v8
	v_rndne_f32_e32 v20, v8
	v_fmac_f32_e32 v16, 0x32a5705f, v3
	v_sub_f32_e32 v7, v7, v18
	v_mul_f32_e32 v13, 0x3fb8aa3b, v1
	v_fma_f32 v28, v2, s2, -v9
	v_rndne_f32_e32 v29, v9
	v_fmac_f32_e32 v19, 0x32a5705f, v5
	v_sub_f32_e32 v8, v8, v20
	v_add_f32_e32 v7, v7, v16
	v_fma_f32 v30, v1, s2, -v13
	v_rndne_f32_e32 v31, v13
	v_cvt_i32_f32_e32 v18, v18
	v_fmac_f32_e32 v28, 0x32a5705f, v2
	v_sub_f32_e32 v9, v9, v29
	v_add_f32_e32 v8, v8, v19
	v_exp_f32_e32 v7, v7
	v_cvt_i32_f32_e32 v20, v20
	v_fmac_f32_e32 v30, 0x32a5705f, v1
	v_sub_f32_e32 v13, v13, v31
	v_add_f32_e32 v9, v9, v28
	v_exp_f32_e32 v8, v8
	v_cvt_i32_f32_e32 v29, v29
	v_add_f32_e32 v13, v13, v30
	v_exp_f32_e32 v9, v9
	v_cvt_i32_f32_e32 v31, v31
	v_exp_f32_e32 v13, v13
	v_ldexp_f32 v7, v7, v18
	v_cmp_ngt_f32_e32 vcc, s0, v3
	v_ldexp_f32 v8, v8, v20
	v_cndmask_b32_e32 v7, 0, v7, vcc
	v_cmp_ngt_f32_e32 vcc, s0, v5
	v_ldexp_f32 v9, v9, v29
	v_cndmask_b32_e32 v8, 0, v8, vcc
	;; [unrolled: 3-line block ×3, first 2 shown]
	v_cmp_ngt_f32_e32 vcc, s0, v1
	v_cndmask_b32_e32 v13, 0, v13, vcc
	v_cmp_nlt_f32_e32 vcc, s1, v3
	v_mul_f32_e32 v14, 0x3fb8aa3b, v0
	v_cndmask_b32_e32 v7, v12, v7, vcc
	v_cmp_nlt_f32_e32 vcc, s1, v5
	v_fma_f32 v32, v0, s2, -v14
	v_rndne_f32_e32 v33, v14
	v_cndmask_b32_e32 v5, v12, v8, vcc
	v_cmp_nlt_f32_e32 vcc, s1, v2
	v_mul_f32_e32 v15, 0x3fb8aa3b, v6
	v_fmac_f32_e32 v32, 0x32a5705f, v0
	v_sub_f32_e32 v14, v14, v33
	v_cndmask_b32_e32 v8, v12, v9, vcc
	v_add_f32_e32 v2, v7, v5
	v_fma_f32 v34, v6, s2, -v15
	v_add_f32_e32 v14, v14, v32
	v_add_f32_e32 v9, v2, v8
	v_rndne_f32_e32 v2, v15
	v_cvt_i32_f32_e32 v33, v33
	v_exp_f32_e32 v14, v14
	v_fmac_f32_e32 v34, 0x32a5705f, v6
	v_sub_f32_e32 v3, v15, v2
	v_add_f32_e32 v3, v3, v34
	v_exp_f32_e32 v3, v3
	v_cvt_i32_f32_e32 v2, v2
	v_cmp_nlt_f32_e32 vcc, s1, v1
	v_ldexp_f32 v14, v14, v33
	v_cndmask_b32_e32 v1, v12, v13, vcc
	v_cmp_ngt_f32_e32 vcc, s0, v0
	v_cndmask_b32_e32 v13, 0, v14, vcc
	v_cmp_nlt_f32_e32 vcc, s1, v0
	v_cndmask_b32_e32 v0, v12, v13, vcc
	v_ldexp_f32 v13, v3, v2
	v_pk_add_f32 v[2:3], v[10:11], v[4:5] op_sel_hi:[1,0] neg_lo:[0,1] neg_hi:[0,1]
	v_mul_f32_e32 v4, 0x3fb8aa3b, v3
	v_fma_f32 v10, v3, s2, -v4
	v_rndne_f32_e32 v11, v4
	v_fmac_f32_e32 v10, 0x32a5705f, v3
	v_sub_f32_e32 v4, v4, v11
	v_add_f32_e32 v4, v4, v10
	v_exp_f32_e32 v4, v4
	v_cvt_i32_f32_e32 v10, v11
	v_cmp_ngt_f32_e32 vcc, s0, v6
	v_cndmask_b32_e32 v11, 0, v13, vcc
	v_cmp_nlt_f32_e32 vcc, s1, v6
	v_mul_f32_e32 v6, 0x3fb8aa3b, v2
	v_ldexp_f32 v4, v4, v10
	v_fma_f32 v10, v2, s2, -v6
	v_rndne_f32_e32 v13, v6
	v_fmac_f32_e32 v10, 0x32a5705f, v2
	v_sub_f32_e32 v6, v6, v13
	v_add_f32_e32 v6, v6, v10
	v_exp_f32_e32 v6, v6
	v_cvt_i32_f32_e32 v10, v13
	v_cndmask_b32_e32 v11, v12, v11, vcc
	v_cmp_ngt_f32_e32 vcc, s0, v3
	v_cndmask_b32_e32 v4, 0, v4, vcc
	v_cmp_nlt_f32_e32 vcc, s1, v3
	v_cndmask_b32_e32 v3, v12, v4, vcc
	v_ldexp_f32 v4, v6, v10
	v_cmp_ngt_f32_e32 vcc, s0, v2
	v_cndmask_b32_e32 v4, 0, v4, vcc
	v_cmp_nlt_f32_e32 vcc, s1, v2
	v_cndmask_b32_e32 v2, v12, v4, vcc
	v_add_f32_e32 v4, v9, v2
	v_add_f32_e32 v4, v4, v3
	;; [unrolled: 1-line block ×5, first 2 shown]
	ds_bpermute_b32 v6, v22, v4
	s_movk_i32 s2, 0x1f8
	v_lshlrev_b32_e32 v28, 2, v21
	s_waitcnt lgkmcnt(0)
	v_add_f32_e32 v4, v4, v6
	ds_bpermute_b32 v6, v23, v4
	s_waitcnt lgkmcnt(0)
	v_add_f32_e32 v4, v4, v6
	ds_bpermute_b32 v6, v24, v4
	;; [unrolled: 3-line block ×5, first 2 shown]
	s_waitcnt lgkmcnt(0)
	v_add_f32_e32 v4, v4, v6
	v_div_scale_f32 v6, s[0:1], v4, v4, 1.0
	v_rcp_f32_e32 v9, v6
	s_load_dwordx2 s[0:1], s[4:5], 0x40
	v_fma_f32 v10, -v6, v9, 1.0
	v_fmac_f32_e32 v9, v10, v9
	v_div_scale_f32 v10, vcc, 1.0, v4, 1.0
	v_mul_f32_e32 v12, v10, v9
	v_fma_f32 v13, -v6, v12, v10
	v_fmac_f32_e32 v12, v13, v9
	v_fma_f32 v6, -v6, v12, v10
	v_div_fmas_f32 v6, v6, v9, v12
	v_div_fixup_f32 v4, v6, v4, 1.0
	v_mul_f32_e32 v10, v4, v7
	v_mul_f32_e32 v5, v4, v5
	v_cmp_class_f32_e64 vcc, v10, s2
	v_mul_f32_e32 v12, v4, v8
	v_pk_mul_f32 v[8:9], v[4:5], v[0:1] op_sel_hi:[0,1]
	v_cndmask_b32_e32 v0, 0, v10, vcc
	v_cmp_class_f32_e64 vcc, v5, s2
	v_pk_mul_f32 v[6:7], v[4:5], v[2:3] op_sel_hi:[0,1]
	v_cndmask_b32_e32 v1, 0, v5, vcc
	v_cmp_class_f32_e64 vcc, v12, s2
	v_mov_b32_e32 v5, 0x207
	v_cndmask_b32_e32 v2, 0, v12, vcc
	v_cmp_class_f32_e32 vcc, v7, v5
	v_mul_f32_e32 v11, v4, v11
	v_cndmask_b32_e64 v4, v7, 0, vcc
	v_cmp_class_f32_e32 vcc, v6, v5
	v_cndmask_b32_e64 v3, v6, 0, vcc
	v_cmp_class_f32_e32 vcc, v9, v5
	;; [unrolled: 2-line block ×3, first 2 shown]
	v_cndmask_b32_e64 v5, v8, 0, vcc
	v_cmp_class_f32_e64 vcc, v11, s2
	s_waitcnt lgkmcnt(0)
	s_cmp_eq_u64 s[0:1], 0
	v_cndmask_b32_e32 v7, 0, v11, vcc
	s_cbranch_scc1 .LBB42_31
; %bb.4:
	v_lshlrev_b32_e32 v16, 2, v28
	global_load_dwordx4 v[8:11], v16, s[0:1]
	global_load_dwordx4 v[12:15], v16, s[0:1] offset:1024
	s_waitcnt vmcnt(1)
	v_pk_add_f32 v[8:9], v[8:9], v[0:1]
	v_pk_add_f32 v[10:11], v[10:11], v[2:3]
	s_waitcnt vmcnt(0)
	v_pk_add_f32 v[12:13], v[12:13], v[4:5]
	v_pk_add_f32 v[14:15], v[14:15], v[6:7]
	s_cbranch_execnz .LBB42_6
.LBB42_5:
	v_pk_mov_b32 v[14:15], v[6:7], v[6:7] op_sel:[0,1]
	v_pk_mov_b32 v[12:13], v[4:5], v[4:5] op_sel:[0,1]
	;; [unrolled: 1-line block ×4, first 2 shown]
.LBB42_6:
	s_load_dwordx4 s[8:11], s[4:5], 0x30
	s_mov_b32 s25, 0
	v_cmp_eq_u32_e64 s[0:1], 0, v21
	s_waitcnt lgkmcnt(0)
	s_bitcmp1_b32 s11, 0
	s_cselect_b64 vcc, -1, 0
	s_cmp_gt_i32 s8, 0
	s_cselect_b64 s[20:21], -1, 0
	s_cmp_lt_i32 s8, 1
	s_cbranch_scc1 .LBB42_32
; %bb.7:
	s_load_dwordx4 s[12:15], s[4:5], 0x20
	v_mul_lo_u32 v30, v17, s8
	v_mov_b32_e32 v29, 0
	v_mov_b32_e32 v31, 0x100
	;; [unrolled: 1-line block ×3, first 2 shown]
	v_bfrev_b32_e32 v33, 4.0
	v_bfrev_b32_e32 v34, -4.0
	v_mov_b32_e32 v35, 0x200
	v_mov_b32_e32 v36, 0xc61c4000
	;; [unrolled: 1-line block ×3, first 2 shown]
	s_branch .LBB42_10
.LBB42_8:                               ;   in Loop: Header=BB42_10 Depth=1
	s_or_b64 exec, exec, s[4:5]
.LBB42_9:                               ;   in Loop: Header=BB42_10 Depth=1
	s_cmp_eq_u32 s8, s25
	v_add_u32_e32 v37, s24, v37
	s_cbranch_scc1 .LBB42_33
.LBB42_10:                              ; =>This Inner Loop Header: Depth=1
	v_cmp_gt_f32_e64 s[2:3], v9, v8
	v_cndmask_b32_e64 v16, v8, v9, s[2:3]
	v_cndmask_b32_e64 v18, v0, v1, s[2:3]
	s_waitcnt lgkmcnt(0)
	v_cndmask_b32_e64 v19, 0, 1, s[2:3]
	v_cmp_gt_f32_e64 s[2:3], v10, v16
	v_cndmask_b32_e64 v16, v16, v10, s[2:3]
	v_cndmask_b32_e64 v18, v18, v2, s[2:3]
	v_cndmask_b32_e64 v19, v19, 2, s[2:3]
	v_cmp_gt_f32_e64 s[2:3], v11, v16
	v_cndmask_b32_e64 v16, v16, v11, s[2:3]
	v_cndmask_b32_e64 v18, v18, v3, s[2:3]
	;; [unrolled: 4-line block ×6, first 2 shown]
	v_or_b32_e32 v19, v28, v19
	ds_bpermute_b32 v20, v22, v16
	ds_bpermute_b32 v38, v22, v19
	v_cndmask_b32_e64 v18, v18, v7, s[2:3]
	ds_bpermute_b32 v40, v22, v18
	s_waitcnt lgkmcnt(0)
	v_cmp_eq_f32_e64 s[4:5], v16, v20
	v_cmp_lt_i32_e64 s[6:7], v38, v19
	v_cmp_lt_f32_e64 s[2:3], v16, v20
	s_and_b64 s[4:5], s[4:5], s[6:7]
	s_or_b64 s[2:3], s[2:3], s[4:5]
	v_cndmask_b32_e64 v39, v19, v38, s[2:3]
	v_cndmask_b32_e64 v38, v16, v20, s[2:3]
	;; [unrolled: 1-line block ×3, first 2 shown]
	ds_bpermute_b32 v41, v23, v38
	ds_bpermute_b32 v20, v23, v16
	;; [unrolled: 1-line block ×3, first 2 shown]
                                        ; implicit-def: $vgpr18_vgpr19
	s_waitcnt lgkmcnt(2)
	v_cmp_lt_f32_e64 s[6:7], v38, v41
	v_cmp_nlt_f32_e64 s[2:3], v38, v41
	s_and_saveexec_b64 s[22:23], s[2:3]
	s_cbranch_execz .LBB42_12
; %bb.11:                               ;   in Loop: Header=BB42_10 Depth=1
	v_cmp_eq_f32_e64 s[2:3], v38, v41
	s_waitcnt lgkmcnt(0)
	v_cmp_lt_i32_e64 s[4:5], v40, v39
	s_and_b64 s[2:3], s[2:3], s[4:5]
	s_andn2_b64 s[4:5], s[6:7], exec
	s_and_b64 s[2:3], s[2:3], exec
	s_or_b64 s[6:7], s[4:5], s[2:3]
	v_pk_mov_b32 v[18:19], v[16:17], v[16:17] op_sel:[0,1]
.LBB42_12:                              ;   in Loop: Header=BB42_10 Depth=1
	s_or_b64 exec, exec, s[22:23]
	s_and_saveexec_b64 s[2:3], s[6:7]
	s_cbranch_execz .LBB42_14
; %bb.13:                               ;   in Loop: Header=BB42_10 Depth=1
	v_mov_b32_e32 v38, v41
	s_waitcnt lgkmcnt(1)
	v_mov_b32_e32 v16, v20
	s_waitcnt lgkmcnt(0)
	v_mov_b32_e32 v39, v40
	v_pk_mov_b32 v[18:19], v[20:21], v[20:21] op_sel:[0,1]
.LBB42_14:                              ;   in Loop: Header=BB42_10 Depth=1
	s_or_b64 exec, exec, s[2:3]
	s_waitcnt lgkmcnt(0)
	ds_bpermute_b32 v40, v24, v38
	ds_bpermute_b32 v20, v24, v16
	;; [unrolled: 1-line block ×3, first 2 shown]
	s_waitcnt lgkmcnt(2)
	v_cmp_lt_f32_e64 s[6:7], v38, v40
	v_cmp_nlt_f32_e64 s[2:3], v38, v40
	s_and_saveexec_b64 s[22:23], s[2:3]
	s_cbranch_execz .LBB42_16
; %bb.15:                               ;   in Loop: Header=BB42_10 Depth=1
	v_cmp_eq_f32_e64 s[2:3], v38, v40
	s_waitcnt lgkmcnt(0)
	v_cmp_lt_i32_e64 s[4:5], v19, v39
	s_and_b64 s[2:3], s[2:3], s[4:5]
	s_andn2_b64 s[4:5], s[6:7], exec
	s_and_b64 s[2:3], s[2:3], exec
	s_or_b64 s[6:7], s[4:5], s[2:3]
.LBB42_16:                              ;   in Loop: Header=BB42_10 Depth=1
	s_or_b64 exec, exec, s[22:23]
	s_and_saveexec_b64 s[2:3], s[6:7]
	s_cbranch_execz .LBB42_18
; %bb.17:                               ;   in Loop: Header=BB42_10 Depth=1
	v_mov_b32_e32 v38, v40
	s_waitcnt lgkmcnt(1)
	v_mov_b32_e32 v16, v20
	s_waitcnt lgkmcnt(0)
	v_mov_b32_e32 v39, v19
	v_pk_mov_b32 v[18:19], v[20:21], v[20:21] op_sel:[0,1]
.LBB42_18:                              ;   in Loop: Header=BB42_10 Depth=1
	s_or_b64 exec, exec, s[2:3]
	ds_bpermute_b32 v40, v25, v38
	s_waitcnt lgkmcnt(2)
	ds_bpermute_b32 v20, v25, v16
	s_waitcnt lgkmcnt(2)
	;; [unrolled: 2-line block ×3, first 2 shown]
	v_cmp_lt_f32_e64 s[6:7], v38, v40
	v_cmp_nlt_f32_e64 s[2:3], v38, v40
	s_and_saveexec_b64 s[22:23], s[2:3]
	s_cbranch_execz .LBB42_20
; %bb.19:                               ;   in Loop: Header=BB42_10 Depth=1
	v_cmp_eq_f32_e64 s[2:3], v38, v40
	s_waitcnt lgkmcnt(0)
	v_cmp_lt_i32_e64 s[4:5], v19, v39
	s_and_b64 s[2:3], s[2:3], s[4:5]
	s_andn2_b64 s[4:5], s[6:7], exec
	s_and_b64 s[2:3], s[2:3], exec
	s_or_b64 s[6:7], s[4:5], s[2:3]
.LBB42_20:                              ;   in Loop: Header=BB42_10 Depth=1
	s_or_b64 exec, exec, s[22:23]
	s_and_saveexec_b64 s[2:3], s[6:7]
	s_cbranch_execz .LBB42_22
; %bb.21:                               ;   in Loop: Header=BB42_10 Depth=1
	v_mov_b32_e32 v38, v40
	s_waitcnt lgkmcnt(1)
	v_mov_b32_e32 v16, v20
	s_waitcnt lgkmcnt(0)
	v_mov_b32_e32 v39, v19
	v_pk_mov_b32 v[18:19], v[20:21], v[20:21] op_sel:[0,1]
.LBB42_22:                              ;   in Loop: Header=BB42_10 Depth=1
	s_or_b64 exec, exec, s[2:3]
	ds_bpermute_b32 v40, v26, v38
	s_waitcnt lgkmcnt(2)
	ds_bpermute_b32 v20, v26, v16
	s_waitcnt lgkmcnt(2)
	;; [unrolled: 2-line block ×3, first 2 shown]
	v_cmp_lt_f32_e64 s[6:7], v38, v40
	v_cmp_nlt_f32_e64 s[2:3], v38, v40
	s_and_saveexec_b64 s[22:23], s[2:3]
	s_cbranch_execz .LBB42_24
; %bb.23:                               ;   in Loop: Header=BB42_10 Depth=1
	v_cmp_eq_f32_e64 s[2:3], v38, v40
	s_waitcnt lgkmcnt(0)
	v_cmp_lt_i32_e64 s[4:5], v19, v39
	s_and_b64 s[2:3], s[2:3], s[4:5]
	s_andn2_b64 s[4:5], s[6:7], exec
	s_and_b64 s[2:3], s[2:3], exec
	s_or_b64 s[6:7], s[4:5], s[2:3]
.LBB42_24:                              ;   in Loop: Header=BB42_10 Depth=1
	s_or_b64 exec, exec, s[22:23]
	s_and_saveexec_b64 s[2:3], s[6:7]
	s_cbranch_execz .LBB42_26
; %bb.25:                               ;   in Loop: Header=BB42_10 Depth=1
	v_mov_b32_e32 v38, v40
	s_waitcnt lgkmcnt(1)
	v_mov_b32_e32 v16, v20
	s_waitcnt lgkmcnt(0)
	v_mov_b32_e32 v39, v19
	v_pk_mov_b32 v[18:19], v[20:21], v[20:21] op_sel:[0,1]
.LBB42_26:                              ;   in Loop: Header=BB42_10 Depth=1
	s_or_b64 exec, exec, s[2:3]
	s_waitcnt lgkmcnt(1)
	ds_bpermute_b32 v20, v27, v38
	ds_bpermute_b32 v40, v27, v39
	s_waitcnt lgkmcnt(2)
	ds_bpermute_b32 v19, v27, v16
	s_waitcnt lgkmcnt(2)
	v_cmp_eq_f32_e64 s[4:5], v38, v20
	s_waitcnt lgkmcnt(1)
	v_cmp_lt_i32_e64 s[6:7], v40, v39
	v_cmp_lt_f32_e64 s[2:3], v38, v20
	s_and_b64 s[4:5], s[4:5], s[6:7]
	s_or_b64 s[2:3], s[2:3], s[4:5]
	v_cndmask_b32_e64 v16, v39, v40, s[2:3]
	s_and_saveexec_b64 s[6:7], s[0:1]
	s_cbranch_execnz .LBB42_28
; %bb.27:                               ;   in Loop: Header=BB42_10 Depth=1
	s_or_b64 exec, exec, s[6:7]
	s_add_i32 s25, s25, 1
	s_cmp_ge_i32 s25, s8
	s_cbranch_scc1 .LBB42_9
	s_branch .LBB42_29
.LBB42_28:                              ;   in Loop: Header=BB42_10 Depth=1
	s_waitcnt lgkmcnt(0)
	v_cndmask_b32_e64 v20, v18, v19, s[2:3]
	v_add_u32_e32 v18, s25, v30
	v_ashrrev_i32_e32 v19, 31, v18
	v_cmp_le_i32_e64 s[2:3], s9, v16
	v_cmp_gt_i32_e64 s[4:5], s10, v16
	v_lshlrev_b64 v[18:19], 2, v[18:19]
	s_and_b64 s[4:5], s[2:3], s[4:5]
	v_mov_b32_e32 v39, s17
	v_add_co_u32_e64 v38, s[2:3], s16, v18
	v_addc_co_u32_e64 v39, s[2:3], v39, v19, s[2:3]
	global_store_dword v[38:39], v20, off
	v_subrev_u32_e32 v38, s9, v16
	s_and_b64 s[2:3], s[18:19], s[4:5]
	v_cndmask_b32_e64 v40, v35, v38, s[2:3]
	v_mov_b32_e32 v39, s13
	v_add_co_u32_e64 v38, s[2:3], s12, v18
	v_addc_co_u32_e64 v39, s[2:3], v39, v19, s[2:3]
	global_store_dword v[38:39], v40, off
	v_mov_b32_e32 v38, s15
	v_add_co_u32_e64 v18, s[2:3], s14, v18
	v_addc_co_u32_e64 v19, s[2:3], v38, v19, s[2:3]
	global_store_dword v[18:19], v37, off
	v_add_f32_e32 v18, v29, v20
	v_cndmask_b32_e32 v29, v29, v18, vcc
	s_or_b64 exec, exec, s[6:7]
	s_add_i32 s25, s25, 1
	s_cmp_ge_i32 s25, s8
	s_cbranch_scc1 .LBB42_9
.LBB42_29:                              ;   in Loop: Header=BB42_10 Depth=1
	v_ashrrev_i32_e32 v18, 31, v16
	s_waitcnt lgkmcnt(0)
	v_lshrrev_b32_e32 v19, 30, v18
	v_add_u32_e32 v20, v16, v19
	v_ashrrev_i32_e32 v19, 2, v20
	v_ashrrev_i32_e32 v20, 31, v20
	v_lshrrev_b32_e32 v20, 26, v20
	v_add_u32_e32 v20, v19, v20
	v_and_b32_e32 v20, 0xffffffc0, v20
	v_sub_u32_e32 v20, v19, v20
	v_cmp_eq_u32_e64 s[2:3], v21, v20
	s_and_saveexec_b64 s[4:5], s[2:3]
	s_cbranch_execz .LBB42_8
; %bb.30:                               ;   in Loop: Header=BB42_10 Depth=1
	v_add_u32_sdwa v18, v16, v18 dst_sel:DWORD dst_unused:UNUSED_PAD src0_sel:DWORD src1_sel:BYTE_3
	v_lshlrev_b32_e32 v19, 2, v19
	v_ashrrev_i32_e32 v18, 8, v18
	v_sub_u32_e32 v16, v16, v19
	v_lshl_add_u32 v16, v18, 2, v16
	v_cmp_ne_u32_e64 s[2:3], 7, v16
	v_cndmask_b32_e64 v15, v36, v15, s[2:3]
	v_cmp_ne_u32_e64 s[2:3], 6, v16
	v_cndmask_b32_e64 v14, v36, v14, s[2:3]
	;; [unrolled: 2-line block ×8, first 2 shown]
	s_branch .LBB42_8
.LBB42_31:
                                        ; implicit-def: $vgpr8_vgpr9_vgpr10_vgpr11_vgpr12_vgpr13_vgpr14_vgpr15
	s_andn2_b64 vcc, exec, s[6:7]
	s_cbranch_vccz .LBB42_5
	s_branch .LBB42_6
.LBB42_32:
	v_mov_b32_e32 v29, 0
.LBB42_33:
	v_cmp_eq_u32_e64 s[0:1], 0, v21
	s_and_b64 s[0:1], s[0:1], vcc
	s_and_b64 exec, exec, s[0:1]
	s_cbranch_execz .LBB42_42
; %bb.34:
	s_andn2_b64 vcc, exec, s[20:21]
	s_cbranch_vccnz .LBB42_42
; %bb.35:
	v_cmp_lt_f32_e32 vcc, 0, v29
	s_mov_b32 s2, 0
	v_cndmask_b32_e32 v0, 1.0, v29, vcc
	v_mul_lo_u32 v4, v17, s8
	s_cmp_eq_u32 s8, 1
	s_mov_b64 s[0:1], -1
	s_cbranch_scc1 .LBB42_39
; %bb.36:
	s_and_b32 s2, s8, 0x7ffffffe
	v_mov_b32_e32 v1, v0
	v_mov_b32_e32 v5, s17
	s_mov_b32 s3, s2
	v_mov_b32_e32 v2, v4
.LBB42_37:                              ; =>This Inner Loop Header: Depth=1
	v_ashrrev_i32_e32 v3, 31, v2
	v_lshlrev_b64 v[6:7], 2, v[2:3]
	v_add_co_u32_e32 v6, vcc, s16, v6
	v_addc_co_u32_e32 v7, vcc, v5, v7, vcc
	global_load_dwordx2 v[8:9], v[6:7], off
	s_add_i32 s3, s3, -2
	s_cmp_lg_u32 s3, 0
	v_add_u32_e32 v2, 2, v2
	s_waitcnt vmcnt(0)
	v_div_scale_f32 v3, s[0:1], v1, v1, v9
	v_div_scale_f32 v11, s[0:1], v0, v0, v8
	v_rcp_f32_e32 v12, v3
	v_rcp_f32_e32 v13, v11
	v_div_scale_f32 v10, vcc, v9, v1, v9
	v_fma_f32 v15, -v3, v12, 1.0
	v_fma_f32 v16, -v11, v13, 1.0
	v_fmac_f32_e32 v12, v15, v12
	v_div_scale_f32 v14, s[0:1], v8, v0, v8
	v_fmac_f32_e32 v13, v16, v13
	v_mul_f32_e32 v15, v10, v12
	v_mul_f32_e32 v16, v14, v13
	v_fma_f32 v17, -v3, v15, v10
	v_fma_f32 v18, -v11, v16, v14
	v_fmac_f32_e32 v15, v17, v12
	v_fmac_f32_e32 v16, v18, v13
	v_fma_f32 v3, -v3, v15, v10
	v_fma_f32 v10, -v11, v16, v14
	v_div_fmas_f32 v3, v3, v12, v15
	s_mov_b64 vcc, s[0:1]
	v_div_fixup_f32 v9, v3, v1, v9
	v_div_fmas_f32 v3, v10, v13, v16
	v_div_fixup_f32 v8, v3, v0, v8
	global_store_dwordx2 v[6:7], v[8:9], off
	s_cbranch_scc1 .LBB42_37
; %bb.38:
	s_cmp_lg_u32 s2, s8
	s_cselect_b64 s[0:1], -1, 0
.LBB42_39:
	s_and_b64 vcc, exec, s[0:1]
	s_cbranch_vccz .LBB42_42
; %bb.40:
	v_ashrrev_i32_e32 v1, 31, v4
	v_add_co_u32_e32 v2, vcc, s2, v4
	v_addc_co_u32_e32 v3, vcc, 0, v1, vcc
	v_lshlrev_b64 v[2:3], 2, v[2:3]
	v_mov_b32_e32 v1, s17
	v_add_co_u32_e32 v2, vcc, s16, v2
	s_sub_i32 s0, s8, s2
	v_addc_co_u32_e32 v3, vcc, v1, v3, vcc
.LBB42_41:                              ; =>This Inner Loop Header: Depth=1
	global_load_dword v1, v[2:3], off
	s_add_i32 s0, s0, -1
	s_cmp_lg_u32 s0, 0
	s_waitcnt vmcnt(0)
	v_div_scale_f32 v4, s[2:3], v0, v0, v1
	v_rcp_f32_e32 v5, v4
	v_div_scale_f32 v6, vcc, v1, v0, v1
	v_fma_f32 v7, -v4, v5, 1.0
	v_fmac_f32_e32 v5, v7, v5
	v_mul_f32_e32 v7, v6, v5
	v_fma_f32 v8, -v4, v7, v6
	v_fmac_f32_e32 v7, v8, v5
	v_fma_f32 v4, -v4, v7, v6
	v_div_fmas_f32 v4, v4, v5, v7
	v_div_fixup_f32 v1, v4, v0, v1
	global_store_dword v[2:3], v1, off
	v_add_co_u32_e32 v2, vcc, 4, v2
	v_addc_co_u32_e32 v3, vcc, 0, v3, vcc
	s_cbranch_scc1 .LBB42_41
.LBB42_42:
	s_endpgm
	.section	.rodata,"a",@progbits
	.p2align	6, 0x0
	.amdhsa_kernel _ZN4vllm3moe10topkGatingILi8ELi512ELi4ELi16ELi64EjfLNS0_11ScoringFuncE0EEEvPKT5_PKbPfiPT4_PiiiibPKf
		.amdhsa_group_segment_fixed_size 0
		.amdhsa_private_segment_fixed_size 0
		.amdhsa_kernarg_size 72
		.amdhsa_user_sgpr_count 6
		.amdhsa_user_sgpr_private_segment_buffer 1
		.amdhsa_user_sgpr_dispatch_ptr 0
		.amdhsa_user_sgpr_queue_ptr 0
		.amdhsa_user_sgpr_kernarg_segment_ptr 1
		.amdhsa_user_sgpr_dispatch_id 0
		.amdhsa_user_sgpr_flat_scratch_init 0
		.amdhsa_user_sgpr_kernarg_preload_length 0
		.amdhsa_user_sgpr_kernarg_preload_offset 0
		.amdhsa_user_sgpr_private_segment_size 0
		.amdhsa_uses_dynamic_stack 0
		.amdhsa_system_sgpr_private_segment_wavefront_offset 0
		.amdhsa_system_sgpr_workgroup_id_x 1
		.amdhsa_system_sgpr_workgroup_id_y 0
		.amdhsa_system_sgpr_workgroup_id_z 0
		.amdhsa_system_sgpr_workgroup_info 0
		.amdhsa_system_vgpr_workitem_id 1
		.amdhsa_next_free_vgpr 42
		.amdhsa_next_free_sgpr 26
		.amdhsa_accum_offset 44
		.amdhsa_reserve_vcc 1
		.amdhsa_reserve_flat_scratch 0
		.amdhsa_float_round_mode_32 0
		.amdhsa_float_round_mode_16_64 0
		.amdhsa_float_denorm_mode_32 3
		.amdhsa_float_denorm_mode_16_64 3
		.amdhsa_dx10_clamp 1
		.amdhsa_ieee_mode 1
		.amdhsa_fp16_overflow 0
		.amdhsa_tg_split 0
		.amdhsa_exception_fp_ieee_invalid_op 0
		.amdhsa_exception_fp_denorm_src 0
		.amdhsa_exception_fp_ieee_div_zero 0
		.amdhsa_exception_fp_ieee_overflow 0
		.amdhsa_exception_fp_ieee_underflow 0
		.amdhsa_exception_fp_ieee_inexact 0
		.amdhsa_exception_int_div_zero 0
	.end_amdhsa_kernel
	.section	.text._ZN4vllm3moe10topkGatingILi8ELi512ELi4ELi16ELi64EjfLNS0_11ScoringFuncE0EEEvPKT5_PKbPfiPT4_PiiiibPKf,"axG",@progbits,_ZN4vllm3moe10topkGatingILi8ELi512ELi4ELi16ELi64EjfLNS0_11ScoringFuncE0EEEvPKT5_PKbPfiPT4_PiiiibPKf,comdat
.Lfunc_end42:
	.size	_ZN4vllm3moe10topkGatingILi8ELi512ELi4ELi16ELi64EjfLNS0_11ScoringFuncE0EEEvPKT5_PKbPfiPT4_PiiiibPKf, .Lfunc_end42-_ZN4vllm3moe10topkGatingILi8ELi512ELi4ELi16ELi64EjfLNS0_11ScoringFuncE0EEEvPKT5_PKbPfiPT4_PiiiibPKf
                                        ; -- End function
	.section	.AMDGPU.csdata,"",@progbits
; Kernel info:
; codeLenInByte = 3536
; NumSgprs: 30
; NumVgprs: 42
; NumAgprs: 0
; TotalNumVgprs: 42
; ScratchSize: 0
; MemoryBound: 0
; FloatMode: 240
; IeeeMode: 1
; LDSByteSize: 0 bytes/workgroup (compile time only)
; SGPRBlocks: 3
; VGPRBlocks: 5
; NumSGPRsForWavesPerEU: 30
; NumVGPRsForWavesPerEU: 42
; AccumOffset: 44
; Occupancy: 8
; WaveLimiterHint : 1
; COMPUTE_PGM_RSRC2:SCRATCH_EN: 0
; COMPUTE_PGM_RSRC2:USER_SGPR: 6
; COMPUTE_PGM_RSRC2:TRAP_HANDLER: 0
; COMPUTE_PGM_RSRC2:TGID_X_EN: 1
; COMPUTE_PGM_RSRC2:TGID_Y_EN: 0
; COMPUTE_PGM_RSRC2:TGID_Z_EN: 0
; COMPUTE_PGM_RSRC2:TIDIG_COMP_CNT: 1
; COMPUTE_PGM_RSRC3_GFX90A:ACCUM_OFFSET: 10
; COMPUTE_PGM_RSRC3_GFX90A:TG_SPLIT: 0
	.section	.text._ZN4vllm3moe10topkGatingILi16ELi512ELi4ELi16ELi32EjfLNS0_11ScoringFuncE0EEEvPKT5_PKbPfiPT4_PiiiibPKf,"axG",@progbits,_ZN4vllm3moe10topkGatingILi16ELi512ELi4ELi16ELi32EjfLNS0_11ScoringFuncE0EEEvPKT5_PKbPfiPT4_PiiiibPKf,comdat
	.protected	_ZN4vllm3moe10topkGatingILi16ELi512ELi4ELi16ELi32EjfLNS0_11ScoringFuncE0EEEvPKT5_PKbPfiPT4_PiiiibPKf ; -- Begin function _ZN4vllm3moe10topkGatingILi16ELi512ELi4ELi16ELi32EjfLNS0_11ScoringFuncE0EEEvPKT5_PKbPfiPT4_PiiiibPKf
	.globl	_ZN4vllm3moe10topkGatingILi16ELi512ELi4ELi16ELi32EjfLNS0_11ScoringFuncE0EEEvPKT5_PKbPfiPT4_PiiiibPKf
	.p2align	8
	.type	_ZN4vllm3moe10topkGatingILi16ELi512ELi4ELi16ELi32EjfLNS0_11ScoringFuncE0EEEvPKT5_PKbPfiPT4_PiiiibPKf,@function
_ZN4vllm3moe10topkGatingILi16ELi512ELi4ELi16ELi32EjfLNS0_11ScoringFuncE0EEEvPKT5_PKbPfiPT4_PiiiibPKf: ; @_ZN4vllm3moe10topkGatingILi16ELi512ELi4ELi16ELi32EjfLNS0_11ScoringFuncE0EEEvPKT5_PKbPfiPT4_PiiiibPKf
; %bb.0:
	s_load_dword s24, s[4:5], 0x18
	v_and_b32_e32 v1, 0x3ff, v0
	s_lshl_b32 s0, s6, 2
	v_lshrrev_b32_e32 v2, 5, v1
	v_bfe_u32 v0, v0, 10, 10
	v_add3_u32 v33, s0, v0, v2
	s_waitcnt lgkmcnt(0)
	v_cmp_gt_i32_e32 vcc, s24, v33
	s_and_saveexec_b64 s[0:1], vcc
	s_cbranch_execz .LBB43_38
; %bb.1:
	s_load_dwordx4 s[0:3], s[4:5], 0x0
	s_load_dwordx2 s[16:17], s[4:5], 0x10
	s_mov_b64 s[6:7], -1
	s_mov_b64 s[18:19], -1
	s_waitcnt lgkmcnt(0)
	s_cmp_eq_u64 s[2:3], 0
	s_cbranch_scc1 .LBB43_3
; %bb.2:
	v_ashrrev_i32_e32 v0, 31, v33
	v_mov_b32_e32 v3, s3
	v_add_co_u32_e32 v2, vcc, s2, v33
	v_addc_co_u32_e32 v3, vcc, v3, v0, vcc
	global_load_ubyte v0, v[2:3], off
	s_waitcnt vmcnt(0)
	v_and_b32_e32 v0, 1, v0
	v_cmp_eq_u32_e32 vcc, 1, v0
	s_xor_b64 s[2:3], vcc, -1
	s_orn2_b64 s[18:19], s[2:3], exec
.LBB43_3:
	v_lshlrev_b32_e32 v2, 9, v33
	v_ashrrev_i32_e32 v3, 31, v2
	v_lshlrev_b64 v[2:3], 2, v[2:3]
	v_mov_b32_e32 v0, s1
	v_add_co_u32_e32 v2, vcc, s0, v2
	v_and_b32_e32 v37, 31, v1
	v_addc_co_u32_e32 v0, vcc, v0, v3, vcc
	v_lshlrev_b32_e32 v1, 4, v37
	v_add_co_u32_e32 v12, vcc, v2, v1
	v_addc_co_u32_e32 v13, vcc, 0, v0, vcc
	global_load_dwordx4 v[14:17], v[12:13], off
	global_load_dwordx4 v[8:11], v[12:13], off offset:512
	global_load_dwordx4 v[4:7], v[12:13], off offset:1024
	global_load_dwordx4 v[0:3], v[12:13], off offset:1536
	v_mbcnt_lo_u32_b32 v12, -1, 0
	v_mbcnt_hi_u32_b32 v12, -1, v12
	v_and_b32_e32 v13, 0x60, v12
	v_xor_b32_e32 v18, 16, v12
	v_add_u32_e32 v13, 32, v13
	v_cmp_lt_i32_e32 vcc, v18, v13
	v_cndmask_b32_e32 v18, v12, v18, vcc
	v_lshlrev_b32_e32 v38, 2, v18
	v_xor_b32_e32 v19, 8, v12
	v_cmp_lt_i32_e32 vcc, v19, v13
	v_cndmask_b32_e32 v19, v12, v19, vcc
	v_lshlrev_b32_e32 v39, 2, v19
	v_xor_b32_e32 v22, 4, v12
	v_cmp_lt_i32_e32 vcc, v22, v13
	v_cndmask_b32_e32 v22, v12, v22, vcc
	v_lshlrev_b32_e32 v40, 2, v22
	v_xor_b32_e32 v22, 1, v12
	s_mov_b32 s2, 0x3fb8aa3b
	s_mov_b32 s0, 0xc2ce8ed0
	;; [unrolled: 1-line block ×3, first 2 shown]
	v_mov_b32_e32 v20, 0x7f800000
	v_lshlrev_b32_e32 v43, 2, v37
	s_waitcnt vmcnt(3)
	v_max_f32_e32 v18, v15, v15
	v_max_f32_e32 v21, v14, v14
	;; [unrolled: 1-line block ×3, first 2 shown]
	v_max3_f32 v18, v18, v16, v17
	s_waitcnt vmcnt(2)
	v_max3_f32 v18, v18, v8, v9
	v_max3_f32 v18, v18, v10, v11
	s_waitcnt vmcnt(1)
	v_max3_f32 v18, v18, v4, v5
	;; [unrolled: 3-line block ×3, first 2 shown]
	v_max3_f32 v18, v18, v2, v3
	ds_bpermute_b32 v21, v38, v18
	s_waitcnt lgkmcnt(0)
	v_max_f32_e32 v19, v21, v21
	v_max_f32_e32 v18, v18, v19
	ds_bpermute_b32 v19, v39, v18
	v_xor_b32_e32 v21, 2, v12
	v_cmp_lt_i32_e32 vcc, v21, v13
	v_cndmask_b32_e32 v21, v12, v21, vcc
	v_lshlrev_b32_e32 v41, 2, v21
	s_waitcnt lgkmcnt(0)
	v_max_f32_e32 v19, v19, v19
	v_max_f32_e32 v18, v18, v19
	ds_bpermute_b32 v19, v40, v18
	v_cmp_lt_i32_e32 vcc, v22, v13
	v_cndmask_b32_e32 v12, v12, v22, vcc
	v_lshlrev_b32_e32 v42, 2, v12
	v_mov_b32_e32 v12, v17
	s_waitcnt lgkmcnt(0)
	v_max_f32_e32 v19, v19, v19
	v_max_f32_e32 v21, v18, v19
	ds_bpermute_b32 v23, v41, v21
	v_mov_b32_e32 v18, v9
	v_mov_b32_e32 v19, v10
	;; [unrolled: 1-line block ×4, first 2 shown]
	s_waitcnt lgkmcnt(0)
	v_max_f32_e32 v9, v23, v23
	v_max_f32_e32 v10, v21, v9
	ds_bpermute_b32 v21, v42, v10
	v_mov_b32_e32 v9, v4
	s_waitcnt lgkmcnt(0)
	v_max_f32_e32 v4, v21, v21
	v_max_f32_e32 v4, v10, v4
	v_sub_f32_e32 v14, v14, v4
	v_sub_f32_e32 v15, v15, v4
	v_mul_f32_e32 v17, 0x3fb8aa3b, v14
	v_sub_f32_e32 v16, v16, v4
	v_pk_add_f32 v[10:11], v[18:19], v[4:5] op_sel_hi:[1,0] neg_lo:[0,1] neg_hi:[0,1]
	v_mul_f32_e32 v18, 0x3fb8aa3b, v15
	v_fma_f32 v23, v14, s2, -v17
	v_rndne_f32_e32 v24, v17
	v_mul_f32_e32 v19, 0x3fb8aa3b, v16
	v_fma_f32 v25, v15, s2, -v18
	v_rndne_f32_e32 v26, v18
	v_fmac_f32_e32 v23, 0x32a5705f, v14
	v_sub_f32_e32 v17, v17, v24
	v_mul_f32_e32 v21, 0x3fb8aa3b, v11
	v_fma_f32 v27, v16, s2, -v19
	v_rndne_f32_e32 v28, v19
	v_fmac_f32_e32 v25, 0x32a5705f, v15
	v_sub_f32_e32 v18, v18, v26
	v_add_f32_e32 v17, v17, v23
	v_fma_f32 v29, v11, s2, -v21
	v_rndne_f32_e32 v30, v21
	v_cvt_i32_f32_e32 v24, v24
	v_fmac_f32_e32 v27, 0x32a5705f, v16
	v_sub_f32_e32 v19, v19, v28
	v_add_f32_e32 v18, v18, v25
	v_exp_f32_e32 v17, v17
	v_cvt_i32_f32_e32 v26, v26
	v_fmac_f32_e32 v29, 0x32a5705f, v11
	v_sub_f32_e32 v21, v21, v30
	v_add_f32_e32 v19, v19, v27
	v_exp_f32_e32 v18, v18
	v_cvt_i32_f32_e32 v28, v28
	v_add_f32_e32 v21, v21, v29
	v_exp_f32_e32 v19, v19
	v_cvt_i32_f32_e32 v30, v30
	v_exp_f32_e32 v21, v21
	v_mul_f32_e32 v22, 0x3fb8aa3b, v10
	v_ldexp_f32 v17, v17, v24
	v_cmp_ngt_f32_e32 vcc, s0, v14
	v_fma_f32 v31, v10, s2, -v22
	v_rndne_f32_e32 v32, v22
	v_ldexp_f32 v18, v18, v26
	v_cndmask_b32_e32 v17, 0, v17, vcc
	v_cmp_ngt_f32_e32 vcc, s0, v15
	v_fmac_f32_e32 v31, 0x32a5705f, v10
	v_sub_f32_e32 v22, v22, v32
	v_ldexp_f32 v19, v19, v28
	v_cndmask_b32_e32 v18, 0, v18, vcc
	v_cmp_ngt_f32_e32 vcc, s0, v16
	v_add_f32_e32 v22, v22, v31
	v_ldexp_f32 v21, v21, v30
	v_cndmask_b32_e32 v19, 0, v19, vcc
	v_cmp_ngt_f32_e32 vcc, s0, v11
	v_cvt_i32_f32_e32 v32, v32
	v_exp_f32_e32 v22, v22
	v_cndmask_b32_e32 v21, 0, v21, vcc
	v_cmp_nlt_f32_e32 vcc, s1, v14
	v_cndmask_b32_e32 v14, v20, v17, vcc
	v_cmp_nlt_f32_e32 vcc, s1, v15
	v_cndmask_b32_e32 v15, v20, v18, vcc
	v_cmp_nlt_f32_e32 vcc, s1, v16
	v_sub_f32_e32 v5, v5, v4
	v_cndmask_b32_e32 v16, v20, v19, vcc
	v_cmp_nlt_f32_e32 vcc, s1, v11
	v_mul_f32_e32 v19, 0x3fb8aa3b, v5
	v_cndmask_b32_e32 v11, v20, v21, vcc
	v_ldexp_f32 v18, v22, v32
	v_fma_f32 v21, v5, s2, -v19
	v_rndne_f32_e32 v22, v19
	v_fmac_f32_e32 v21, 0x32a5705f, v5
	v_sub_f32_e32 v19, v19, v22
	v_add_f32_e32 v19, v19, v21
	v_exp_f32_e32 v19, v19
	v_cvt_i32_f32_e32 v21, v22
	v_cmp_ngt_f32_e32 vcc, s0, v10
	v_cndmask_b32_e32 v18, 0, v18, vcc
	v_cmp_nlt_f32_e32 vcc, s1, v10
	v_sub_f32_e32 v6, v6, v4
	v_cndmask_b32_e32 v10, v20, v18, vcc
	v_ldexp_f32 v18, v19, v21
	v_mul_f32_e32 v19, 0x3fb8aa3b, v6
	v_fma_f32 v21, v6, s2, -v19
	v_rndne_f32_e32 v22, v19
	v_fmac_f32_e32 v21, 0x32a5705f, v6
	v_sub_f32_e32 v19, v19, v22
	v_add_f32_e32 v19, v19, v21
	v_exp_f32_e32 v19, v19
	v_cvt_i32_f32_e32 v21, v22
	v_cmp_ngt_f32_e32 vcc, s0, v5
	v_sub_f32_e32 v7, v7, v4
	v_cndmask_b32_e32 v18, 0, v18, vcc
	v_cmp_nlt_f32_e32 vcc, s1, v5
	v_ldexp_f32 v5, v19, v21
	v_mul_f32_e32 v19, 0x3fb8aa3b, v7
	v_fma_f32 v21, v7, s2, -v19
	v_rndne_f32_e32 v22, v19
	v_fmac_f32_e32 v21, 0x32a5705f, v7
	v_sub_f32_e32 v19, v19, v22
	v_add_f32_e32 v19, v19, v21
	v_exp_f32_e32 v19, v19
	v_cvt_i32_f32_e32 v21, v22
	v_cndmask_b32_e32 v18, v20, v18, vcc
	v_cmp_ngt_f32_e32 vcc, s0, v6
	v_cndmask_b32_e32 v5, 0, v5, vcc
	v_cmp_nlt_f32_e32 vcc, s1, v6
	v_cndmask_b32_e32 v22, v20, v5, vcc
	v_ldexp_f32 v5, v19, v21
	v_pk_add_f32 v[0:1], v[0:1], v[4:5] op_sel_hi:[1,0] neg_lo:[0,1] neg_hi:[0,1]
	v_mul_f32_e32 v6, 0x3fb8aa3b, v1
	v_fma_f32 v19, v1, s2, -v6
	v_rndne_f32_e32 v21, v6
	v_fmac_f32_e32 v19, 0x32a5705f, v1
	v_sub_f32_e32 v6, v6, v21
	v_add_f32_e32 v6, v6, v19
	v_exp_f32_e32 v6, v6
	v_cvt_i32_f32_e32 v19, v21
	v_cmp_ngt_f32_e32 vcc, s0, v7
	v_cndmask_b32_e32 v5, 0, v5, vcc
	v_cmp_nlt_f32_e32 vcc, s1, v7
	v_cndmask_b32_e32 v21, v20, v5, vcc
	v_ldexp_f32 v5, v6, v19
	v_mul_f32_e32 v6, 0x3fb8aa3b, v0
	v_fma_f32 v7, v0, s2, -v6
	v_rndne_f32_e32 v19, v6
	v_fmac_f32_e32 v7, 0x32a5705f, v0
	v_sub_f32_e32 v6, v6, v19
	v_add_f32_e32 v6, v6, v7
	v_exp_f32_e32 v6, v6
	v_cvt_i32_f32_e32 v7, v19
	v_cmp_ngt_f32_e32 vcc, s0, v1
	v_cndmask_b32_e32 v5, 0, v5, vcc
	v_cmp_nlt_f32_e32 vcc, s1, v1
	v_cndmask_b32_e32 v1, v20, v5, vcc
	v_ldexp_f32 v5, v6, v7
	v_pk_add_f32 v[2:3], v[2:3], v[4:5] op_sel_hi:[1,0] neg_lo:[0,1] neg_hi:[0,1]
	v_mul_f32_e32 v6, 0x3fb8aa3b, v3
	v_fma_f32 v7, v3, s2, -v6
	v_rndne_f32_e32 v19, v6
	v_fmac_f32_e32 v7, 0x32a5705f, v3
	v_sub_f32_e32 v6, v6, v19
	v_add_f32_e32 v6, v6, v7
	v_exp_f32_e32 v6, v6
	v_cvt_i32_f32_e32 v7, v19
	v_cmp_ngt_f32_e32 vcc, s0, v0
	v_cndmask_b32_e32 v5, 0, v5, vcc
	v_cmp_nlt_f32_e32 vcc, s1, v0
	v_cndmask_b32_e32 v0, v20, v5, vcc
	v_ldexp_f32 v5, v6, v7
	v_mul_f32_e32 v6, 0x3fb8aa3b, v2
	v_fma_f32 v7, v2, s2, -v6
	v_rndne_f32_e32 v19, v6
	v_fmac_f32_e32 v7, 0x32a5705f, v2
	v_sub_f32_e32 v6, v6, v19
	v_add_f32_e32 v6, v6, v7
	v_exp_f32_e32 v6, v6
	v_cvt_i32_f32_e32 v7, v19
	;; [unrolled: 27-line block ×3, first 2 shown]
	v_cmp_ngt_f32_e32 vcc, s0, v7
	v_cndmask_b32_e32 v5, 0, v5, vcc
	v_cmp_nlt_f32_e32 vcc, s1, v7
	v_cndmask_b32_e32 v7, v20, v5, vcc
	v_ldexp_f32 v5, v12, v13
	v_cmp_ngt_f32_e32 vcc, s0, v6
	v_cndmask_b32_e32 v5, 0, v5, vcc
	v_cmp_nlt_f32_e32 vcc, s1, v6
	v_cndmask_b32_e32 v6, v20, v5, vcc
	v_pk_add_f32 v[4:5], v[8:9], v[4:5] op_sel_hi:[1,0] neg_lo:[0,1] neg_hi:[0,1]
	v_mul_f32_e32 v8, 0x3fb8aa3b, v5
	v_fma_f32 v9, v5, s2, -v8
	v_rndne_f32_e32 v13, v8
	v_fmac_f32_e32 v9, 0x32a5705f, v5
	v_sub_f32_e32 v8, v8, v13
	v_add_f32_e32 v8, v8, v9
	v_exp_f32_e32 v8, v8
	v_cvt_i32_f32_e32 v9, v13
	v_add_f32_e32 v17, v14, v15
	v_add_f32_e32 v17, v17, v16
	;; [unrolled: 1-line block ×3, first 2 shown]
	v_ldexp_f32 v8, v8, v9
	v_mul_f32_e32 v9, 0x3fb8aa3b, v4
	v_fma_f32 v13, v4, s2, -v9
	v_rndne_f32_e32 v17, v9
	v_fmac_f32_e32 v13, 0x32a5705f, v4
	v_sub_f32_e32 v9, v9, v17
	v_add_f32_e32 v9, v9, v13
	v_exp_f32_e32 v9, v9
	v_cvt_i32_f32_e32 v13, v17
	v_cmp_ngt_f32_e32 vcc, s0, v5
	v_cndmask_b32_e32 v8, 0, v8, vcc
	v_cmp_nlt_f32_e32 vcc, s1, v5
	v_add_f32_e32 v12, v12, v7
	v_cndmask_b32_e32 v5, v20, v8, vcc
	v_ldexp_f32 v8, v9, v13
	v_cmp_ngt_f32_e32 vcc, s0, v4
	v_add_f32_e32 v12, v12, v10
	v_cndmask_b32_e32 v8, 0, v8, vcc
	v_cmp_nlt_f32_e32 vcc, s1, v4
	v_add_f32_e32 v12, v12, v11
	v_cndmask_b32_e32 v4, v20, v8, vcc
	v_add_f32_e32 v8, v12, v4
	v_add_f32_e32 v8, v8, v5
	;; [unrolled: 1-line block ×9, first 2 shown]
	ds_bpermute_b32 v9, v38, v8
	s_movk_i32 s2, 0x1f8
	s_waitcnt lgkmcnt(0)
	v_add_f32_e32 v8, v8, v9
	ds_bpermute_b32 v9, v39, v8
	s_waitcnt lgkmcnt(0)
	v_add_f32_e32 v8, v8, v9
	ds_bpermute_b32 v9, v40, v8
	s_waitcnt lgkmcnt(0)
	v_add_f32_e32 v8, v8, v9
	ds_bpermute_b32 v9, v41, v8
	s_waitcnt lgkmcnt(0)
	v_add_f32_e32 v8, v8, v9
	ds_bpermute_b32 v9, v42, v8
	s_waitcnt lgkmcnt(0)
	v_add_f32_e32 v8, v8, v9
	v_div_scale_f32 v9, s[0:1], v8, v8, 1.0
	v_rcp_f32_e32 v12, v9
	s_load_dwordx2 s[0:1], s[4:5], 0x40
	v_fma_f32 v13, -v9, v12, 1.0
	v_fmac_f32_e32 v12, v13, v12
	v_div_scale_f32 v13, vcc, 1.0, v8, 1.0
	v_mul_f32_e32 v17, v13, v12
	v_fma_f32 v19, -v9, v17, v13
	v_fmac_f32_e32 v17, v19, v12
	v_fma_f32 v9, -v9, v17, v13
	v_div_fmas_f32 v9, v9, v12, v17
	v_div_fixup_f32 v8, v9, v8, 1.0
	v_mul_f32_e32 v9, v8, v14
	v_mul_f32_e32 v19, v8, v15
	v_cmp_class_f32_e64 vcc, v9, s2
	v_mul_f32_e32 v20, v8, v16
	v_pk_mul_f32 v[14:15], v[8:9], v[0:1] op_sel_hi:[0,1]
	v_cndmask_b32_e32 v0, 0, v9, vcc
	v_cmp_class_f32_e64 vcc, v19, s2
	v_pk_mul_f32 v[6:7], v[8:9], v[6:7] op_sel_hi:[0,1]
	v_cndmask_b32_e32 v1, 0, v19, vcc
	v_cmp_class_f32_e64 vcc, v20, s2
	v_mov_b32_e32 v19, 0x207
	v_pk_mul_f32 v[16:17], v[8:9], v[2:3] op_sel_hi:[0,1]
	v_cndmask_b32_e32 v2, 0, v20, vcc
	v_cmp_class_f32_e32 vcc, v7, v19
	v_pk_mul_f32 v[10:11], v[8:9], v[10:11] op_sel_hi:[0,1]
	v_pk_mul_f32 v[12:13], v[8:9], v[4:5] op_sel_hi:[0,1]
	v_cndmask_b32_e64 v4, v7, 0, vcc
	v_cmp_class_f32_e32 vcc, v6, v19
	v_cndmask_b32_e64 v3, v6, 0, vcc
	v_cmp_class_f32_e32 vcc, v11, v19
	v_cndmask_b32_e64 v6, v11, 0, vcc
	v_cmp_class_f32_e32 vcc, v10, v19
	v_cndmask_b32_e64 v5, v10, 0, vcc
	v_cmp_class_f32_e32 vcc, v13, v19
	v_mul_f32_e32 v18, v8, v18
	v_mul_f32_e32 v22, v8, v22
	;; [unrolled: 1-line block ×3, first 2 shown]
	v_cndmask_b32_e64 v8, v13, 0, vcc
	v_cmp_class_f32_e32 vcc, v12, v19
	v_cndmask_b32_e64 v7, v12, 0, vcc
	v_cmp_class_f32_e64 vcc, v18, s2
	v_cndmask_b32_e32 v9, 0, v18, vcc
	v_cmp_class_f32_e64 vcc, v22, s2
	v_cndmask_b32_e32 v10, 0, v22, vcc
	;; [unrolled: 2-line block ×3, first 2 shown]
	v_cmp_class_f32_e32 vcc, v15, v19
	v_cndmask_b32_e64 v13, v15, 0, vcc
	v_cmp_class_f32_e32 vcc, v14, v19
	v_cndmask_b32_e64 v12, v14, 0, vcc
	;; [unrolled: 2-line block ×3, first 2 shown]
	v_cmp_class_f32_e32 vcc, v16, v19
	s_waitcnt lgkmcnt(0)
	s_cmp_eq_u64 s[0:1], 0
	v_cndmask_b32_e64 v14, v16, 0, vcc
	s_cbranch_scc1 .LBB43_27
; %bb.4:
	v_lshlrev_b32_e32 v32, 2, v43
	global_load_dwordx4 v[16:19], v32, s[0:1]
	global_load_dwordx4 v[20:23], v32, s[0:1] offset:512
	global_load_dwordx4 v[24:27], v32, s[0:1] offset:1024
	global_load_dwordx4 v[28:31], v32, s[0:1] offset:1536
	s_waitcnt vmcnt(3)
	v_pk_add_f32 v[16:17], v[16:17], v[0:1]
	v_pk_add_f32 v[18:19], v[18:19], v[2:3]
	s_waitcnt vmcnt(2)
	v_pk_add_f32 v[20:21], v[20:21], v[4:5]
	v_pk_add_f32 v[22:23], v[22:23], v[6:7]
	s_waitcnt vmcnt(1)
	v_pk_add_f32 v[24:25], v[24:25], v[8:9]
	v_pk_add_f32 v[26:27], v[26:27], v[10:11]
	s_waitcnt vmcnt(0)
	v_pk_add_f32 v[28:29], v[28:29], v[12:13]
	v_pk_add_f32 v[30:31], v[30:31], v[14:15]
	s_cbranch_execnz .LBB43_6
.LBB43_5:
	v_pk_mov_b32 v[30:31], v[14:15], v[14:15] op_sel:[0,1]
	v_pk_mov_b32 v[28:29], v[12:13], v[12:13] op_sel:[0,1]
	;; [unrolled: 1-line block ×8, first 2 shown]
.LBB43_6:
	s_load_dwordx4 s[8:11], s[4:5], 0x30
	s_mov_b32 s25, 0
	v_cmp_eq_u32_e64 s[0:1], 0, v37
	s_waitcnt lgkmcnt(0)
	s_bitcmp1_b32 s11, 0
	s_cselect_b64 vcc, -1, 0
	s_cmp_gt_i32 s8, 0
	s_cselect_b64 s[20:21], -1, 0
	s_cmp_lt_i32 s8, 1
	s_cbranch_scc1 .LBB43_28
; %bb.7:
	s_load_dwordx4 s[12:15], s[4:5], 0x20
	v_mul_lo_u32 v45, v33, s8
	v_mov_b32_e32 v44, 0
	v_mov_b32_e32 v46, 0x81
	;; [unrolled: 1-line block ×6, first 2 shown]
	v_bfrev_b32_e32 v51, 4.0
	v_bfrev_b32_e32 v52, -4.0
	v_mov_b32_e32 v53, 0x180
	v_mov_b32_e32 v54, 0x181
	;; [unrolled: 1-line block ×7, first 2 shown]
	s_branch .LBB43_10
.LBB43_8:                               ;   in Loop: Header=BB43_10 Depth=1
	s_or_b64 exec, exec, s[4:5]
.LBB43_9:                               ;   in Loop: Header=BB43_10 Depth=1
	s_cmp_eq_u32 s8, s25
	v_add_u32_e32 v59, s24, v59
	s_cbranch_scc1 .LBB43_29
.LBB43_10:                              ; =>This Inner Loop Header: Depth=1
	v_cmp_gt_f32_e64 s[2:3], v17, v16
	v_cndmask_b32_e64 v32, v16, v17, s[2:3]
	v_cndmask_b32_e64 v34, v0, v1, s[2:3]
	s_waitcnt lgkmcnt(0)
	v_cndmask_b32_e64 v35, 0, 1, s[2:3]
	v_cmp_gt_f32_e64 s[2:3], v18, v32
	v_cndmask_b32_e64 v32, v32, v18, s[2:3]
	v_cndmask_b32_e64 v34, v34, v2, s[2:3]
	;; [unrolled: 1-line block ×3, first 2 shown]
	v_cmp_gt_f32_e64 s[2:3], v19, v32
	v_cndmask_b32_e64 v32, v32, v19, s[2:3]
	v_cndmask_b32_e64 v34, v34, v3, s[2:3]
	;; [unrolled: 1-line block ×3, first 2 shown]
	v_cmp_gt_f32_e64 s[2:3], v20, v32
	v_cndmask_b32_e64 v32, v32, v20, s[2:3]
	v_mov_b32_e32 v36, 0x80
	v_cndmask_b32_e64 v34, v34, v4, s[2:3]
	v_cndmask_b32_e64 v35, v35, v36, s[2:3]
	v_cmp_gt_f32_e64 s[2:3], v21, v32
	v_cndmask_b32_e64 v32, v32, v21, s[2:3]
	v_cndmask_b32_e64 v34, v34, v5, s[2:3]
	v_cndmask_b32_e64 v35, v35, v46, s[2:3]
	v_cmp_gt_f32_e64 s[2:3], v22, v32
	v_cndmask_b32_e64 v32, v32, v22, s[2:3]
	v_cndmask_b32_e64 v34, v34, v6, s[2:3]
	v_cndmask_b32_e64 v35, v35, v47, s[2:3]
	v_cmp_gt_f32_e64 s[2:3], v23, v32
	v_cndmask_b32_e64 v32, v32, v23, s[2:3]
	v_cndmask_b32_e64 v34, v34, v7, s[2:3]
	v_cndmask_b32_e64 v35, v35, v48, s[2:3]
	v_cmp_gt_f32_e64 s[2:3], v24, v32
	v_cndmask_b32_e64 v32, v32, v24, s[2:3]
	v_cndmask_b32_e64 v34, v34, v8, s[2:3]
	v_cndmask_b32_e64 v35, v35, v49, s[2:3]
	v_cmp_gt_f32_e64 s[2:3], v25, v32
	v_cndmask_b32_e64 v32, v32, v25, s[2:3]
	v_cndmask_b32_e64 v34, v34, v9, s[2:3]
	v_cndmask_b32_e64 v35, v35, v50, s[2:3]
	v_cmp_gt_f32_e64 s[2:3], v26, v32
	v_cndmask_b32_e64 v32, v32, v26, s[2:3]
	v_cndmask_b32_e64 v34, v34, v10, s[2:3]
	v_cndmask_b32_e64 v35, v35, v51, s[2:3]
	v_cmp_gt_f32_e64 s[2:3], v27, v32
	v_cndmask_b32_e64 v32, v32, v27, s[2:3]
	v_cndmask_b32_e64 v34, v34, v11, s[2:3]
	v_cndmask_b32_e64 v35, v35, v52, s[2:3]
	v_cmp_gt_f32_e64 s[2:3], v28, v32
	v_cndmask_b32_e64 v32, v32, v28, s[2:3]
	v_cndmask_b32_e64 v34, v34, v12, s[2:3]
	v_cndmask_b32_e64 v35, v35, v53, s[2:3]
	v_cmp_gt_f32_e64 s[2:3], v29, v32
	v_cndmask_b32_e64 v32, v32, v29, s[2:3]
	v_cndmask_b32_e64 v34, v34, v13, s[2:3]
	v_cndmask_b32_e64 v35, v35, v54, s[2:3]
	v_cmp_gt_f32_e64 s[2:3], v30, v32
	v_cndmask_b32_e64 v32, v32, v30, s[2:3]
	v_cndmask_b32_e64 v34, v34, v14, s[2:3]
	v_cndmask_b32_e64 v35, v35, v55, s[2:3]
	v_cmp_gt_f32_e64 s[2:3], v31, v32
	v_cndmask_b32_e64 v35, v35, v56, s[2:3]
	v_cndmask_b32_e64 v32, v32, v31, s[2:3]
	v_or_b32_e32 v35, v43, v35
	ds_bpermute_b32 v36, v38, v32
	ds_bpermute_b32 v60, v38, v35
	v_cndmask_b32_e64 v34, v34, v15, s[2:3]
	ds_bpermute_b32 v62, v38, v34
	s_waitcnt lgkmcnt(0)
	v_cmp_eq_f32_e64 s[4:5], v32, v36
	v_cmp_lt_i32_e64 s[6:7], v60, v35
	v_cmp_lt_f32_e64 s[2:3], v32, v36
	s_and_b64 s[4:5], s[4:5], s[6:7]
	s_or_b64 s[2:3], s[2:3], s[4:5]
	v_cndmask_b32_e64 v61, v35, v60, s[2:3]
	v_cndmask_b32_e64 v60, v32, v36, s[2:3]
	;; [unrolled: 1-line block ×3, first 2 shown]
	ds_bpermute_b32 v63, v39, v60
	ds_bpermute_b32 v36, v39, v32
	;; [unrolled: 1-line block ×3, first 2 shown]
                                        ; implicit-def: $vgpr34_vgpr35
	s_waitcnt lgkmcnt(2)
	v_cmp_lt_f32_e64 s[6:7], v60, v63
	v_cmp_nlt_f32_e64 s[2:3], v60, v63
	s_and_saveexec_b64 s[22:23], s[2:3]
	s_cbranch_execz .LBB43_12
; %bb.11:                               ;   in Loop: Header=BB43_10 Depth=1
	v_cmp_eq_f32_e64 s[2:3], v60, v63
	s_waitcnt lgkmcnt(0)
	v_cmp_lt_i32_e64 s[4:5], v62, v61
	s_and_b64 s[2:3], s[2:3], s[4:5]
	s_andn2_b64 s[4:5], s[6:7], exec
	s_and_b64 s[2:3], s[2:3], exec
	s_or_b64 s[6:7], s[4:5], s[2:3]
	v_pk_mov_b32 v[34:35], v[32:33], v[32:33] op_sel:[0,1]
.LBB43_12:                              ;   in Loop: Header=BB43_10 Depth=1
	s_or_b64 exec, exec, s[22:23]
	s_and_saveexec_b64 s[2:3], s[6:7]
	s_cbranch_execz .LBB43_14
; %bb.13:                               ;   in Loop: Header=BB43_10 Depth=1
	v_mov_b32_e32 v60, v63
	s_waitcnt lgkmcnt(1)
	v_mov_b32_e32 v32, v36
	s_waitcnt lgkmcnt(0)
	v_mov_b32_e32 v61, v62
	v_pk_mov_b32 v[34:35], v[36:37], v[36:37] op_sel:[0,1]
.LBB43_14:                              ;   in Loop: Header=BB43_10 Depth=1
	s_or_b64 exec, exec, s[2:3]
	s_waitcnt lgkmcnt(0)
	ds_bpermute_b32 v62, v40, v60
	ds_bpermute_b32 v36, v40, v32
	;; [unrolled: 1-line block ×3, first 2 shown]
	s_waitcnt lgkmcnt(2)
	v_cmp_lt_f32_e64 s[6:7], v60, v62
	v_cmp_nlt_f32_e64 s[2:3], v60, v62
	s_and_saveexec_b64 s[22:23], s[2:3]
	s_cbranch_execz .LBB43_16
; %bb.15:                               ;   in Loop: Header=BB43_10 Depth=1
	v_cmp_eq_f32_e64 s[2:3], v60, v62
	s_waitcnt lgkmcnt(0)
	v_cmp_lt_i32_e64 s[4:5], v35, v61
	s_and_b64 s[2:3], s[2:3], s[4:5]
	s_andn2_b64 s[4:5], s[6:7], exec
	s_and_b64 s[2:3], s[2:3], exec
	s_or_b64 s[6:7], s[4:5], s[2:3]
.LBB43_16:                              ;   in Loop: Header=BB43_10 Depth=1
	s_or_b64 exec, exec, s[22:23]
	s_and_saveexec_b64 s[2:3], s[6:7]
	s_cbranch_execz .LBB43_18
; %bb.17:                               ;   in Loop: Header=BB43_10 Depth=1
	v_mov_b32_e32 v60, v62
	s_waitcnt lgkmcnt(1)
	v_mov_b32_e32 v32, v36
	s_waitcnt lgkmcnt(0)
	v_mov_b32_e32 v61, v35
	v_pk_mov_b32 v[34:35], v[36:37], v[36:37] op_sel:[0,1]
.LBB43_18:                              ;   in Loop: Header=BB43_10 Depth=1
	s_or_b64 exec, exec, s[2:3]
	ds_bpermute_b32 v62, v41, v60
	s_waitcnt lgkmcnt(2)
	ds_bpermute_b32 v36, v41, v32
	s_waitcnt lgkmcnt(2)
	;; [unrolled: 2-line block ×3, first 2 shown]
	v_cmp_lt_f32_e64 s[6:7], v60, v62
	v_cmp_nlt_f32_e64 s[2:3], v60, v62
	s_and_saveexec_b64 s[22:23], s[2:3]
	s_cbranch_execz .LBB43_20
; %bb.19:                               ;   in Loop: Header=BB43_10 Depth=1
	v_cmp_eq_f32_e64 s[2:3], v60, v62
	s_waitcnt lgkmcnt(0)
	v_cmp_lt_i32_e64 s[4:5], v35, v61
	s_and_b64 s[2:3], s[2:3], s[4:5]
	s_andn2_b64 s[4:5], s[6:7], exec
	s_and_b64 s[2:3], s[2:3], exec
	s_or_b64 s[6:7], s[4:5], s[2:3]
.LBB43_20:                              ;   in Loop: Header=BB43_10 Depth=1
	s_or_b64 exec, exec, s[22:23]
	s_and_saveexec_b64 s[2:3], s[6:7]
	s_cbranch_execz .LBB43_22
; %bb.21:                               ;   in Loop: Header=BB43_10 Depth=1
	v_mov_b32_e32 v60, v62
	s_waitcnt lgkmcnt(1)
	v_mov_b32_e32 v32, v36
	s_waitcnt lgkmcnt(0)
	v_mov_b32_e32 v61, v35
	v_pk_mov_b32 v[34:35], v[36:37], v[36:37] op_sel:[0,1]
.LBB43_22:                              ;   in Loop: Header=BB43_10 Depth=1
	s_or_b64 exec, exec, s[2:3]
	s_waitcnt lgkmcnt(1)
	ds_bpermute_b32 v36, v42, v60
	ds_bpermute_b32 v62, v42, v61
	s_waitcnt lgkmcnt(2)
	ds_bpermute_b32 v35, v42, v32
	s_waitcnt lgkmcnt(2)
	v_cmp_eq_f32_e64 s[4:5], v60, v36
	s_waitcnt lgkmcnt(1)
	v_cmp_lt_i32_e64 s[6:7], v62, v61
	v_cmp_lt_f32_e64 s[2:3], v60, v36
	s_and_b64 s[4:5], s[4:5], s[6:7]
	s_or_b64 s[2:3], s[2:3], s[4:5]
	v_cndmask_b32_e64 v32, v61, v62, s[2:3]
	s_and_saveexec_b64 s[6:7], s[0:1]
	s_cbranch_execnz .LBB43_24
; %bb.23:                               ;   in Loop: Header=BB43_10 Depth=1
	s_or_b64 exec, exec, s[6:7]
	s_add_i32 s25, s25, 1
	s_cmp_ge_i32 s25, s8
	s_cbranch_scc1 .LBB43_9
	s_branch .LBB43_25
.LBB43_24:                              ;   in Loop: Header=BB43_10 Depth=1
	s_waitcnt lgkmcnt(0)
	v_cndmask_b32_e64 v36, v34, v35, s[2:3]
	v_add_u32_e32 v34, s25, v45
	v_ashrrev_i32_e32 v35, 31, v34
	v_cmp_le_i32_e64 s[2:3], s9, v32
	v_cmp_gt_i32_e64 s[4:5], s10, v32
	v_lshlrev_b64 v[34:35], 2, v[34:35]
	s_and_b64 s[4:5], s[2:3], s[4:5]
	v_mov_b32_e32 v61, s17
	v_add_co_u32_e64 v60, s[2:3], s16, v34
	v_addc_co_u32_e64 v61, s[2:3], v61, v35, s[2:3]
	global_store_dword v[60:61], v36, off
	v_subrev_u32_e32 v60, s9, v32
	s_and_b64 s[2:3], s[18:19], s[4:5]
	v_cndmask_b32_e64 v62, v57, v60, s[2:3]
	v_mov_b32_e32 v61, s13
	v_add_co_u32_e64 v60, s[2:3], s12, v34
	v_addc_co_u32_e64 v61, s[2:3], v61, v35, s[2:3]
	global_store_dword v[60:61], v62, off
	v_mov_b32_e32 v60, s15
	v_add_co_u32_e64 v34, s[2:3], s14, v34
	v_addc_co_u32_e64 v35, s[2:3], v60, v35, s[2:3]
	global_store_dword v[34:35], v59, off
	v_add_f32_e32 v34, v44, v36
	v_cndmask_b32_e32 v44, v44, v34, vcc
	s_or_b64 exec, exec, s[6:7]
	s_add_i32 s25, s25, 1
	s_cmp_ge_i32 s25, s8
	s_cbranch_scc1 .LBB43_9
.LBB43_25:                              ;   in Loop: Header=BB43_10 Depth=1
	s_waitcnt lgkmcnt(0)
	v_ashrrev_i32_e32 v35, 31, v32
	v_lshrrev_b32_e32 v34, 30, v35
	v_add_u32_e32 v36, v32, v34
	v_ashrrev_i32_e32 v34, 2, v36
	v_ashrrev_i32_e32 v36, 31, v36
	v_lshrrev_b32_e32 v36, 27, v36
	v_add_u32_e32 v36, v34, v36
	v_and_b32_e32 v36, 0xffffffe0, v36
	v_sub_u32_e32 v36, v34, v36
	v_cmp_eq_u32_e64 s[2:3], v37, v36
	s_and_saveexec_b64 s[4:5], s[2:3]
	s_cbranch_execz .LBB43_8
; %bb.26:                               ;   in Loop: Header=BB43_10 Depth=1
	v_lshrrev_b32_e32 v35, 25, v35
	v_add_u32_e32 v35, v32, v35
	v_lshlrev_b32_e32 v34, 2, v34
	v_ashrrev_i32_e32 v35, 7, v35
	v_sub_u32_e32 v32, v32, v34
	v_lshl_add_u32 v32, v35, 2, v32
	v_cmp_ne_u32_e64 s[2:3], 15, v32
	v_cndmask_b32_e64 v31, v58, v31, s[2:3]
	v_cmp_ne_u32_e64 s[2:3], 14, v32
	v_cndmask_b32_e64 v30, v58, v30, s[2:3]
	;; [unrolled: 2-line block ×16, first 2 shown]
	s_branch .LBB43_8
.LBB43_27:
                                        ; implicit-def: $vgpr16_vgpr17_vgpr18_vgpr19_vgpr20_vgpr21_vgpr22_vgpr23_vgpr24_vgpr25_vgpr26_vgpr27_vgpr28_vgpr29_vgpr30_vgpr31
	s_andn2_b64 vcc, exec, s[6:7]
	s_cbranch_vccz .LBB43_5
	s_branch .LBB43_6
.LBB43_28:
	v_mov_b32_e32 v44, 0
.LBB43_29:
	v_cmp_eq_u32_e64 s[0:1], 0, v37
	s_and_b64 s[0:1], s[0:1], vcc
	s_and_b64 exec, exec, s[0:1]
	s_cbranch_execz .LBB43_38
; %bb.30:
	s_andn2_b64 vcc, exec, s[20:21]
	s_cbranch_vccnz .LBB43_38
; %bb.31:
	v_cmp_lt_f32_e32 vcc, 0, v44
	s_mov_b32 s2, 0
	v_cndmask_b32_e32 v0, 1.0, v44, vcc
	v_mul_lo_u32 v4, v33, s8
	s_cmp_eq_u32 s8, 1
	s_mov_b64 s[0:1], -1
	s_cbranch_scc1 .LBB43_35
; %bb.32:
	s_and_b32 s2, s8, 0x7ffffffe
	v_mov_b32_e32 v1, v0
	v_mov_b32_e32 v5, s17
	s_mov_b32 s3, s2
	v_mov_b32_e32 v2, v4
.LBB43_33:                              ; =>This Inner Loop Header: Depth=1
	v_ashrrev_i32_e32 v3, 31, v2
	v_lshlrev_b64 v[6:7], 2, v[2:3]
	v_add_co_u32_e32 v6, vcc, s16, v6
	v_addc_co_u32_e32 v7, vcc, v5, v7, vcc
	global_load_dwordx2 v[8:9], v[6:7], off
	s_add_i32 s3, s3, -2
	s_cmp_lg_u32 s3, 0
	v_add_u32_e32 v2, 2, v2
	s_waitcnt vmcnt(0)
	v_div_scale_f32 v3, s[0:1], v1, v1, v9
	v_div_scale_f32 v11, s[0:1], v0, v0, v8
	v_rcp_f32_e32 v12, v3
	v_rcp_f32_e32 v13, v11
	v_div_scale_f32 v10, vcc, v9, v1, v9
	v_fma_f32 v15, -v3, v12, 1.0
	v_fma_f32 v16, -v11, v13, 1.0
	v_fmac_f32_e32 v12, v15, v12
	v_div_scale_f32 v14, s[0:1], v8, v0, v8
	v_fmac_f32_e32 v13, v16, v13
	v_mul_f32_e32 v15, v10, v12
	v_mul_f32_e32 v16, v14, v13
	v_fma_f32 v17, -v3, v15, v10
	v_fma_f32 v18, -v11, v16, v14
	v_fmac_f32_e32 v15, v17, v12
	v_fmac_f32_e32 v16, v18, v13
	v_fma_f32 v3, -v3, v15, v10
	v_fma_f32 v10, -v11, v16, v14
	v_div_fmas_f32 v3, v3, v12, v15
	s_mov_b64 vcc, s[0:1]
	v_div_fixup_f32 v9, v3, v1, v9
	v_div_fmas_f32 v3, v10, v13, v16
	v_div_fixup_f32 v8, v3, v0, v8
	global_store_dwordx2 v[6:7], v[8:9], off
	s_cbranch_scc1 .LBB43_33
; %bb.34:
	s_cmp_lg_u32 s2, s8
	s_cselect_b64 s[0:1], -1, 0
.LBB43_35:
	s_and_b64 vcc, exec, s[0:1]
	s_cbranch_vccz .LBB43_38
; %bb.36:
	v_ashrrev_i32_e32 v1, 31, v4
	v_add_co_u32_e32 v2, vcc, s2, v4
	v_addc_co_u32_e32 v3, vcc, 0, v1, vcc
	v_lshlrev_b64 v[2:3], 2, v[2:3]
	v_mov_b32_e32 v1, s17
	v_add_co_u32_e32 v2, vcc, s16, v2
	s_sub_i32 s0, s8, s2
	v_addc_co_u32_e32 v3, vcc, v1, v3, vcc
.LBB43_37:                              ; =>This Inner Loop Header: Depth=1
	global_load_dword v1, v[2:3], off
	s_add_i32 s0, s0, -1
	s_cmp_lg_u32 s0, 0
	s_waitcnt vmcnt(0)
	v_div_scale_f32 v4, s[2:3], v0, v0, v1
	v_rcp_f32_e32 v5, v4
	v_div_scale_f32 v6, vcc, v1, v0, v1
	v_fma_f32 v7, -v4, v5, 1.0
	v_fmac_f32_e32 v5, v7, v5
	v_mul_f32_e32 v7, v6, v5
	v_fma_f32 v8, -v4, v7, v6
	v_fmac_f32_e32 v7, v8, v5
	v_fma_f32 v4, -v4, v7, v6
	v_div_fmas_f32 v4, v4, v5, v7
	v_div_fixup_f32 v1, v4, v0, v1
	global_store_dword v[2:3], v1, off
	v_add_co_u32_e32 v2, vcc, 4, v2
	v_addc_co_u32_e32 v3, vcc, 0, v3, vcc
	s_cbranch_scc1 .LBB43_37
.LBB43_38:
	s_endpgm
	.section	.rodata,"a",@progbits
	.p2align	6, 0x0
	.amdhsa_kernel _ZN4vllm3moe10topkGatingILi16ELi512ELi4ELi16ELi32EjfLNS0_11ScoringFuncE0EEEvPKT5_PKbPfiPT4_PiiiibPKf
		.amdhsa_group_segment_fixed_size 0
		.amdhsa_private_segment_fixed_size 0
		.amdhsa_kernarg_size 72
		.amdhsa_user_sgpr_count 6
		.amdhsa_user_sgpr_private_segment_buffer 1
		.amdhsa_user_sgpr_dispatch_ptr 0
		.amdhsa_user_sgpr_queue_ptr 0
		.amdhsa_user_sgpr_kernarg_segment_ptr 1
		.amdhsa_user_sgpr_dispatch_id 0
		.amdhsa_user_sgpr_flat_scratch_init 0
		.amdhsa_user_sgpr_kernarg_preload_length 0
		.amdhsa_user_sgpr_kernarg_preload_offset 0
		.amdhsa_user_sgpr_private_segment_size 0
		.amdhsa_uses_dynamic_stack 0
		.amdhsa_system_sgpr_private_segment_wavefront_offset 0
		.amdhsa_system_sgpr_workgroup_id_x 1
		.amdhsa_system_sgpr_workgroup_id_y 0
		.amdhsa_system_sgpr_workgroup_id_z 0
		.amdhsa_system_sgpr_workgroup_info 0
		.amdhsa_system_vgpr_workitem_id 1
		.amdhsa_next_free_vgpr 64
		.amdhsa_next_free_sgpr 26
		.amdhsa_accum_offset 64
		.amdhsa_reserve_vcc 1
		.amdhsa_reserve_flat_scratch 0
		.amdhsa_float_round_mode_32 0
		.amdhsa_float_round_mode_16_64 0
		.amdhsa_float_denorm_mode_32 3
		.amdhsa_float_denorm_mode_16_64 3
		.amdhsa_dx10_clamp 1
		.amdhsa_ieee_mode 1
		.amdhsa_fp16_overflow 0
		.amdhsa_tg_split 0
		.amdhsa_exception_fp_ieee_invalid_op 0
		.amdhsa_exception_fp_denorm_src 0
		.amdhsa_exception_fp_ieee_div_zero 0
		.amdhsa_exception_fp_ieee_overflow 0
		.amdhsa_exception_fp_ieee_underflow 0
		.amdhsa_exception_fp_ieee_inexact 0
		.amdhsa_exception_int_div_zero 0
	.end_amdhsa_kernel
	.section	.text._ZN4vllm3moe10topkGatingILi16ELi512ELi4ELi16ELi32EjfLNS0_11ScoringFuncE0EEEvPKT5_PKbPfiPT4_PiiiibPKf,"axG",@progbits,_ZN4vllm3moe10topkGatingILi16ELi512ELi4ELi16ELi32EjfLNS0_11ScoringFuncE0EEEvPKT5_PKbPfiPT4_PiiiibPKf,comdat
.Lfunc_end43:
	.size	_ZN4vllm3moe10topkGatingILi16ELi512ELi4ELi16ELi32EjfLNS0_11ScoringFuncE0EEEvPKT5_PKbPfiPT4_PiiiibPKf, .Lfunc_end43-_ZN4vllm3moe10topkGatingILi16ELi512ELi4ELi16ELi32EjfLNS0_11ScoringFuncE0EEEvPKT5_PKbPfiPT4_PiiiibPKf
                                        ; -- End function
	.section	.AMDGPU.csdata,"",@progbits
; Kernel info:
; codeLenInByte = 4684
; NumSgprs: 30
; NumVgprs: 64
; NumAgprs: 0
; TotalNumVgprs: 64
; ScratchSize: 0
; MemoryBound: 0
; FloatMode: 240
; IeeeMode: 1
; LDSByteSize: 0 bytes/workgroup (compile time only)
; SGPRBlocks: 3
; VGPRBlocks: 7
; NumSGPRsForWavesPerEU: 30
; NumVGPRsForWavesPerEU: 64
; AccumOffset: 64
; Occupancy: 8
; WaveLimiterHint : 1
; COMPUTE_PGM_RSRC2:SCRATCH_EN: 0
; COMPUTE_PGM_RSRC2:USER_SGPR: 6
; COMPUTE_PGM_RSRC2:TRAP_HANDLER: 0
; COMPUTE_PGM_RSRC2:TGID_X_EN: 1
; COMPUTE_PGM_RSRC2:TGID_Y_EN: 0
; COMPUTE_PGM_RSRC2:TGID_Z_EN: 0
; COMPUTE_PGM_RSRC2:TIDIG_COMP_CNT: 1
; COMPUTE_PGM_RSRC3_GFX90A:ACCUM_OFFSET: 15
; COMPUTE_PGM_RSRC3_GFX90A:TG_SPLIT: 0
	.section	.text._ZN4vllm3moe7moeTopKILi256EjEEvPKfPKbPfPT0_PiiiiibS3_,"axG",@progbits,_ZN4vllm3moe7moeTopKILi256EjEEvPKfPKbPfPT0_PiiiiibS3_,comdat
	.protected	_ZN4vllm3moe7moeTopKILi256EjEEvPKfPKbPfPT0_PiiiiibS3_ ; -- Begin function _ZN4vllm3moe7moeTopKILi256EjEEvPKfPKbPfPT0_PiiiiibS3_
	.globl	_ZN4vllm3moe7moeTopKILi256EjEEvPKfPKbPfPT0_PiiiiibS3_
	.p2align	8
	.type	_ZN4vllm3moe7moeTopKILi256EjEEvPKfPKbPfPT0_PiiiiibS3_,@function
_ZN4vllm3moe7moeTopKILi256EjEEvPKfPKbPfPT0_PiiiiibS3_: ; @_ZN4vllm3moe7moeTopKILi256EjEEvPKfPKbPfPT0_PiiiiibS3_
; %bb.0:
	s_load_dwordx8 s[20:27], s[4:5], 0x0
	s_load_dwordx2 s[18:19], s[4:5], 0x20
	s_mov_b64 s[2:3], -1
	s_mov_b64 s[34:35], -1
	s_waitcnt lgkmcnt(0)
	s_cmp_eq_u64 s[22:23], 0
	s_cbranch_scc1 .LBB44_2
; %bb.1:
	s_ashr_i32 s1, s6, 31
	s_add_u32 s0, s22, s6
	s_addc_u32 s1, s23, s1
	v_mov_b32_e32 v1, 0
	global_load_ubyte v1, v1, s[0:1]
	s_waitcnt vmcnt(0)
	v_readfirstlane_b32 s0, v1
	s_bitcmp1_b32 s0, 0
	s_cselect_b64 s[0:1], -1, 0
	s_xor_b64 s[34:35], s[0:1], -1
.LBB44_2:
	s_load_dword s0, s[4:5], 0x38
	s_load_dwordx4 s[28:31], s[4:5], 0x28
	s_mov_b32 s7, 0
	s_waitcnt lgkmcnt(0)
	s_bitcmp1_b32 s0, 0
	s_cselect_b64 s[0:1], -1, 0
	s_cmp_gt_i32 s29, 0
	s_cselect_b64 s[22:23], -1, 0
	s_and_b64 vcc, exec, s[22:23]
	s_cbranch_vccnz .LBB44_4
; %bb.3:
	v_mov_b32_e32 v1, s7
	s_cbranch_execz .LBB44_5
	s_branch .LBB44_25
.LBB44_4:
                                        ; implicit-def: $sgpr7
	s_andn2_b64 vcc, exec, s[2:3]
	v_mov_b32_e32 v1, s7
	s_cbranch_vccnz .LBB44_25
.LBB44_5:
	v_mbcnt_lo_u32_b32 v1, -1, 0
	v_mbcnt_hi_u32_b32 v1, -1, v1
	v_bfrev_b32_e32 v2, 0.5
	s_load_dwordx2 s[36:37], s[4:5], 0x40
	s_load_dword s7, s[4:5], 0x48
	v_lshl_or_b32 v4, v1, 2, v2
	v_lshrrev_b32_e32 v2, 3, v0
	v_and_b32_e32 v5, 24, v2
	v_and_b32_e32 v2, 3, v1
	v_cmp_ne_u32_e32 vcc, 3, v2
	v_addc_co_u32_e32 v3, vcc, 0, v1, vcc
	s_mul_i32 s38, s6, s29
	s_waitcnt lgkmcnt(0)
	s_cmp_lg_u64 s[36:37], 0
	v_cmp_gt_u32_e32 vcc, 2, v2
	v_lshlrev_b32_e32 v6, 3, v2
	v_cndmask_b32_e64 v2, 0, 1, vcc
	s_cselect_b64 s[10:11], -1, 0
	s_ashr_i32 s39, s38, 31
	v_lshlrev_b32_e32 v2, 1, v2
	s_lshl_b64 s[12:13], s[38:39], 2
	v_cmp_eq_u32_e64 s[4:5], 0, v1
	v_add_lshl_u32 v8, v2, v1, 2
	s_add_u32 s40, s26, s12
	v_cndmask_b32_e64 v1, 0, 1, s[10:11]
	s_mul_i32 s33, s6, s28
	v_cmp_gt_i32_e64 s[2:3], s28, v0
	s_mov_b32 s48, 0
	v_cmp_gt_u32_e64 s[14:15], 64, v0
	v_lshlrev_b32_e32 v7, 2, v3
	v_cmp_eq_u32_e64 s[8:9], 0, v0
	s_addc_u32 s41, s27, s13
	v_mov_b32_e32 v3, 0
	v_cmp_ne_u32_e64 s[10:11], 1, v1
	v_mov_b32_e32 v1, 0
	s_branch .LBB44_7
.LBB44_6:                               ;   in Loop: Header=BB44_7 Depth=1
	s_or_b64 exec, exec, s[16:17]
	s_add_i32 s48, s48, 1
	s_cmp_eq_u32 s48, s29
	s_barrier
	s_cbranch_scc1 .LBB44_25
.LBB44_7:                               ; =>This Loop Header: Depth=1
                                        ;     Child Loop BB44_10 Depth 2
                                        ;       Child Loop BB44_14 Depth 3
	v_mov_b32_e32 v9, -1.0
	v_mov_b32_e32 v10, v3
	s_and_saveexec_b64 s[42:43], s[2:3]
	s_cbranch_execz .LBB44_19
; %bb.8:                                ;   in Loop: Header=BB44_7 Depth=1
	s_cmp_lg_u32 s48, 0
	s_cselect_b64 s[12:13], -1, 0
	v_cndmask_b32_e64 v2, 0, 1, s[12:13]
	s_mov_b64 s[44:45], 0
	v_mov_b32_e32 v9, -1.0
	v_mov_b32_e32 v10, 0
	v_cmp_ne_u32_e64 s[12:13], 1, v2
	v_mov_b32_e32 v2, v0
	s_branch .LBB44_10
.LBB44_9:                               ;   in Loop: Header=BB44_10 Depth=2
	s_or_b64 exec, exec, s[46:47]
	v_add_u32_e32 v2, 0x100, v2
	v_cmp_le_i32_e32 vcc, s28, v2
	s_or_b64 s[44:45], vcc, s[44:45]
	s_andn2_b64 exec, exec, s[44:45]
	s_cbranch_execz .LBB44_18
.LBB44_10:                              ;   Parent Loop BB44_7 Depth=1
                                        ; =>  This Loop Header: Depth=2
                                        ;       Child Loop BB44_14 Depth 3
	v_add_u32_e32 v12, s33, v2
	v_ashrrev_i32_e32 v13, 31, v12
	v_lshlrev_b64 v[12:13], 2, v[12:13]
	v_mov_b32_e32 v11, s21
	v_add_co_u32_e32 v12, vcc, s20, v12
	v_addc_co_u32_e32 v13, vcc, v11, v13, vcc
	global_load_dword v11, v[12:13], off
	s_and_b64 vcc, exec, s[10:11]
	s_cbranch_vccnz .LBB44_12
; %bb.11:                               ;   in Loop: Header=BB44_10 Depth=2
	v_lshlrev_b64 v[12:13], 2, v[2:3]
	v_mov_b32_e32 v14, s37
	v_add_co_u32_e32 v12, vcc, s36, v12
	v_addc_co_u32_e32 v13, vcc, v14, v13, vcc
	global_load_dword v12, v[12:13], off
	s_waitcnt vmcnt(0)
	v_add_f32_e32 v11, v11, v12
.LBB44_12:                              ;   in Loop: Header=BB44_10 Depth=2
	s_and_b64 vcc, exec, s[12:13]
	s_cbranch_vccnz .LBB44_16
; %bb.13:                               ;   in Loop: Header=BB44_10 Depth=2
	s_mov_b32 s39, 0
	s_mov_b64 s[16:17], s[40:41]
	v_mov_b32_e32 v12, v2
.LBB44_14:                              ;   Parent Loop BB44_7 Depth=1
                                        ;     Parent Loop BB44_10 Depth=2
                                        ; =>    This Inner Loop Header: Depth=3
	global_load_dword v13, v3, s[16:17]
	s_add_i32 s39, s39, 1
	s_add_u32 s16, s16, 4
	s_addc_u32 s17, s17, 0
	s_cmp_ge_u32 s39, s48
	s_waitcnt vmcnt(0)
	v_cmp_eq_u32_e32 vcc, v13, v2
	v_cndmask_b32_e32 v12, v12, v10, vcc
	v_cndmask_b32_e32 v11, v11, v9, vcc
	s_cbranch_scc0 .LBB44_14
; %bb.15:                               ;   in Loop: Header=BB44_10 Depth=2
	v_cmp_ngt_f32_e32 vcc, v9, v11
	s_and_saveexec_b64 s[46:47], vcc
	s_cbranch_execz .LBB44_9
	s_branch .LBB44_17
.LBB44_16:                              ;   in Loop: Header=BB44_10 Depth=2
	v_mov_b32_e32 v12, v2
	s_waitcnt vmcnt(0)
	v_cmp_ngt_f32_e32 vcc, v9, v11
	s_and_saveexec_b64 s[46:47], vcc
	s_cbranch_execz .LBB44_9
.LBB44_17:                              ;   in Loop: Header=BB44_10 Depth=2
	v_cmp_eq_f32_e32 vcc, v11, v9
	v_cmp_lt_i32_e64 s[16:17], v10, v12
	s_and_b64 vcc, vcc, s[16:17]
	v_cndmask_b32_e32 v9, v11, v9, vcc
	v_cndmask_b32_e32 v10, v12, v10, vcc
	s_branch .LBB44_9
.LBB44_18:                              ;   in Loop: Header=BB44_7 Depth=1
	s_or_b64 exec, exec, s[44:45]
.LBB44_19:                              ;   in Loop: Header=BB44_7 Depth=1
	s_or_b64 exec, exec, s[42:43]
	v_mov_b32_dpp v2, v10 quad_perm:[1,0,3,2] row_mask:0xf bank_mask:0xf
	v_mov_b32_dpp v11, v9 quad_perm:[1,0,3,2] row_mask:0xf bank_mask:0xf
	v_cmp_eq_f32_e32 vcc, v9, v11
	v_cmp_lt_i32_e64 s[12:13], v10, v2
	s_and_b64 vcc, vcc, s[12:13]
	v_cmp_gt_f32_e64 s[12:13], v9, v11
	v_cndmask_b32_e32 v12, v11, v9, vcc
	s_or_b64 vcc, s[12:13], vcc
	v_cndmask_b32_e64 v9, v12, v9, s[12:13]
	v_cndmask_b32_e32 v2, v2, v10, vcc
	s_nop 0
	v_mov_b32_dpp v11, v9 quad_perm:[2,3,0,1] row_mask:0xf bank_mask:0xf
	v_mov_b32_dpp v10, v2 quad_perm:[2,3,0,1] row_mask:0xf bank_mask:0xf
	v_cmp_eq_f32_e32 vcc, v9, v11
	v_cmp_lt_i32_e64 s[12:13], v2, v10
	s_and_b64 vcc, vcc, s[12:13]
	v_cmp_gt_f32_e64 s[12:13], v9, v11
	v_cndmask_b32_e32 v12, v11, v9, vcc
	s_or_b64 vcc, s[12:13], vcc
	v_cndmask_b32_e64 v9, v12, v9, s[12:13]
	v_cndmask_b32_e32 v2, v10, v2, vcc
	s_nop 0
	v_mov_b32_dpp v11, v9 row_ror:4 row_mask:0xf bank_mask:0xf
	v_mov_b32_dpp v10, v2 row_ror:4 row_mask:0xf bank_mask:0xf
	v_cmp_eq_f32_e32 vcc, v9, v11
	v_cmp_lt_i32_e64 s[12:13], v2, v10
	s_and_b64 vcc, vcc, s[12:13]
	v_cmp_gt_f32_e64 s[12:13], v9, v11
	v_cndmask_b32_e32 v12, v11, v9, vcc
	s_or_b64 vcc, s[12:13], vcc
	v_cndmask_b32_e64 v9, v12, v9, s[12:13]
	v_cndmask_b32_e32 v2, v10, v2, vcc
	s_nop 0
	v_mov_b32_dpp v11, v9 row_ror:8 row_mask:0xf bank_mask:0xf
	v_mov_b32_dpp v10, v2 row_ror:8 row_mask:0xf bank_mask:0xf
	v_cmp_eq_f32_e32 vcc, v9, v11
	v_cmp_lt_i32_e64 s[12:13], v2, v10
	s_and_b64 vcc, vcc, s[12:13]
	v_cmp_gt_f32_e64 s[12:13], v9, v11
	v_cndmask_b32_e32 v12, v11, v9, vcc
	s_or_b64 vcc, s[12:13], vcc
	v_cndmask_b32_e64 v9, v12, v9, s[12:13]
	v_cndmask_b32_e32 v2, v10, v2, vcc
	s_nop 0
	v_mov_b32_dpp v11, v9 row_bcast:15 row_mask:0xf bank_mask:0xf
	v_mov_b32_dpp v10, v2 row_bcast:15 row_mask:0xf bank_mask:0xf
	v_cmp_eq_f32_e32 vcc, v9, v11
	v_cmp_lt_i32_e64 s[12:13], v2, v10
	s_and_b64 vcc, vcc, s[12:13]
	v_cmp_gt_f32_e64 s[12:13], v9, v11
	v_cndmask_b32_e32 v12, v11, v9, vcc
	s_or_b64 vcc, s[12:13], vcc
	v_cndmask_b32_e64 v9, v12, v9, s[12:13]
	v_cndmask_b32_e32 v2, v10, v2, vcc
	s_nop 0
	v_mov_b32_dpp v11, v9 row_bcast:31 row_mask:0xf bank_mask:0xf
	v_mov_b32_dpp v10, v2 row_bcast:31 row_mask:0xf bank_mask:0xf
	v_cmp_eq_f32_e32 vcc, v9, v11
	v_cmp_lt_i32_e64 s[12:13], v2, v10
	s_and_b64 vcc, vcc, s[12:13]
	v_cmp_gt_f32_e64 s[12:13], v9, v11
	v_cndmask_b32_e32 v12, v11, v9, vcc
	s_or_b64 vcc, s[12:13], vcc
	v_cndmask_b32_e64 v9, v12, v9, s[12:13]
	v_cndmask_b32_e32 v2, v10, v2, vcc
	ds_bpermute_b32 v2, v4, v2
	ds_bpermute_b32 v9, v4, v9
	s_and_saveexec_b64 s[12:13], s[4:5]
	s_cbranch_execz .LBB44_21
; %bb.20:                               ;   in Loop: Header=BB44_7 Depth=1
	s_waitcnt lgkmcnt(0)
	ds_write2_b32 v5, v2, v9 offset1:1
.LBB44_21:                              ;   in Loop: Header=BB44_7 Depth=1
	s_or_b64 exec, exec, s[12:13]
	s_waitcnt lgkmcnt(0)
	s_barrier
	s_and_saveexec_b64 s[42:43], s[14:15]
	s_cbranch_execz .LBB44_23
; %bb.22:                               ;   in Loop: Header=BB44_7 Depth=1
	ds_read2_b32 v[10:11], v6 offset1:1
	s_waitcnt lgkmcnt(0)
	ds_bpermute_b32 v2, v7, v11
	ds_bpermute_b32 v9, v7, v10
	s_waitcnt lgkmcnt(1)
	v_cmp_eq_f32_e64 s[12:13], v11, v2
	s_waitcnt lgkmcnt(0)
	v_cmp_lt_i32_e64 s[16:17], v9, v10
	v_cmp_lt_f32_e32 vcc, v11, v2
	s_and_b64 s[12:13], s[12:13], s[16:17]
	s_or_b64 vcc, vcc, s[12:13]
	v_cndmask_b32_e32 v2, v11, v2, vcc
	v_cndmask_b32_e32 v9, v10, v9, vcc
	ds_bpermute_b32 v11, v8, v2
	ds_bpermute_b32 v10, v8, v9
	s_waitcnt lgkmcnt(1)
	v_cmp_eq_f32_e64 s[12:13], v2, v11
	s_waitcnt lgkmcnt(0)
	v_cmp_lt_i32_e64 s[16:17], v10, v9
	v_cmp_lt_f32_e32 vcc, v2, v11
	s_and_b64 s[12:13], s[12:13], s[16:17]
	s_or_b64 vcc, vcc, s[12:13]
	v_cndmask_b32_e32 v2, v9, v10, vcc
.LBB44_23:                              ;   in Loop: Header=BB44_7 Depth=1
	s_or_b64 exec, exec, s[42:43]
	s_and_saveexec_b64 s[16:17], s[8:9]
	s_cbranch_execz .LBB44_6
; %bb.24:                               ;   in Loop: Header=BB44_7 Depth=1
	v_add_u32_e32 v10, s33, v2
	v_ashrrev_i32_e32 v11, 31, v10
	v_lshlrev_b64 v[10:11], 2, v[10:11]
	v_mov_b32_e32 v9, s21
	v_add_co_u32_e32 v10, vcc, s20, v10
	v_addc_co_u32_e32 v11, vcc, v9, v11, vcc
	global_load_dword v9, v[10:11], off
	v_cmp_le_i32_e32 vcc, s30, v2
	v_cmp_gt_i32_e64 s[12:13], s31, v2
	s_add_i32 s42, s48, s38
	s_and_b64 s[12:13], vcc, s[12:13]
	s_ashr_i32 s43, s42, 31
	s_lshl_b64 s[42:43], s[42:43], 2
	s_and_b64 vcc, s[34:35], s[12:13]
	s_add_u32 s12, s24, s42
	s_addc_u32 s13, s25, s43
	s_mul_i32 s39, s48, s7
	s_add_u32 s44, s26, s42
	v_subrev_u32_e32 v2, s30, v2
	v_mov_b32_e32 v10, s28
	s_addc_u32 s45, s27, s43
	s_add_i32 s39, s39, s6
	v_cndmask_b32_e32 v2, v10, v2, vcc
	s_add_u32 s42, s18, s42
	global_store_dword v3, v2, s[44:45]
	v_mov_b32_e32 v2, s39
	s_addc_u32 s43, s19, s43
	global_store_dword v3, v2, s[42:43]
	s_waitcnt vmcnt(2)
	global_store_dword v3, v9, s[12:13]
	v_add_f32_e32 v2, v1, v9
	v_cndmask_b32_e64 v1, v1, v2, s[0:1]
	s_branch .LBB44_6
.LBB44_25:
	v_cmp_eq_u32_e32 vcc, 0, v0
	s_and_b64 s[0:1], vcc, s[0:1]
	s_and_saveexec_b64 s[2:3], s[0:1]
	s_cbranch_execz .LBB44_34
; %bb.26:
	s_andn2_b64 vcc, exec, s[22:23]
	s_cbranch_vccnz .LBB44_34
; %bb.27:
	v_cmp_lt_f32_e32 vcc, 0, v1
	s_mov_b32 s4, 0
	v_cndmask_b32_e32 v0, 1.0, v1, vcc
	s_mul_i32 s6, s6, s29
	s_cmp_eq_u32 s29, 1
	s_mov_b64 s[0:1], -1
	s_cbranch_scc1 .LBB44_31
; %bb.28:
	s_and_b32 s4, s29, 0x7ffffffe
	v_mov_b32_e32 v1, v0
	v_mov_b32_e32 v2, 0
	s_mov_b32 s5, s4
	s_mov_b32 s2, s6
.LBB44_29:                              ; =>This Inner Loop Header: Depth=1
	s_ashr_i32 s3, s2, 31
	s_lshl_b64 s[0:1], s[2:3], 2
	s_add_u32 s8, s24, s0
	s_addc_u32 s9, s25, s1
	global_load_dwordx2 v[4:5], v2, s[8:9]
	s_add_i32 s2, s2, 2
	s_add_i32 s5, s5, -2
	s_cmp_lg_u32 s5, 0
	s_waitcnt vmcnt(0)
	v_div_scale_f32 v3, s[0:1], v1, v1, v5
	v_div_scale_f32 v7, s[0:1], v0, v0, v4
	v_rcp_f32_e32 v8, v3
	v_rcp_f32_e32 v9, v7
	v_div_scale_f32 v6, vcc, v5, v1, v5
	v_fma_f32 v11, -v3, v8, 1.0
	v_fma_f32 v12, -v7, v9, 1.0
	v_fmac_f32_e32 v8, v11, v8
	v_div_scale_f32 v10, s[0:1], v4, v0, v4
	v_fmac_f32_e32 v9, v12, v9
	v_mul_f32_e32 v11, v6, v8
	v_mul_f32_e32 v12, v10, v9
	v_fma_f32 v13, -v3, v11, v6
	v_fma_f32 v14, -v7, v12, v10
	v_fmac_f32_e32 v11, v13, v8
	v_fmac_f32_e32 v12, v14, v9
	v_fma_f32 v3, -v3, v11, v6
	v_fma_f32 v6, -v7, v12, v10
	v_div_fmas_f32 v3, v3, v8, v11
	s_mov_b64 vcc, s[0:1]
	v_div_fixup_f32 v5, v3, v1, v5
	v_div_fmas_f32 v3, v6, v9, v12
	v_div_fixup_f32 v4, v3, v0, v4
	global_store_dwordx2 v2, v[4:5], s[8:9]
	s_cbranch_scc1 .LBB44_29
; %bb.30:
	s_cmp_lg_u32 s4, s29
	s_cselect_b64 s[0:1], -1, 0
.LBB44_31:
	s_and_b64 vcc, exec, s[0:1]
	s_cbranch_vccz .LBB44_34
; %bb.32:
	s_sub_i32 s2, s29, s4
	s_ashr_i32 s1, s6, 31
	s_add_u32 s0, s6, s4
	s_addc_u32 s1, s1, 0
	s_lshl_b64 s[0:1], s[0:1], 2
	s_add_u32 s0, s24, s0
	s_addc_u32 s1, s25, s1
	v_mov_b32_e32 v1, 0
.LBB44_33:                              ; =>This Inner Loop Header: Depth=1
	global_load_dword v2, v1, s[0:1]
	s_add_i32 s2, s2, -1
	s_waitcnt vmcnt(0)
	v_div_scale_f32 v3, s[4:5], v0, v0, v2
	v_rcp_f32_e32 v4, v3
	v_div_scale_f32 v5, vcc, v2, v0, v2
	v_fma_f32 v6, -v3, v4, 1.0
	v_fmac_f32_e32 v4, v6, v4
	v_mul_f32_e32 v6, v5, v4
	v_fma_f32 v7, -v3, v6, v5
	v_fmac_f32_e32 v6, v7, v4
	v_fma_f32 v3, -v3, v6, v5
	v_div_fmas_f32 v3, v3, v4, v6
	v_div_fixup_f32 v2, v3, v0, v2
	global_store_dword v1, v2, s[0:1]
	s_add_u32 s0, s0, 4
	s_addc_u32 s1, s1, 0
	s_cmp_lg_u32 s2, 0
	s_cbranch_scc1 .LBB44_33
.LBB44_34:
	s_endpgm
	.section	.rodata,"a",@progbits
	.p2align	6, 0x0
	.amdhsa_kernel _ZN4vllm3moe7moeTopKILi256EjEEvPKfPKbPfPT0_PiiiiibS3_
		.amdhsa_group_segment_fixed_size 32
		.amdhsa_private_segment_fixed_size 0
		.amdhsa_kernarg_size 328
		.amdhsa_user_sgpr_count 6
		.amdhsa_user_sgpr_private_segment_buffer 1
		.amdhsa_user_sgpr_dispatch_ptr 0
		.amdhsa_user_sgpr_queue_ptr 0
		.amdhsa_user_sgpr_kernarg_segment_ptr 1
		.amdhsa_user_sgpr_dispatch_id 0
		.amdhsa_user_sgpr_flat_scratch_init 0
		.amdhsa_user_sgpr_kernarg_preload_length 0
		.amdhsa_user_sgpr_kernarg_preload_offset 0
		.amdhsa_user_sgpr_private_segment_size 0
		.amdhsa_uses_dynamic_stack 0
		.amdhsa_system_sgpr_private_segment_wavefront_offset 0
		.amdhsa_system_sgpr_workgroup_id_x 1
		.amdhsa_system_sgpr_workgroup_id_y 0
		.amdhsa_system_sgpr_workgroup_id_z 0
		.amdhsa_system_sgpr_workgroup_info 0
		.amdhsa_system_vgpr_workitem_id 0
		.amdhsa_next_free_vgpr 15
		.amdhsa_next_free_sgpr 49
		.amdhsa_accum_offset 16
		.amdhsa_reserve_vcc 1
		.amdhsa_reserve_flat_scratch 0
		.amdhsa_float_round_mode_32 0
		.amdhsa_float_round_mode_16_64 0
		.amdhsa_float_denorm_mode_32 3
		.amdhsa_float_denorm_mode_16_64 3
		.amdhsa_dx10_clamp 1
		.amdhsa_ieee_mode 1
		.amdhsa_fp16_overflow 0
		.amdhsa_tg_split 0
		.amdhsa_exception_fp_ieee_invalid_op 0
		.amdhsa_exception_fp_denorm_src 0
		.amdhsa_exception_fp_ieee_div_zero 0
		.amdhsa_exception_fp_ieee_overflow 0
		.amdhsa_exception_fp_ieee_underflow 0
		.amdhsa_exception_fp_ieee_inexact 0
		.amdhsa_exception_int_div_zero 0
	.end_amdhsa_kernel
	.section	.text._ZN4vllm3moe7moeTopKILi256EjEEvPKfPKbPfPT0_PiiiiibS3_,"axG",@progbits,_ZN4vllm3moe7moeTopKILi256EjEEvPKfPKbPfPT0_PiiiiibS3_,comdat
.Lfunc_end44:
	.size	_ZN4vllm3moe7moeTopKILi256EjEEvPKfPKbPfPT0_PiiiiibS3_, .Lfunc_end44-_ZN4vllm3moe7moeTopKILi256EjEEvPKfPKbPfPT0_PiiiiibS3_
                                        ; -- End function
	.section	.AMDGPU.csdata,"",@progbits
; Kernel info:
; codeLenInByte = 1848
; NumSgprs: 53
; NumVgprs: 15
; NumAgprs: 0
; TotalNumVgprs: 15
; ScratchSize: 0
; MemoryBound: 0
; FloatMode: 240
; IeeeMode: 1
; LDSByteSize: 32 bytes/workgroup (compile time only)
; SGPRBlocks: 6
; VGPRBlocks: 1
; NumSGPRsForWavesPerEU: 53
; NumVGPRsForWavesPerEU: 15
; AccumOffset: 16
; Occupancy: 8
; WaveLimiterHint : 0
; COMPUTE_PGM_RSRC2:SCRATCH_EN: 0
; COMPUTE_PGM_RSRC2:USER_SGPR: 6
; COMPUTE_PGM_RSRC2:TRAP_HANDLER: 0
; COMPUTE_PGM_RSRC2:TGID_X_EN: 1
; COMPUTE_PGM_RSRC2:TGID_Y_EN: 0
; COMPUTE_PGM_RSRC2:TGID_Z_EN: 0
; COMPUTE_PGM_RSRC2:TIDIG_COMP_CNT: 0
; COMPUTE_PGM_RSRC3_GFX90A:ACCUM_OFFSET: 3
; COMPUTE_PGM_RSRC3_GFX90A:TG_SPLIT: 0
	.section	.text._ZN4vllm3moe10topkGatingILi1ELi1ELi4ELi4ELi64ElfLNS0_11ScoringFuncE0EEEvPKT5_PKbPfiPT4_PiiiibPKf,"axG",@progbits,_ZN4vllm3moe10topkGatingILi1ELi1ELi4ELi4ELi64ElfLNS0_11ScoringFuncE0EEEvPKT5_PKbPfiPT4_PiiiibPKf,comdat
	.protected	_ZN4vllm3moe10topkGatingILi1ELi1ELi4ELi4ELi64ElfLNS0_11ScoringFuncE0EEEvPKT5_PKbPfiPT4_PiiiibPKf ; -- Begin function _ZN4vllm3moe10topkGatingILi1ELi1ELi4ELi4ELi64ElfLNS0_11ScoringFuncE0EEEvPKT5_PKbPfiPT4_PiiiibPKf
	.globl	_ZN4vllm3moe10topkGatingILi1ELi1ELi4ELi4ELi64ElfLNS0_11ScoringFuncE0EEEvPKT5_PKbPfiPT4_PiiiibPKf
	.p2align	8
	.type	_ZN4vllm3moe10topkGatingILi1ELi1ELi4ELi4ELi64ElfLNS0_11ScoringFuncE0EEEvPKT5_PKbPfiPT4_PiiiibPKf,@function
_ZN4vllm3moe10topkGatingILi1ELi1ELi4ELi4ELi64ElfLNS0_11ScoringFuncE0EEEvPKT5_PKbPfiPT4_PiiiibPKf: ; @_ZN4vllm3moe10topkGatingILi1ELi1ELi4ELi4ELi64ElfLNS0_11ScoringFuncE0EEEvPKT5_PKbPfiPT4_PiiiibPKf
; %bb.0:
	s_load_dword s18, s[4:5], 0x18
	v_bfe_u32 v1, v0, 10, 10
	s_lshl_b32 s0, s6, 8
	v_lshlrev_b32_e32 v1, 6, v1
	v_and_b32_e32 v0, 0x3ff, v0
	v_add3_u32 v0, v1, v0, s0
	s_waitcnt lgkmcnt(0)
	v_cmp_gt_i32_e32 vcc, s18, v0
	s_and_saveexec_b64 s[0:1], vcc
	s_cbranch_execz .LBB45_17
; %bb.1:
	s_load_dwordx4 s[12:15], s[4:5], 0x0
	s_load_dwordx2 s[2:3], s[4:5], 0x10
	v_ashrrev_i32_e32 v1, 31, v0
	s_waitcnt lgkmcnt(0)
	s_cmp_eq_u64 s[14:15], 0
	s_cbranch_scc1 .LBB45_3
; %bb.2:
	v_mov_b32_e32 v3, s15
	v_add_co_u32_e32 v2, vcc, s14, v0
	v_addc_co_u32_e32 v3, vcc, v3, v1, vcc
	global_load_ubyte v2, v[2:3], off
	s_waitcnt vmcnt(0)
	v_and_b32_e32 v2, 1, v2
	v_cmp_eq_u32_e32 vcc, 1, v2
	s_xor_b64 s[0:1], vcc, -1
	s_orn2_b64 s[16:17], s[0:1], exec
	s_branch .LBB45_4
.LBB45_3:
	s_mov_b64 s[16:17], -1
.LBB45_4:
	s_load_dwordx4 s[8:11], s[4:5], 0x30
	s_waitcnt lgkmcnt(0)
	s_bitcmp1_b32 s11, 0
	s_cselect_b64 s[0:1], -1, 0
	s_cmp_gt_i32 s8, 0
	s_cselect_b64 s[14:15], -1, 0
	s_cmp_lt_i32 s8, 1
	s_cbranch_scc1 .LBB45_8
; %bb.5:
	v_lshlrev_b64 v[2:3], 2, v[0:1]
	v_mov_b32_e32 v1, s13
	v_add_co_u32_e32 v2, vcc, s12, v2
	v_addc_co_u32_e32 v3, vcc, v1, v3, vcc
	global_load_dword v11, v[2:3], off
	s_mov_b32 s19, 0x3fb8aa3b
	v_mul_lo_u32 v2, v0, s8
	s_load_dwordx4 s[4:7], s[4:5], 0x20
	s_cmp_lt_i32 s9, 1
	v_ashrrev_i32_e32 v3, 31, v2
	s_cselect_b64 s[12:13], -1, 0
	s_cmp_gt_i32 s10, 0
	v_lshlrev_b64 v[8:9], 2, v[2:3]
	v_mov_b32_e32 v4, s3
	s_cselect_b64 s[10:11], -1, 0
	s_sub_i32 s9, 0, s9
	v_lshlrev_b64 v[6:7], 3, v[2:3]
	v_add_co_u32_e32 v2, vcc, s2, v8
	s_and_b64 s[10:11], s[12:13], s[10:11]
	s_ashr_i32 s12, s9, 31
	v_addc_co_u32_e32 v3, vcc, v4, v9, vcc
	v_mov_b32_e32 v13, s9
	v_mov_b32_e32 v4, s12
	s_and_b64 vcc, s[16:17], s[10:11]
	v_cndmask_b32_e32 v5, 0, v4, vcc
	v_cndmask_b32_e32 v4, 1, v13, vcc
	s_waitcnt lgkmcnt(0)
	v_mov_b32_e32 v13, s5
	v_add_co_u32_e32 v6, vcc, s4, v6
	s_mov_b32 s20, 0xc2ce8ed0
	v_addc_co_u32_e32 v7, vcc, v13, v7, vcc
	s_mov_b32 s21, 0x42b17218
	v_mov_b32_e32 v12, 0x7f800000
	v_mov_b32_e32 v14, s7
	s_movk_i32 s22, 0x1f8
	v_mov_b32_e32 v1, 0
	v_mov_b32_e32 v10, v0
	s_waitcnt vmcnt(0)
	v_sub_f32_e32 v11, v11, v11
	v_mul_f32_e32 v15, 0x3fb8aa3b, v11
	v_fma_f32 v16, v11, s19, -v15
	v_rndne_f32_e32 v17, v15
	v_fmac_f32_e32 v16, 0x32a5705f, v11
	v_sub_f32_e32 v15, v15, v17
	v_add_f32_e32 v15, v15, v16
	v_cvt_i32_f32_e32 v17, v17
	v_exp_f32_e32 v15, v15
	v_cmp_ngt_f32_e32 vcc, s20, v11
	v_ldexp_f32 v13, v15, v17
	v_cndmask_b32_e32 v13, 0, v13, vcc
	v_cmp_nlt_f32_e32 vcc, s21, v11
	v_cndmask_b32_e32 v11, v12, v13, vcc
	v_div_scale_f32 v12, s[4:5], v11, v11, 1.0
	v_rcp_f32_e32 v13, v12
	v_add_co_u32_e32 v8, vcc, s6, v8
	v_addc_co_u32_e32 v9, vcc, v14, v9, vcc
	v_fma_f32 v15, -v12, v13, 1.0
	v_div_scale_f32 v14, vcc, 1.0, v11, 1.0
	v_fmac_f32_e32 v13, v15, v13
	v_mul_f32_e32 v15, v14, v13
	v_fma_f32 v16, -v12, v15, v14
	v_fmac_f32_e32 v15, v16, v13
	v_fma_f32 v12, -v12, v15, v14
	v_div_fmas_f32 v12, v12, v13, v15
	v_div_fixup_f32 v12, v12, v11, 1.0
	v_mul_f32_e32 v11, v11, v12
	v_cmp_class_f32_e64 vcc, v11, s22
	v_cndmask_b32_e32 v11, 0, v11, vcc
	s_mov_b32 s4, s8
.LBB45_6:                               ; =>This Inner Loop Header: Depth=1
	global_store_dword v[2:3], v11, off
	global_store_dwordx2 v[6:7], v[4:5], off
	global_store_dword v[8:9], v10, off
	v_add_co_u32_e32 v2, vcc, 4, v2
	v_addc_co_u32_e32 v3, vcc, 0, v3, vcc
	v_add_co_u32_e32 v6, vcc, 8, v6
	v_addc_co_u32_e32 v7, vcc, 0, v7, vcc
	v_add_f32_e32 v12, v1, v11
	s_add_i32 s4, s4, -1
	v_add_co_u32_e32 v8, vcc, 4, v8
	v_cndmask_b32_e64 v1, v1, v12, s[0:1]
	v_add_u32_e32 v10, s18, v10
	s_cmp_lg_u32 s4, 0
	v_addc_co_u32_e32 v9, vcc, 0, v9, vcc
	s_cbranch_scc1 .LBB45_6
; %bb.7:
	s_andn2_b64 vcc, exec, s[0:1]
	s_cbranch_vccz .LBB45_9
	s_branch .LBB45_17
.LBB45_8:
	v_mov_b32_e32 v1, 0
	s_andn2_b64 vcc, exec, s[0:1]
	s_cbranch_vccnz .LBB45_17
.LBB45_9:
	s_andn2_b64 vcc, exec, s[14:15]
	s_cbranch_vccnz .LBB45_17
; %bb.10:
	v_cmp_lt_f32_e32 vcc, 0, v1
	s_mov_b32 s4, 0
	v_cndmask_b32_e32 v2, 1.0, v1, vcc
	v_mul_lo_u32 v0, v0, s8
	s_cmp_eq_u32 s8, 1
	s_mov_b64 s[0:1], -1
	s_cbranch_scc1 .LBB45_14
; %bb.11:
	s_and_b32 s4, s8, 0x7ffffffe
	v_mov_b32_e32 v1, v2
	v_mov_b32_e32 v3, s3
	s_mov_b32 s5, s4
	v_mov_b32_e32 v4, v0
.LBB45_12:                              ; =>This Inner Loop Header: Depth=1
	v_ashrrev_i32_e32 v5, 31, v4
	v_lshlrev_b64 v[6:7], 2, v[4:5]
	v_add_co_u32_e32 v6, vcc, s2, v6
	v_addc_co_u32_e32 v7, vcc, v3, v7, vcc
	global_load_dwordx2 v[8:9], v[6:7], off
	s_add_i32 s5, s5, -2
	s_cmp_lg_u32 s5, 0
	v_add_u32_e32 v4, 2, v4
	s_waitcnt vmcnt(0)
	v_div_scale_f32 v5, s[0:1], v1, v1, v9
	v_div_scale_f32 v11, s[0:1], v2, v2, v8
	v_rcp_f32_e32 v12, v5
	v_rcp_f32_e32 v13, v11
	v_div_scale_f32 v10, vcc, v9, v1, v9
	v_fma_f32 v15, -v5, v12, 1.0
	v_fma_f32 v16, -v11, v13, 1.0
	v_fmac_f32_e32 v12, v15, v12
	v_div_scale_f32 v14, s[0:1], v8, v2, v8
	v_fmac_f32_e32 v13, v16, v13
	v_mul_f32_e32 v15, v10, v12
	v_mul_f32_e32 v16, v14, v13
	v_fma_f32 v17, -v5, v15, v10
	v_fma_f32 v18, -v11, v16, v14
	v_fmac_f32_e32 v15, v17, v12
	v_fmac_f32_e32 v16, v18, v13
	v_fma_f32 v5, -v5, v15, v10
	v_fma_f32 v10, -v11, v16, v14
	v_div_fmas_f32 v5, v5, v12, v15
	s_mov_b64 vcc, s[0:1]
	v_div_fixup_f32 v9, v5, v1, v9
	v_div_fmas_f32 v5, v10, v13, v16
	v_div_fixup_f32 v8, v5, v2, v8
	global_store_dwordx2 v[6:7], v[8:9], off
	s_cbranch_scc1 .LBB45_12
; %bb.13:
	s_cmp_lg_u32 s4, s8
	s_cselect_b64 s[0:1], -1, 0
.LBB45_14:
	s_and_b64 vcc, exec, s[0:1]
	s_cbranch_vccz .LBB45_17
; %bb.15:
	v_ashrrev_i32_e32 v1, 31, v0
	v_add_co_u32_e32 v0, vcc, s4, v0
	v_addc_co_u32_e32 v1, vcc, 0, v1, vcc
	v_lshlrev_b64 v[0:1], 2, v[0:1]
	v_mov_b32_e32 v3, s3
	v_add_co_u32_e32 v0, vcc, s2, v0
	s_sub_i32 s0, s8, s4
	v_addc_co_u32_e32 v1, vcc, v3, v1, vcc
.LBB45_16:                              ; =>This Inner Loop Header: Depth=1
	global_load_dword v3, v[0:1], off
	s_add_i32 s0, s0, -1
	s_cmp_lg_u32 s0, 0
	s_waitcnt vmcnt(0)
	v_div_scale_f32 v4, s[2:3], v2, v2, v3
	v_rcp_f32_e32 v5, v4
	v_div_scale_f32 v6, vcc, v3, v2, v3
	v_fma_f32 v7, -v4, v5, 1.0
	v_fmac_f32_e32 v5, v7, v5
	v_mul_f32_e32 v7, v6, v5
	v_fma_f32 v8, -v4, v7, v6
	v_fmac_f32_e32 v7, v8, v5
	v_fma_f32 v4, -v4, v7, v6
	v_div_fmas_f32 v4, v4, v5, v7
	v_div_fixup_f32 v3, v4, v2, v3
	global_store_dword v[0:1], v3, off
	v_add_co_u32_e32 v0, vcc, 4, v0
	v_addc_co_u32_e32 v1, vcc, 0, v1, vcc
	s_cbranch_scc1 .LBB45_16
.LBB45_17:
	s_endpgm
	.section	.rodata,"a",@progbits
	.p2align	6, 0x0
	.amdhsa_kernel _ZN4vllm3moe10topkGatingILi1ELi1ELi4ELi4ELi64ElfLNS0_11ScoringFuncE0EEEvPKT5_PKbPfiPT4_PiiiibPKf
		.amdhsa_group_segment_fixed_size 0
		.amdhsa_private_segment_fixed_size 0
		.amdhsa_kernarg_size 72
		.amdhsa_user_sgpr_count 6
		.amdhsa_user_sgpr_private_segment_buffer 1
		.amdhsa_user_sgpr_dispatch_ptr 0
		.amdhsa_user_sgpr_queue_ptr 0
		.amdhsa_user_sgpr_kernarg_segment_ptr 1
		.amdhsa_user_sgpr_dispatch_id 0
		.amdhsa_user_sgpr_flat_scratch_init 0
		.amdhsa_user_sgpr_kernarg_preload_length 0
		.amdhsa_user_sgpr_kernarg_preload_offset 0
		.amdhsa_user_sgpr_private_segment_size 0
		.amdhsa_uses_dynamic_stack 0
		.amdhsa_system_sgpr_private_segment_wavefront_offset 0
		.amdhsa_system_sgpr_workgroup_id_x 1
		.amdhsa_system_sgpr_workgroup_id_y 0
		.amdhsa_system_sgpr_workgroup_id_z 0
		.amdhsa_system_sgpr_workgroup_info 0
		.amdhsa_system_vgpr_workitem_id 1
		.amdhsa_next_free_vgpr 19
		.amdhsa_next_free_sgpr 23
		.amdhsa_accum_offset 20
		.amdhsa_reserve_vcc 1
		.amdhsa_reserve_flat_scratch 0
		.amdhsa_float_round_mode_32 0
		.amdhsa_float_round_mode_16_64 0
		.amdhsa_float_denorm_mode_32 3
		.amdhsa_float_denorm_mode_16_64 3
		.amdhsa_dx10_clamp 1
		.amdhsa_ieee_mode 1
		.amdhsa_fp16_overflow 0
		.amdhsa_tg_split 0
		.amdhsa_exception_fp_ieee_invalid_op 0
		.amdhsa_exception_fp_denorm_src 0
		.amdhsa_exception_fp_ieee_div_zero 0
		.amdhsa_exception_fp_ieee_overflow 0
		.amdhsa_exception_fp_ieee_underflow 0
		.amdhsa_exception_fp_ieee_inexact 0
		.amdhsa_exception_int_div_zero 0
	.end_amdhsa_kernel
	.section	.text._ZN4vllm3moe10topkGatingILi1ELi1ELi4ELi4ELi64ElfLNS0_11ScoringFuncE0EEEvPKT5_PKbPfiPT4_PiiiibPKf,"axG",@progbits,_ZN4vllm3moe10topkGatingILi1ELi1ELi4ELi4ELi64ElfLNS0_11ScoringFuncE0EEEvPKT5_PKbPfiPT4_PiiiibPKf,comdat
.Lfunc_end45:
	.size	_ZN4vllm3moe10topkGatingILi1ELi1ELi4ELi4ELi64ElfLNS0_11ScoringFuncE0EEEvPKT5_PKbPfiPT4_PiiiibPKf, .Lfunc_end45-_ZN4vllm3moe10topkGatingILi1ELi1ELi4ELi4ELi64ElfLNS0_11ScoringFuncE0EEEvPKT5_PKbPfiPT4_PiiiibPKf
                                        ; -- End function
	.section	.AMDGPU.csdata,"",@progbits
; Kernel info:
; codeLenInByte = 1072
; NumSgprs: 27
; NumVgprs: 19
; NumAgprs: 0
; TotalNumVgprs: 19
; ScratchSize: 0
; MemoryBound: 0
; FloatMode: 240
; IeeeMode: 1
; LDSByteSize: 0 bytes/workgroup (compile time only)
; SGPRBlocks: 3
; VGPRBlocks: 2
; NumSGPRsForWavesPerEU: 27
; NumVGPRsForWavesPerEU: 19
; AccumOffset: 20
; Occupancy: 8
; WaveLimiterHint : 0
; COMPUTE_PGM_RSRC2:SCRATCH_EN: 0
; COMPUTE_PGM_RSRC2:USER_SGPR: 6
; COMPUTE_PGM_RSRC2:TRAP_HANDLER: 0
; COMPUTE_PGM_RSRC2:TGID_X_EN: 1
; COMPUTE_PGM_RSRC2:TGID_Y_EN: 0
; COMPUTE_PGM_RSRC2:TGID_Z_EN: 0
; COMPUTE_PGM_RSRC2:TIDIG_COMP_CNT: 1
; COMPUTE_PGM_RSRC3_GFX90A:ACCUM_OFFSET: 4
; COMPUTE_PGM_RSRC3_GFX90A:TG_SPLIT: 0
	.section	.text._ZN4vllm3moe10topkGatingILi1ELi1ELi4ELi4ELi32ElfLNS0_11ScoringFuncE0EEEvPKT5_PKbPfiPT4_PiiiibPKf,"axG",@progbits,_ZN4vllm3moe10topkGatingILi1ELi1ELi4ELi4ELi32ElfLNS0_11ScoringFuncE0EEEvPKT5_PKbPfiPT4_PiiiibPKf,comdat
	.protected	_ZN4vllm3moe10topkGatingILi1ELi1ELi4ELi4ELi32ElfLNS0_11ScoringFuncE0EEEvPKT5_PKbPfiPT4_PiiiibPKf ; -- Begin function _ZN4vllm3moe10topkGatingILi1ELi1ELi4ELi4ELi32ElfLNS0_11ScoringFuncE0EEEvPKT5_PKbPfiPT4_PiiiibPKf
	.globl	_ZN4vllm3moe10topkGatingILi1ELi1ELi4ELi4ELi32ElfLNS0_11ScoringFuncE0EEEvPKT5_PKbPfiPT4_PiiiibPKf
	.p2align	8
	.type	_ZN4vllm3moe10topkGatingILi1ELi1ELi4ELi4ELi32ElfLNS0_11ScoringFuncE0EEEvPKT5_PKbPfiPT4_PiiiibPKf,@function
_ZN4vllm3moe10topkGatingILi1ELi1ELi4ELi4ELi32ElfLNS0_11ScoringFuncE0EEEvPKT5_PKbPfiPT4_PiiiibPKf: ; @_ZN4vllm3moe10topkGatingILi1ELi1ELi4ELi4ELi32ElfLNS0_11ScoringFuncE0EEEvPKT5_PKbPfiPT4_PiiiibPKf
; %bb.0:
	s_load_dword s18, s[4:5], 0x18
	v_bfe_u32 v1, v0, 10, 10
	s_lshl_b32 s0, s6, 7
	v_lshlrev_b32_e32 v1, 5, v1
	v_and_b32_e32 v0, 0x3ff, v0
	v_add3_u32 v0, v1, v0, s0
	s_waitcnt lgkmcnt(0)
	v_cmp_gt_i32_e32 vcc, s18, v0
	s_and_saveexec_b64 s[0:1], vcc
	s_cbranch_execz .LBB46_17
; %bb.1:
	s_load_dwordx4 s[12:15], s[4:5], 0x0
	s_load_dwordx2 s[2:3], s[4:5], 0x10
	v_ashrrev_i32_e32 v1, 31, v0
	s_waitcnt lgkmcnt(0)
	s_cmp_eq_u64 s[14:15], 0
	s_cbranch_scc1 .LBB46_3
; %bb.2:
	v_mov_b32_e32 v3, s15
	v_add_co_u32_e32 v2, vcc, s14, v0
	v_addc_co_u32_e32 v3, vcc, v3, v1, vcc
	global_load_ubyte v2, v[2:3], off
	s_waitcnt vmcnt(0)
	v_and_b32_e32 v2, 1, v2
	v_cmp_eq_u32_e32 vcc, 1, v2
	s_xor_b64 s[0:1], vcc, -1
	s_orn2_b64 s[16:17], s[0:1], exec
	s_branch .LBB46_4
.LBB46_3:
	s_mov_b64 s[16:17], -1
.LBB46_4:
	s_load_dwordx4 s[8:11], s[4:5], 0x30
	s_waitcnt lgkmcnt(0)
	s_bitcmp1_b32 s11, 0
	s_cselect_b64 s[0:1], -1, 0
	s_cmp_gt_i32 s8, 0
	s_cselect_b64 s[14:15], -1, 0
	s_cmp_lt_i32 s8, 1
	s_cbranch_scc1 .LBB46_8
; %bb.5:
	v_lshlrev_b64 v[2:3], 2, v[0:1]
	v_mov_b32_e32 v1, s13
	v_add_co_u32_e32 v2, vcc, s12, v2
	v_addc_co_u32_e32 v3, vcc, v1, v3, vcc
	global_load_dword v11, v[2:3], off
	s_mov_b32 s19, 0x3fb8aa3b
	v_mul_lo_u32 v2, v0, s8
	s_load_dwordx4 s[4:7], s[4:5], 0x20
	s_cmp_lt_i32 s9, 1
	v_ashrrev_i32_e32 v3, 31, v2
	s_cselect_b64 s[12:13], -1, 0
	s_cmp_gt_i32 s10, 0
	v_lshlrev_b64 v[8:9], 2, v[2:3]
	v_mov_b32_e32 v4, s3
	s_cselect_b64 s[10:11], -1, 0
	s_sub_i32 s9, 0, s9
	v_lshlrev_b64 v[6:7], 3, v[2:3]
	v_add_co_u32_e32 v2, vcc, s2, v8
	s_and_b64 s[10:11], s[12:13], s[10:11]
	s_ashr_i32 s12, s9, 31
	v_addc_co_u32_e32 v3, vcc, v4, v9, vcc
	v_mov_b32_e32 v13, s9
	v_mov_b32_e32 v4, s12
	s_and_b64 vcc, s[16:17], s[10:11]
	v_cndmask_b32_e32 v5, 0, v4, vcc
	v_cndmask_b32_e32 v4, 1, v13, vcc
	s_waitcnt lgkmcnt(0)
	v_mov_b32_e32 v13, s5
	v_add_co_u32_e32 v6, vcc, s4, v6
	s_mov_b32 s20, 0xc2ce8ed0
	v_addc_co_u32_e32 v7, vcc, v13, v7, vcc
	s_mov_b32 s21, 0x42b17218
	v_mov_b32_e32 v12, 0x7f800000
	v_mov_b32_e32 v14, s7
	s_movk_i32 s22, 0x1f8
	v_mov_b32_e32 v1, 0
	v_mov_b32_e32 v10, v0
	s_waitcnt vmcnt(0)
	v_sub_f32_e32 v11, v11, v11
	v_mul_f32_e32 v15, 0x3fb8aa3b, v11
	v_fma_f32 v16, v11, s19, -v15
	v_rndne_f32_e32 v17, v15
	v_fmac_f32_e32 v16, 0x32a5705f, v11
	v_sub_f32_e32 v15, v15, v17
	v_add_f32_e32 v15, v15, v16
	v_cvt_i32_f32_e32 v17, v17
	v_exp_f32_e32 v15, v15
	v_cmp_ngt_f32_e32 vcc, s20, v11
	v_ldexp_f32 v13, v15, v17
	v_cndmask_b32_e32 v13, 0, v13, vcc
	v_cmp_nlt_f32_e32 vcc, s21, v11
	v_cndmask_b32_e32 v11, v12, v13, vcc
	v_div_scale_f32 v12, s[4:5], v11, v11, 1.0
	v_rcp_f32_e32 v13, v12
	v_add_co_u32_e32 v8, vcc, s6, v8
	v_addc_co_u32_e32 v9, vcc, v14, v9, vcc
	v_fma_f32 v15, -v12, v13, 1.0
	v_div_scale_f32 v14, vcc, 1.0, v11, 1.0
	v_fmac_f32_e32 v13, v15, v13
	v_mul_f32_e32 v15, v14, v13
	v_fma_f32 v16, -v12, v15, v14
	v_fmac_f32_e32 v15, v16, v13
	v_fma_f32 v12, -v12, v15, v14
	v_div_fmas_f32 v12, v12, v13, v15
	v_div_fixup_f32 v12, v12, v11, 1.0
	v_mul_f32_e32 v11, v11, v12
	v_cmp_class_f32_e64 vcc, v11, s22
	v_cndmask_b32_e32 v11, 0, v11, vcc
	s_mov_b32 s4, s8
.LBB46_6:                               ; =>This Inner Loop Header: Depth=1
	global_store_dword v[2:3], v11, off
	global_store_dwordx2 v[6:7], v[4:5], off
	global_store_dword v[8:9], v10, off
	v_add_co_u32_e32 v2, vcc, 4, v2
	v_addc_co_u32_e32 v3, vcc, 0, v3, vcc
	v_add_co_u32_e32 v6, vcc, 8, v6
	v_addc_co_u32_e32 v7, vcc, 0, v7, vcc
	v_add_f32_e32 v12, v1, v11
	s_add_i32 s4, s4, -1
	v_add_co_u32_e32 v8, vcc, 4, v8
	v_cndmask_b32_e64 v1, v1, v12, s[0:1]
	v_add_u32_e32 v10, s18, v10
	s_cmp_lg_u32 s4, 0
	v_addc_co_u32_e32 v9, vcc, 0, v9, vcc
	s_cbranch_scc1 .LBB46_6
; %bb.7:
	s_andn2_b64 vcc, exec, s[0:1]
	s_cbranch_vccz .LBB46_9
	s_branch .LBB46_17
.LBB46_8:
	v_mov_b32_e32 v1, 0
	s_andn2_b64 vcc, exec, s[0:1]
	s_cbranch_vccnz .LBB46_17
.LBB46_9:
	s_andn2_b64 vcc, exec, s[14:15]
	s_cbranch_vccnz .LBB46_17
; %bb.10:
	v_cmp_lt_f32_e32 vcc, 0, v1
	s_mov_b32 s4, 0
	v_cndmask_b32_e32 v2, 1.0, v1, vcc
	v_mul_lo_u32 v0, v0, s8
	s_cmp_eq_u32 s8, 1
	s_mov_b64 s[0:1], -1
	s_cbranch_scc1 .LBB46_14
; %bb.11:
	s_and_b32 s4, s8, 0x7ffffffe
	v_mov_b32_e32 v1, v2
	v_mov_b32_e32 v3, s3
	s_mov_b32 s5, s4
	v_mov_b32_e32 v4, v0
.LBB46_12:                              ; =>This Inner Loop Header: Depth=1
	v_ashrrev_i32_e32 v5, 31, v4
	v_lshlrev_b64 v[6:7], 2, v[4:5]
	v_add_co_u32_e32 v6, vcc, s2, v6
	v_addc_co_u32_e32 v7, vcc, v3, v7, vcc
	global_load_dwordx2 v[8:9], v[6:7], off
	s_add_i32 s5, s5, -2
	s_cmp_lg_u32 s5, 0
	v_add_u32_e32 v4, 2, v4
	s_waitcnt vmcnt(0)
	v_div_scale_f32 v5, s[0:1], v1, v1, v9
	v_div_scale_f32 v11, s[0:1], v2, v2, v8
	v_rcp_f32_e32 v12, v5
	v_rcp_f32_e32 v13, v11
	v_div_scale_f32 v10, vcc, v9, v1, v9
	v_fma_f32 v15, -v5, v12, 1.0
	v_fma_f32 v16, -v11, v13, 1.0
	v_fmac_f32_e32 v12, v15, v12
	v_div_scale_f32 v14, s[0:1], v8, v2, v8
	v_fmac_f32_e32 v13, v16, v13
	v_mul_f32_e32 v15, v10, v12
	v_mul_f32_e32 v16, v14, v13
	v_fma_f32 v17, -v5, v15, v10
	v_fma_f32 v18, -v11, v16, v14
	v_fmac_f32_e32 v15, v17, v12
	v_fmac_f32_e32 v16, v18, v13
	v_fma_f32 v5, -v5, v15, v10
	v_fma_f32 v10, -v11, v16, v14
	v_div_fmas_f32 v5, v5, v12, v15
	s_mov_b64 vcc, s[0:1]
	v_div_fixup_f32 v9, v5, v1, v9
	v_div_fmas_f32 v5, v10, v13, v16
	v_div_fixup_f32 v8, v5, v2, v8
	global_store_dwordx2 v[6:7], v[8:9], off
	s_cbranch_scc1 .LBB46_12
; %bb.13:
	s_cmp_lg_u32 s4, s8
	s_cselect_b64 s[0:1], -1, 0
.LBB46_14:
	s_and_b64 vcc, exec, s[0:1]
	s_cbranch_vccz .LBB46_17
; %bb.15:
	v_ashrrev_i32_e32 v1, 31, v0
	v_add_co_u32_e32 v0, vcc, s4, v0
	v_addc_co_u32_e32 v1, vcc, 0, v1, vcc
	v_lshlrev_b64 v[0:1], 2, v[0:1]
	v_mov_b32_e32 v3, s3
	v_add_co_u32_e32 v0, vcc, s2, v0
	s_sub_i32 s0, s8, s4
	v_addc_co_u32_e32 v1, vcc, v3, v1, vcc
.LBB46_16:                              ; =>This Inner Loop Header: Depth=1
	global_load_dword v3, v[0:1], off
	s_add_i32 s0, s0, -1
	s_cmp_lg_u32 s0, 0
	s_waitcnt vmcnt(0)
	v_div_scale_f32 v4, s[2:3], v2, v2, v3
	v_rcp_f32_e32 v5, v4
	v_div_scale_f32 v6, vcc, v3, v2, v3
	v_fma_f32 v7, -v4, v5, 1.0
	v_fmac_f32_e32 v5, v7, v5
	v_mul_f32_e32 v7, v6, v5
	v_fma_f32 v8, -v4, v7, v6
	v_fmac_f32_e32 v7, v8, v5
	v_fma_f32 v4, -v4, v7, v6
	v_div_fmas_f32 v4, v4, v5, v7
	v_div_fixup_f32 v3, v4, v2, v3
	global_store_dword v[0:1], v3, off
	v_add_co_u32_e32 v0, vcc, 4, v0
	v_addc_co_u32_e32 v1, vcc, 0, v1, vcc
	s_cbranch_scc1 .LBB46_16
.LBB46_17:
	s_endpgm
	.section	.rodata,"a",@progbits
	.p2align	6, 0x0
	.amdhsa_kernel _ZN4vllm3moe10topkGatingILi1ELi1ELi4ELi4ELi32ElfLNS0_11ScoringFuncE0EEEvPKT5_PKbPfiPT4_PiiiibPKf
		.amdhsa_group_segment_fixed_size 0
		.amdhsa_private_segment_fixed_size 0
		.amdhsa_kernarg_size 72
		.amdhsa_user_sgpr_count 6
		.amdhsa_user_sgpr_private_segment_buffer 1
		.amdhsa_user_sgpr_dispatch_ptr 0
		.amdhsa_user_sgpr_queue_ptr 0
		.amdhsa_user_sgpr_kernarg_segment_ptr 1
		.amdhsa_user_sgpr_dispatch_id 0
		.amdhsa_user_sgpr_flat_scratch_init 0
		.amdhsa_user_sgpr_kernarg_preload_length 0
		.amdhsa_user_sgpr_kernarg_preload_offset 0
		.amdhsa_user_sgpr_private_segment_size 0
		.amdhsa_uses_dynamic_stack 0
		.amdhsa_system_sgpr_private_segment_wavefront_offset 0
		.amdhsa_system_sgpr_workgroup_id_x 1
		.amdhsa_system_sgpr_workgroup_id_y 0
		.amdhsa_system_sgpr_workgroup_id_z 0
		.amdhsa_system_sgpr_workgroup_info 0
		.amdhsa_system_vgpr_workitem_id 1
		.amdhsa_next_free_vgpr 19
		.amdhsa_next_free_sgpr 23
		.amdhsa_accum_offset 20
		.amdhsa_reserve_vcc 1
		.amdhsa_reserve_flat_scratch 0
		.amdhsa_float_round_mode_32 0
		.amdhsa_float_round_mode_16_64 0
		.amdhsa_float_denorm_mode_32 3
		.amdhsa_float_denorm_mode_16_64 3
		.amdhsa_dx10_clamp 1
		.amdhsa_ieee_mode 1
		.amdhsa_fp16_overflow 0
		.amdhsa_tg_split 0
		.amdhsa_exception_fp_ieee_invalid_op 0
		.amdhsa_exception_fp_denorm_src 0
		.amdhsa_exception_fp_ieee_div_zero 0
		.amdhsa_exception_fp_ieee_overflow 0
		.amdhsa_exception_fp_ieee_underflow 0
		.amdhsa_exception_fp_ieee_inexact 0
		.amdhsa_exception_int_div_zero 0
	.end_amdhsa_kernel
	.section	.text._ZN4vllm3moe10topkGatingILi1ELi1ELi4ELi4ELi32ElfLNS0_11ScoringFuncE0EEEvPKT5_PKbPfiPT4_PiiiibPKf,"axG",@progbits,_ZN4vllm3moe10topkGatingILi1ELi1ELi4ELi4ELi32ElfLNS0_11ScoringFuncE0EEEvPKT5_PKbPfiPT4_PiiiibPKf,comdat
.Lfunc_end46:
	.size	_ZN4vllm3moe10topkGatingILi1ELi1ELi4ELi4ELi32ElfLNS0_11ScoringFuncE0EEEvPKT5_PKbPfiPT4_PiiiibPKf, .Lfunc_end46-_ZN4vllm3moe10topkGatingILi1ELi1ELi4ELi4ELi32ElfLNS0_11ScoringFuncE0EEEvPKT5_PKbPfiPT4_PiiiibPKf
                                        ; -- End function
	.section	.AMDGPU.csdata,"",@progbits
; Kernel info:
; codeLenInByte = 1072
; NumSgprs: 27
; NumVgprs: 19
; NumAgprs: 0
; TotalNumVgprs: 19
; ScratchSize: 0
; MemoryBound: 0
; FloatMode: 240
; IeeeMode: 1
; LDSByteSize: 0 bytes/workgroup (compile time only)
; SGPRBlocks: 3
; VGPRBlocks: 2
; NumSGPRsForWavesPerEU: 27
; NumVGPRsForWavesPerEU: 19
; AccumOffset: 20
; Occupancy: 8
; WaveLimiterHint : 0
; COMPUTE_PGM_RSRC2:SCRATCH_EN: 0
; COMPUTE_PGM_RSRC2:USER_SGPR: 6
; COMPUTE_PGM_RSRC2:TRAP_HANDLER: 0
; COMPUTE_PGM_RSRC2:TGID_X_EN: 1
; COMPUTE_PGM_RSRC2:TGID_Y_EN: 0
; COMPUTE_PGM_RSRC2:TGID_Z_EN: 0
; COMPUTE_PGM_RSRC2:TIDIG_COMP_CNT: 1
; COMPUTE_PGM_RSRC3_GFX90A:ACCUM_OFFSET: 4
; COMPUTE_PGM_RSRC3_GFX90A:TG_SPLIT: 0
	.section	.text._ZN4vllm3moe10topkGatingILi2ELi2ELi4ELi8ELi64ElfLNS0_11ScoringFuncE0EEEvPKT5_PKbPfiPT4_PiiiibPKf,"axG",@progbits,_ZN4vllm3moe10topkGatingILi2ELi2ELi4ELi8ELi64ElfLNS0_11ScoringFuncE0EEEvPKT5_PKbPfiPT4_PiiiibPKf,comdat
	.protected	_ZN4vllm3moe10topkGatingILi2ELi2ELi4ELi8ELi64ElfLNS0_11ScoringFuncE0EEEvPKT5_PKbPfiPT4_PiiiibPKf ; -- Begin function _ZN4vllm3moe10topkGatingILi2ELi2ELi4ELi8ELi64ElfLNS0_11ScoringFuncE0EEEvPKT5_PKbPfiPT4_PiiiibPKf
	.globl	_ZN4vllm3moe10topkGatingILi2ELi2ELi4ELi8ELi64ElfLNS0_11ScoringFuncE0EEEvPKT5_PKbPfiPT4_PiiiibPKf
	.p2align	8
	.type	_ZN4vllm3moe10topkGatingILi2ELi2ELi4ELi8ELi64ElfLNS0_11ScoringFuncE0EEEvPKT5_PKbPfiPT4_PiiiibPKf,@function
_ZN4vllm3moe10topkGatingILi2ELi2ELi4ELi8ELi64ElfLNS0_11ScoringFuncE0EEEvPKT5_PKbPfiPT4_PiiiibPKf: ; @_ZN4vllm3moe10topkGatingILi2ELi2ELi4ELi8ELi64ElfLNS0_11ScoringFuncE0EEEvPKT5_PKbPfiPT4_PiiiibPKf
; %bb.0:
	s_load_dword s16, s[4:5], 0x18
	v_bfe_u32 v1, v0, 10, 10
	s_lshl_b32 s0, s6, 8
	v_lshlrev_b32_e32 v1, 6, v1
	v_and_b32_e32 v0, 0x3ff, v0
	v_add3_u32 v10, v1, v0, s0
	s_waitcnt lgkmcnt(0)
	v_cmp_gt_i32_e32 vcc, s16, v10
	s_and_saveexec_b64 s[0:1], vcc
	s_cbranch_execz .LBB47_19
; %bb.1:
	s_load_dwordx4 s[0:3], s[4:5], 0x0
	s_load_dwordx2 s[6:7], s[4:5], 0x10
	s_waitcnt lgkmcnt(0)
	s_cmp_eq_u64 s[2:3], 0
	s_cbranch_scc1 .LBB47_3
; %bb.2:
	v_ashrrev_i32_e32 v1, 31, v10
	v_mov_b32_e32 v2, s3
	v_add_co_u32_e32 v0, vcc, s2, v10
	v_addc_co_u32_e32 v1, vcc, v2, v1, vcc
	global_load_ubyte v0, v[0:1], off
	s_waitcnt vmcnt(0)
	v_and_b32_e32 v0, 1, v0
	v_cmp_eq_u32_e32 vcc, 1, v0
	s_xor_b64 s[2:3], vcc, -1
	s_orn2_b64 s[12:13], s[2:3], exec
	s_branch .LBB47_4
.LBB47_3:
	s_mov_b64 s[12:13], -1
.LBB47_4:
	v_lshlrev_b32_e32 v0, 1, v10
	v_ashrrev_i32_e32 v1, 31, v0
	v_lshlrev_b64 v[0:1], 2, v[0:1]
	v_mov_b32_e32 v2, s1
	v_add_co_u32_e32 v0, vcc, s0, v0
	v_addc_co_u32_e32 v1, vcc, v2, v1, vcc
	global_load_dwordx2 v[0:1], v[0:1], off
	s_mov_b32 s2, 0x3fb8aa3b
	s_mov_b32 s3, 0xc2ce8ed0
	;; [unrolled: 1-line block ×3, first 2 shown]
	s_load_dwordx2 s[0:1], s[4:5], 0x40
	s_mov_b32 s9, 0x7f800000
	s_waitcnt lgkmcnt(0)
	s_cmp_eq_u64 s[0:1], 0
	s_waitcnt vmcnt(0)
	v_max_f32_e32 v2, v1, v1
	v_max_f32_e32 v3, v0, v0
	;; [unrolled: 1-line block ×3, first 2 shown]
	v_pk_add_f32 v[0:1], v[0:1], v[2:3] op_sel_hi:[1,0] neg_lo:[0,1] neg_hi:[0,1]
	v_mul_f32_e32 v2, 0x3fb8aa3b, v1
	v_mul_f32_e32 v3, 0x3fb8aa3b, v0
	v_fma_f32 v4, v1, s2, -v2
	v_rndne_f32_e32 v5, v2
	v_fma_f32 v6, v0, s2, -v3
	v_rndne_f32_e32 v7, v3
	v_fmac_f32_e32 v4, 0x32a5705f, v1
	v_sub_f32_e32 v2, v2, v5
	v_fmac_f32_e32 v6, 0x32a5705f, v0
	v_sub_f32_e32 v3, v3, v7
	v_add_f32_e32 v2, v2, v4
	v_cvt_i32_f32_e32 v5, v5
	v_add_f32_e32 v3, v3, v6
	v_exp_f32_e32 v2, v2
	v_cvt_i32_f32_e32 v7, v7
	v_exp_f32_e32 v3, v3
	v_cmp_ngt_f32_e32 vcc, s3, v1
	v_ldexp_f32 v2, v2, v5
	v_cndmask_b32_e32 v2, 0, v2, vcc
	v_ldexp_f32 v3, v3, v7
	v_cmp_ngt_f32_e32 vcc, s3, v0
	v_mov_b32_e32 v4, 0x7f800000
	v_cndmask_b32_e32 v3, 0, v3, vcc
	v_cmp_nlt_f32_e32 vcc, s8, v1
	v_cndmask_b32_e32 v1, v4, v2, vcc
	v_cmp_nlt_f32_e32 vcc, s8, v0
	v_cndmask_b32_e32 v0, v4, v3, vcc
	v_add_f32_e32 v2, v0, v1
	v_div_scale_f32 v3, s[2:3], v2, v2, 1.0
	v_rcp_f32_e32 v4, v3
	v_div_scale_f32 v5, vcc, 1.0, v2, 1.0
	s_movk_i32 s2, 0x1f8
	v_fma_f32 v6, -v3, v4, 1.0
	v_fmac_f32_e32 v4, v6, v4
	v_mul_f32_e32 v6, v5, v4
	v_fma_f32 v7, -v3, v6, v5
	v_fmac_f32_e32 v6, v7, v4
	v_fma_f32 v3, -v3, v6, v5
	v_div_fmas_f32 v3, v3, v4, v6
	v_div_fixup_f32 v2, v3, v2, 1.0
	v_pk_mul_f32 v[0:1], v[2:3], v[0:1] op_sel_hi:[0,1]
	v_cmp_nlg_f32_e64 vcc, |v0|, s9
	v_cndmask_b32_e32 v1, v1, v1, vcc
	v_cndmask_b32_e64 v0, v0, 0, vcc
	v_cmp_class_f32_e64 vcc, v1, s2
	v_cndmask_b32_e32 v1, 0, v1, vcc
	v_pk_mov_b32 v[2:3], v[0:1], v[0:1] op_sel:[0,1]
	s_cbranch_scc1 .LBB47_6
; %bb.5:
	s_load_dwordx2 s[0:1], s[0:1], 0x0
	s_waitcnt lgkmcnt(0)
	v_pk_add_f32 v[2:3], v[0:1], s[0:1]
.LBB47_6:
	s_load_dwordx4 s[8:11], s[4:5], 0x30
	s_waitcnt lgkmcnt(0)
	s_bitcmp1_b32 s11, 0
	s_cselect_b64 vcc, -1, 0
	s_cmp_gt_i32 s8, 0
	s_cselect_b64 s[14:15], -1, 0
	s_cmp_lt_i32 s8, 1
	s_cbranch_scc1 .LBB47_10
; %bb.7:
	s_load_dwordx4 s[20:23], s[4:5], 0x20
	v_mul_lo_u32 v6, v10, s8
	v_ashrrev_i32_e32 v7, 31, v6
	v_lshlrev_b64 v[8:9], 2, v[6:7]
	v_mov_b32_e32 v5, s7
	v_add_co_u32_e64 v4, s[0:1], s6, v8
	v_addc_co_u32_e64 v5, s[0:1], v5, v9, s[0:1]
	v_lshlrev_b64 v[6:7], 3, v[6:7]
	s_waitcnt lgkmcnt(0)
	v_mov_b32_e32 v11, s21
	v_add_co_u32_e64 v6, s[0:1], s20, v6
	v_addc_co_u32_e64 v7, s[0:1], v11, v7, s[0:1]
	v_mov_b32_e32 v11, s23
	v_add_co_u32_e64 v8, s[0:1], s22, v8
	v_addc_co_u32_e64 v9, s[0:1], v11, v9, s[0:1]
	s_mov_b32 s11, 0
	v_mov_b32_e32 v11, 0
	v_mov_b32_e32 v12, 0xc61c4000
	;; [unrolled: 1-line block ×3, first 2 shown]
.LBB47_8:                               ; =>This Inner Loop Header: Depth=1
	v_cmp_gt_f32_e64 s[0:1], v3, v2
	v_cndmask_b32_e64 v14, 0, 1, s[0:1]
	v_cmp_le_i32_e64 s[2:3], s9, v14
	v_cmp_gt_i32_e64 s[4:5], s10, v14
	s_and_b64 s[2:3], s[2:3], s[4:5]
	v_subrev_u32_e32 v14, s9, v14
	v_ashrrev_i32_e32 v15, 31, v14
	s_and_b64 s[2:3], s[12:13], s[2:3]
	v_cndmask_b32_e64 v16, v0, v1, s[0:1]
	v_cndmask_b32_e64 v15, 0, v15, s[2:3]
	;; [unrolled: 1-line block ×3, first 2 shown]
	s_add_i32 s11, s11, 1
	global_store_dword v[4:5], v16, off
	global_store_dwordx2 v[6:7], v[14:15], off
	global_store_dword v[8:9], v13, off
	v_add_f32_e32 v14, v11, v16
	s_cmp_lt_i32 s11, s8
	v_cndmask_b32_e32 v11, v11, v14, vcc
	v_cndmask_b32_e64 v14, v12, v2, s[0:1]
	v_cndmask_b32_e64 v15, v3, v12, s[0:1]
	s_cselect_b64 s[0:1], -1, 0
	v_cndmask_b32_e64 v3, v3, v15, s[0:1]
	v_cndmask_b32_e64 v2, v2, v14, s[0:1]
	v_add_co_u32_e64 v4, s[0:1], 4, v4
	v_addc_co_u32_e64 v5, s[0:1], 0, v5, s[0:1]
	v_add_co_u32_e64 v6, s[0:1], 8, v6
	v_addc_co_u32_e64 v7, s[0:1], 0, v7, s[0:1]
	v_add_co_u32_e64 v8, s[0:1], 4, v8
	v_add_u32_e32 v13, s16, v13
	s_cmp_eq_u32 s8, s11
	v_addc_co_u32_e64 v9, s[0:1], 0, v9, s[0:1]
	s_cbranch_scc0 .LBB47_8
; %bb.9:
	s_and_b64 vcc, exec, vcc
	s_cbranch_vccnz .LBB47_11
	s_branch .LBB47_19
.LBB47_10:
	v_mov_b32_e32 v11, 0
	s_and_b64 vcc, exec, vcc
	s_cbranch_vccz .LBB47_19
.LBB47_11:
	s_andn2_b64 vcc, exec, s[14:15]
	s_cbranch_vccnz .LBB47_19
; %bb.12:
	v_cmp_lt_f32_e32 vcc, 0, v11
	s_mov_b32 s2, 0
	v_cndmask_b32_e32 v0, 1.0, v11, vcc
	v_mul_lo_u32 v4, v10, s8
	s_cmp_eq_u32 s8, 1
	s_mov_b64 s[0:1], -1
	s_cbranch_scc1 .LBB47_16
; %bb.13:
	s_and_b32 s2, s8, 0x7ffffffe
	v_mov_b32_e32 v1, v0
	v_mov_b32_e32 v5, s7
	s_mov_b32 s3, s2
	v_mov_b32_e32 v2, v4
.LBB47_14:                              ; =>This Inner Loop Header: Depth=1
	v_ashrrev_i32_e32 v3, 31, v2
	v_lshlrev_b64 v[6:7], 2, v[2:3]
	v_add_co_u32_e32 v6, vcc, s6, v6
	v_addc_co_u32_e32 v7, vcc, v5, v7, vcc
	global_load_dwordx2 v[8:9], v[6:7], off
	s_add_i32 s3, s3, -2
	s_cmp_lg_u32 s3, 0
	v_add_u32_e32 v2, 2, v2
	s_waitcnt vmcnt(0)
	v_div_scale_f32 v3, s[0:1], v1, v1, v9
	v_div_scale_f32 v11, s[0:1], v0, v0, v8
	v_rcp_f32_e32 v12, v3
	v_rcp_f32_e32 v13, v11
	v_div_scale_f32 v10, vcc, v9, v1, v9
	v_fma_f32 v15, -v3, v12, 1.0
	v_fma_f32 v16, -v11, v13, 1.0
	v_fmac_f32_e32 v12, v15, v12
	v_div_scale_f32 v14, s[0:1], v8, v0, v8
	v_fmac_f32_e32 v13, v16, v13
	v_mul_f32_e32 v15, v10, v12
	v_mul_f32_e32 v16, v14, v13
	v_fma_f32 v17, -v3, v15, v10
	v_fma_f32 v18, -v11, v16, v14
	v_fmac_f32_e32 v15, v17, v12
	v_fmac_f32_e32 v16, v18, v13
	v_fma_f32 v3, -v3, v15, v10
	v_fma_f32 v10, -v11, v16, v14
	v_div_fmas_f32 v3, v3, v12, v15
	s_mov_b64 vcc, s[0:1]
	v_div_fixup_f32 v9, v3, v1, v9
	v_div_fmas_f32 v3, v10, v13, v16
	v_div_fixup_f32 v8, v3, v0, v8
	global_store_dwordx2 v[6:7], v[8:9], off
	s_cbranch_scc1 .LBB47_14
; %bb.15:
	s_cmp_lg_u32 s2, s8
	s_cselect_b64 s[0:1], -1, 0
.LBB47_16:
	s_and_b64 vcc, exec, s[0:1]
	s_cbranch_vccz .LBB47_19
; %bb.17:
	v_ashrrev_i32_e32 v1, 31, v4
	v_add_co_u32_e32 v2, vcc, s2, v4
	v_addc_co_u32_e32 v3, vcc, 0, v1, vcc
	v_lshlrev_b64 v[2:3], 2, v[2:3]
	v_mov_b32_e32 v1, s7
	v_add_co_u32_e32 v2, vcc, s6, v2
	s_sub_i32 s0, s8, s2
	v_addc_co_u32_e32 v3, vcc, v1, v3, vcc
.LBB47_18:                              ; =>This Inner Loop Header: Depth=1
	global_load_dword v1, v[2:3], off
	s_add_i32 s0, s0, -1
	s_cmp_lg_u32 s0, 0
	s_waitcnt vmcnt(0)
	v_div_scale_f32 v4, s[2:3], v0, v0, v1
	v_rcp_f32_e32 v5, v4
	v_div_scale_f32 v6, vcc, v1, v0, v1
	v_fma_f32 v7, -v4, v5, 1.0
	v_fmac_f32_e32 v5, v7, v5
	v_mul_f32_e32 v7, v6, v5
	v_fma_f32 v8, -v4, v7, v6
	v_fmac_f32_e32 v7, v8, v5
	v_fma_f32 v4, -v4, v7, v6
	v_div_fmas_f32 v4, v4, v5, v7
	v_div_fixup_f32 v1, v4, v0, v1
	global_store_dword v[2:3], v1, off
	v_add_co_u32_e32 v2, vcc, 4, v2
	v_addc_co_u32_e32 v3, vcc, 0, v3, vcc
	s_cbranch_scc1 .LBB47_18
.LBB47_19:
	s_endpgm
	.section	.rodata,"a",@progbits
	.p2align	6, 0x0
	.amdhsa_kernel _ZN4vllm3moe10topkGatingILi2ELi2ELi4ELi8ELi64ElfLNS0_11ScoringFuncE0EEEvPKT5_PKbPfiPT4_PiiiibPKf
		.amdhsa_group_segment_fixed_size 0
		.amdhsa_private_segment_fixed_size 0
		.amdhsa_kernarg_size 72
		.amdhsa_user_sgpr_count 6
		.amdhsa_user_sgpr_private_segment_buffer 1
		.amdhsa_user_sgpr_dispatch_ptr 0
		.amdhsa_user_sgpr_queue_ptr 0
		.amdhsa_user_sgpr_kernarg_segment_ptr 1
		.amdhsa_user_sgpr_dispatch_id 0
		.amdhsa_user_sgpr_flat_scratch_init 0
		.amdhsa_user_sgpr_kernarg_preload_length 0
		.amdhsa_user_sgpr_kernarg_preload_offset 0
		.amdhsa_user_sgpr_private_segment_size 0
		.amdhsa_uses_dynamic_stack 0
		.amdhsa_system_sgpr_private_segment_wavefront_offset 0
		.amdhsa_system_sgpr_workgroup_id_x 1
		.amdhsa_system_sgpr_workgroup_id_y 0
		.amdhsa_system_sgpr_workgroup_id_z 0
		.amdhsa_system_sgpr_workgroup_info 0
		.amdhsa_system_vgpr_workitem_id 1
		.amdhsa_next_free_vgpr 19
		.amdhsa_next_free_sgpr 24
		.amdhsa_accum_offset 20
		.amdhsa_reserve_vcc 1
		.amdhsa_reserve_flat_scratch 0
		.amdhsa_float_round_mode_32 0
		.amdhsa_float_round_mode_16_64 0
		.amdhsa_float_denorm_mode_32 3
		.amdhsa_float_denorm_mode_16_64 3
		.amdhsa_dx10_clamp 1
		.amdhsa_ieee_mode 1
		.amdhsa_fp16_overflow 0
		.amdhsa_tg_split 0
		.amdhsa_exception_fp_ieee_invalid_op 0
		.amdhsa_exception_fp_denorm_src 0
		.amdhsa_exception_fp_ieee_div_zero 0
		.amdhsa_exception_fp_ieee_overflow 0
		.amdhsa_exception_fp_ieee_underflow 0
		.amdhsa_exception_fp_ieee_inexact 0
		.amdhsa_exception_int_div_zero 0
	.end_amdhsa_kernel
	.section	.text._ZN4vllm3moe10topkGatingILi2ELi2ELi4ELi8ELi64ElfLNS0_11ScoringFuncE0EEEvPKT5_PKbPfiPT4_PiiiibPKf,"axG",@progbits,_ZN4vllm3moe10topkGatingILi2ELi2ELi4ELi8ELi64ElfLNS0_11ScoringFuncE0EEEvPKT5_PKbPfiPT4_PiiiibPKf,comdat
.Lfunc_end47:
	.size	_ZN4vllm3moe10topkGatingILi2ELi2ELi4ELi8ELi64ElfLNS0_11ScoringFuncE0EEEvPKT5_PKbPfiPT4_PiiiibPKf, .Lfunc_end47-_ZN4vllm3moe10topkGatingILi2ELi2ELi4ELi8ELi64ElfLNS0_11ScoringFuncE0EEEvPKT5_PKbPfiPT4_PiiiibPKf
                                        ; -- End function
	.section	.AMDGPU.csdata,"",@progbits
; Kernel info:
; codeLenInByte = 1364
; NumSgprs: 28
; NumVgprs: 19
; NumAgprs: 0
; TotalNumVgprs: 19
; ScratchSize: 0
; MemoryBound: 1
; FloatMode: 240
; IeeeMode: 1
; LDSByteSize: 0 bytes/workgroup (compile time only)
; SGPRBlocks: 3
; VGPRBlocks: 2
; NumSGPRsForWavesPerEU: 28
; NumVGPRsForWavesPerEU: 19
; AccumOffset: 20
; Occupancy: 8
; WaveLimiterHint : 0
; COMPUTE_PGM_RSRC2:SCRATCH_EN: 0
; COMPUTE_PGM_RSRC2:USER_SGPR: 6
; COMPUTE_PGM_RSRC2:TRAP_HANDLER: 0
; COMPUTE_PGM_RSRC2:TGID_X_EN: 1
; COMPUTE_PGM_RSRC2:TGID_Y_EN: 0
; COMPUTE_PGM_RSRC2:TGID_Z_EN: 0
; COMPUTE_PGM_RSRC2:TIDIG_COMP_CNT: 1
; COMPUTE_PGM_RSRC3_GFX90A:ACCUM_OFFSET: 4
; COMPUTE_PGM_RSRC3_GFX90A:TG_SPLIT: 0
	.section	.text._ZN4vllm3moe10topkGatingILi2ELi2ELi4ELi8ELi32ElfLNS0_11ScoringFuncE0EEEvPKT5_PKbPfiPT4_PiiiibPKf,"axG",@progbits,_ZN4vllm3moe10topkGatingILi2ELi2ELi4ELi8ELi32ElfLNS0_11ScoringFuncE0EEEvPKT5_PKbPfiPT4_PiiiibPKf,comdat
	.protected	_ZN4vllm3moe10topkGatingILi2ELi2ELi4ELi8ELi32ElfLNS0_11ScoringFuncE0EEEvPKT5_PKbPfiPT4_PiiiibPKf ; -- Begin function _ZN4vllm3moe10topkGatingILi2ELi2ELi4ELi8ELi32ElfLNS0_11ScoringFuncE0EEEvPKT5_PKbPfiPT4_PiiiibPKf
	.globl	_ZN4vllm3moe10topkGatingILi2ELi2ELi4ELi8ELi32ElfLNS0_11ScoringFuncE0EEEvPKT5_PKbPfiPT4_PiiiibPKf
	.p2align	8
	.type	_ZN4vllm3moe10topkGatingILi2ELi2ELi4ELi8ELi32ElfLNS0_11ScoringFuncE0EEEvPKT5_PKbPfiPT4_PiiiibPKf,@function
_ZN4vllm3moe10topkGatingILi2ELi2ELi4ELi8ELi32ElfLNS0_11ScoringFuncE0EEEvPKT5_PKbPfiPT4_PiiiibPKf: ; @_ZN4vllm3moe10topkGatingILi2ELi2ELi4ELi8ELi32ElfLNS0_11ScoringFuncE0EEEvPKT5_PKbPfiPT4_PiiiibPKf
; %bb.0:
	s_load_dword s16, s[4:5], 0x18
	v_bfe_u32 v1, v0, 10, 10
	s_lshl_b32 s0, s6, 7
	v_lshlrev_b32_e32 v1, 5, v1
	v_and_b32_e32 v0, 0x3ff, v0
	v_add3_u32 v10, v1, v0, s0
	s_waitcnt lgkmcnt(0)
	v_cmp_gt_i32_e32 vcc, s16, v10
	s_and_saveexec_b64 s[0:1], vcc
	s_cbranch_execz .LBB48_19
; %bb.1:
	s_load_dwordx4 s[0:3], s[4:5], 0x0
	s_load_dwordx2 s[6:7], s[4:5], 0x10
	s_waitcnt lgkmcnt(0)
	s_cmp_eq_u64 s[2:3], 0
	s_cbranch_scc1 .LBB48_3
; %bb.2:
	v_ashrrev_i32_e32 v1, 31, v10
	v_mov_b32_e32 v2, s3
	v_add_co_u32_e32 v0, vcc, s2, v10
	v_addc_co_u32_e32 v1, vcc, v2, v1, vcc
	global_load_ubyte v0, v[0:1], off
	s_waitcnt vmcnt(0)
	v_and_b32_e32 v0, 1, v0
	v_cmp_eq_u32_e32 vcc, 1, v0
	s_xor_b64 s[2:3], vcc, -1
	s_orn2_b64 s[12:13], s[2:3], exec
	s_branch .LBB48_4
.LBB48_3:
	s_mov_b64 s[12:13], -1
.LBB48_4:
	v_lshlrev_b32_e32 v0, 1, v10
	v_ashrrev_i32_e32 v1, 31, v0
	v_lshlrev_b64 v[0:1], 2, v[0:1]
	v_mov_b32_e32 v2, s1
	v_add_co_u32_e32 v0, vcc, s0, v0
	v_addc_co_u32_e32 v1, vcc, v2, v1, vcc
	global_load_dwordx2 v[0:1], v[0:1], off
	s_mov_b32 s2, 0x3fb8aa3b
	s_mov_b32 s3, 0xc2ce8ed0
	s_mov_b32 s8, 0x42b17218
	s_load_dwordx2 s[0:1], s[4:5], 0x40
	s_mov_b32 s9, 0x7f800000
	s_waitcnt lgkmcnt(0)
	s_cmp_eq_u64 s[0:1], 0
	s_waitcnt vmcnt(0)
	v_max_f32_e32 v2, v1, v1
	v_max_f32_e32 v3, v0, v0
	;; [unrolled: 1-line block ×3, first 2 shown]
	v_pk_add_f32 v[0:1], v[0:1], v[2:3] op_sel_hi:[1,0] neg_lo:[0,1] neg_hi:[0,1]
	v_mul_f32_e32 v2, 0x3fb8aa3b, v1
	v_mul_f32_e32 v3, 0x3fb8aa3b, v0
	v_fma_f32 v4, v1, s2, -v2
	v_rndne_f32_e32 v5, v2
	v_fma_f32 v6, v0, s2, -v3
	v_rndne_f32_e32 v7, v3
	v_fmac_f32_e32 v4, 0x32a5705f, v1
	v_sub_f32_e32 v2, v2, v5
	v_fmac_f32_e32 v6, 0x32a5705f, v0
	v_sub_f32_e32 v3, v3, v7
	v_add_f32_e32 v2, v2, v4
	v_cvt_i32_f32_e32 v5, v5
	v_add_f32_e32 v3, v3, v6
	v_exp_f32_e32 v2, v2
	v_cvt_i32_f32_e32 v7, v7
	v_exp_f32_e32 v3, v3
	v_cmp_ngt_f32_e32 vcc, s3, v1
	v_ldexp_f32 v2, v2, v5
	v_cndmask_b32_e32 v2, 0, v2, vcc
	v_ldexp_f32 v3, v3, v7
	v_cmp_ngt_f32_e32 vcc, s3, v0
	v_mov_b32_e32 v4, 0x7f800000
	v_cndmask_b32_e32 v3, 0, v3, vcc
	v_cmp_nlt_f32_e32 vcc, s8, v1
	v_cndmask_b32_e32 v1, v4, v2, vcc
	v_cmp_nlt_f32_e32 vcc, s8, v0
	v_cndmask_b32_e32 v0, v4, v3, vcc
	v_add_f32_e32 v2, v0, v1
	v_div_scale_f32 v3, s[2:3], v2, v2, 1.0
	v_rcp_f32_e32 v4, v3
	v_div_scale_f32 v5, vcc, 1.0, v2, 1.0
	s_movk_i32 s2, 0x1f8
	v_fma_f32 v6, -v3, v4, 1.0
	v_fmac_f32_e32 v4, v6, v4
	v_mul_f32_e32 v6, v5, v4
	v_fma_f32 v7, -v3, v6, v5
	v_fmac_f32_e32 v6, v7, v4
	v_fma_f32 v3, -v3, v6, v5
	v_div_fmas_f32 v3, v3, v4, v6
	v_div_fixup_f32 v2, v3, v2, 1.0
	v_pk_mul_f32 v[0:1], v[2:3], v[0:1] op_sel_hi:[0,1]
	v_cmp_nlg_f32_e64 vcc, |v0|, s9
	v_cndmask_b32_e32 v1, v1, v1, vcc
	v_cndmask_b32_e64 v0, v0, 0, vcc
	v_cmp_class_f32_e64 vcc, v1, s2
	v_cndmask_b32_e32 v1, 0, v1, vcc
	v_pk_mov_b32 v[2:3], v[0:1], v[0:1] op_sel:[0,1]
	s_cbranch_scc1 .LBB48_6
; %bb.5:
	s_load_dwordx2 s[0:1], s[0:1], 0x0
	s_waitcnt lgkmcnt(0)
	v_pk_add_f32 v[2:3], v[0:1], s[0:1]
.LBB48_6:
	s_load_dwordx4 s[8:11], s[4:5], 0x30
	s_waitcnt lgkmcnt(0)
	s_bitcmp1_b32 s11, 0
	s_cselect_b64 vcc, -1, 0
	s_cmp_gt_i32 s8, 0
	s_cselect_b64 s[14:15], -1, 0
	s_cmp_lt_i32 s8, 1
	s_cbranch_scc1 .LBB48_10
; %bb.7:
	s_load_dwordx4 s[20:23], s[4:5], 0x20
	v_mul_lo_u32 v6, v10, s8
	v_ashrrev_i32_e32 v7, 31, v6
	v_lshlrev_b64 v[8:9], 2, v[6:7]
	v_mov_b32_e32 v5, s7
	v_add_co_u32_e64 v4, s[0:1], s6, v8
	v_addc_co_u32_e64 v5, s[0:1], v5, v9, s[0:1]
	v_lshlrev_b64 v[6:7], 3, v[6:7]
	s_waitcnt lgkmcnt(0)
	v_mov_b32_e32 v11, s21
	v_add_co_u32_e64 v6, s[0:1], s20, v6
	v_addc_co_u32_e64 v7, s[0:1], v11, v7, s[0:1]
	v_mov_b32_e32 v11, s23
	v_add_co_u32_e64 v8, s[0:1], s22, v8
	v_addc_co_u32_e64 v9, s[0:1], v11, v9, s[0:1]
	s_mov_b32 s11, 0
	v_mov_b32_e32 v11, 0
	v_mov_b32_e32 v12, 0xc61c4000
	;; [unrolled: 1-line block ×3, first 2 shown]
.LBB48_8:                               ; =>This Inner Loop Header: Depth=1
	v_cmp_gt_f32_e64 s[0:1], v3, v2
	v_cndmask_b32_e64 v14, 0, 1, s[0:1]
	v_cmp_le_i32_e64 s[2:3], s9, v14
	v_cmp_gt_i32_e64 s[4:5], s10, v14
	s_and_b64 s[2:3], s[2:3], s[4:5]
	v_subrev_u32_e32 v14, s9, v14
	v_ashrrev_i32_e32 v15, 31, v14
	s_and_b64 s[2:3], s[12:13], s[2:3]
	v_cndmask_b32_e64 v16, v0, v1, s[0:1]
	v_cndmask_b32_e64 v15, 0, v15, s[2:3]
	;; [unrolled: 1-line block ×3, first 2 shown]
	s_add_i32 s11, s11, 1
	global_store_dword v[4:5], v16, off
	global_store_dwordx2 v[6:7], v[14:15], off
	global_store_dword v[8:9], v13, off
	v_add_f32_e32 v14, v11, v16
	s_cmp_lt_i32 s11, s8
	v_cndmask_b32_e32 v11, v11, v14, vcc
	v_cndmask_b32_e64 v14, v12, v2, s[0:1]
	v_cndmask_b32_e64 v15, v3, v12, s[0:1]
	s_cselect_b64 s[0:1], -1, 0
	v_cndmask_b32_e64 v3, v3, v15, s[0:1]
	v_cndmask_b32_e64 v2, v2, v14, s[0:1]
	v_add_co_u32_e64 v4, s[0:1], 4, v4
	v_addc_co_u32_e64 v5, s[0:1], 0, v5, s[0:1]
	v_add_co_u32_e64 v6, s[0:1], 8, v6
	v_addc_co_u32_e64 v7, s[0:1], 0, v7, s[0:1]
	v_add_co_u32_e64 v8, s[0:1], 4, v8
	v_add_u32_e32 v13, s16, v13
	s_cmp_eq_u32 s8, s11
	v_addc_co_u32_e64 v9, s[0:1], 0, v9, s[0:1]
	s_cbranch_scc0 .LBB48_8
; %bb.9:
	s_and_b64 vcc, exec, vcc
	s_cbranch_vccnz .LBB48_11
	s_branch .LBB48_19
.LBB48_10:
	v_mov_b32_e32 v11, 0
	s_and_b64 vcc, exec, vcc
	s_cbranch_vccz .LBB48_19
.LBB48_11:
	s_andn2_b64 vcc, exec, s[14:15]
	s_cbranch_vccnz .LBB48_19
; %bb.12:
	v_cmp_lt_f32_e32 vcc, 0, v11
	s_mov_b32 s2, 0
	v_cndmask_b32_e32 v0, 1.0, v11, vcc
	v_mul_lo_u32 v4, v10, s8
	s_cmp_eq_u32 s8, 1
	s_mov_b64 s[0:1], -1
	s_cbranch_scc1 .LBB48_16
; %bb.13:
	s_and_b32 s2, s8, 0x7ffffffe
	v_mov_b32_e32 v1, v0
	v_mov_b32_e32 v5, s7
	s_mov_b32 s3, s2
	v_mov_b32_e32 v2, v4
.LBB48_14:                              ; =>This Inner Loop Header: Depth=1
	v_ashrrev_i32_e32 v3, 31, v2
	v_lshlrev_b64 v[6:7], 2, v[2:3]
	v_add_co_u32_e32 v6, vcc, s6, v6
	v_addc_co_u32_e32 v7, vcc, v5, v7, vcc
	global_load_dwordx2 v[8:9], v[6:7], off
	s_add_i32 s3, s3, -2
	s_cmp_lg_u32 s3, 0
	v_add_u32_e32 v2, 2, v2
	s_waitcnt vmcnt(0)
	v_div_scale_f32 v3, s[0:1], v1, v1, v9
	v_div_scale_f32 v11, s[0:1], v0, v0, v8
	v_rcp_f32_e32 v12, v3
	v_rcp_f32_e32 v13, v11
	v_div_scale_f32 v10, vcc, v9, v1, v9
	v_fma_f32 v15, -v3, v12, 1.0
	v_fma_f32 v16, -v11, v13, 1.0
	v_fmac_f32_e32 v12, v15, v12
	v_div_scale_f32 v14, s[0:1], v8, v0, v8
	v_fmac_f32_e32 v13, v16, v13
	v_mul_f32_e32 v15, v10, v12
	v_mul_f32_e32 v16, v14, v13
	v_fma_f32 v17, -v3, v15, v10
	v_fma_f32 v18, -v11, v16, v14
	v_fmac_f32_e32 v15, v17, v12
	v_fmac_f32_e32 v16, v18, v13
	v_fma_f32 v3, -v3, v15, v10
	v_fma_f32 v10, -v11, v16, v14
	v_div_fmas_f32 v3, v3, v12, v15
	s_mov_b64 vcc, s[0:1]
	v_div_fixup_f32 v9, v3, v1, v9
	v_div_fmas_f32 v3, v10, v13, v16
	v_div_fixup_f32 v8, v3, v0, v8
	global_store_dwordx2 v[6:7], v[8:9], off
	s_cbranch_scc1 .LBB48_14
; %bb.15:
	s_cmp_lg_u32 s2, s8
	s_cselect_b64 s[0:1], -1, 0
.LBB48_16:
	s_and_b64 vcc, exec, s[0:1]
	s_cbranch_vccz .LBB48_19
; %bb.17:
	v_ashrrev_i32_e32 v1, 31, v4
	v_add_co_u32_e32 v2, vcc, s2, v4
	v_addc_co_u32_e32 v3, vcc, 0, v1, vcc
	v_lshlrev_b64 v[2:3], 2, v[2:3]
	v_mov_b32_e32 v1, s7
	v_add_co_u32_e32 v2, vcc, s6, v2
	s_sub_i32 s0, s8, s2
	v_addc_co_u32_e32 v3, vcc, v1, v3, vcc
.LBB48_18:                              ; =>This Inner Loop Header: Depth=1
	global_load_dword v1, v[2:3], off
	s_add_i32 s0, s0, -1
	s_cmp_lg_u32 s0, 0
	s_waitcnt vmcnt(0)
	v_div_scale_f32 v4, s[2:3], v0, v0, v1
	v_rcp_f32_e32 v5, v4
	v_div_scale_f32 v6, vcc, v1, v0, v1
	v_fma_f32 v7, -v4, v5, 1.0
	v_fmac_f32_e32 v5, v7, v5
	v_mul_f32_e32 v7, v6, v5
	v_fma_f32 v8, -v4, v7, v6
	v_fmac_f32_e32 v7, v8, v5
	v_fma_f32 v4, -v4, v7, v6
	v_div_fmas_f32 v4, v4, v5, v7
	v_div_fixup_f32 v1, v4, v0, v1
	global_store_dword v[2:3], v1, off
	v_add_co_u32_e32 v2, vcc, 4, v2
	v_addc_co_u32_e32 v3, vcc, 0, v3, vcc
	s_cbranch_scc1 .LBB48_18
.LBB48_19:
	s_endpgm
	.section	.rodata,"a",@progbits
	.p2align	6, 0x0
	.amdhsa_kernel _ZN4vllm3moe10topkGatingILi2ELi2ELi4ELi8ELi32ElfLNS0_11ScoringFuncE0EEEvPKT5_PKbPfiPT4_PiiiibPKf
		.amdhsa_group_segment_fixed_size 0
		.amdhsa_private_segment_fixed_size 0
		.amdhsa_kernarg_size 72
		.amdhsa_user_sgpr_count 6
		.amdhsa_user_sgpr_private_segment_buffer 1
		.amdhsa_user_sgpr_dispatch_ptr 0
		.amdhsa_user_sgpr_queue_ptr 0
		.amdhsa_user_sgpr_kernarg_segment_ptr 1
		.amdhsa_user_sgpr_dispatch_id 0
		.amdhsa_user_sgpr_flat_scratch_init 0
		.amdhsa_user_sgpr_kernarg_preload_length 0
		.amdhsa_user_sgpr_kernarg_preload_offset 0
		.amdhsa_user_sgpr_private_segment_size 0
		.amdhsa_uses_dynamic_stack 0
		.amdhsa_system_sgpr_private_segment_wavefront_offset 0
		.amdhsa_system_sgpr_workgroup_id_x 1
		.amdhsa_system_sgpr_workgroup_id_y 0
		.amdhsa_system_sgpr_workgroup_id_z 0
		.amdhsa_system_sgpr_workgroup_info 0
		.amdhsa_system_vgpr_workitem_id 1
		.amdhsa_next_free_vgpr 19
		.amdhsa_next_free_sgpr 24
		.amdhsa_accum_offset 20
		.amdhsa_reserve_vcc 1
		.amdhsa_reserve_flat_scratch 0
		.amdhsa_float_round_mode_32 0
		.amdhsa_float_round_mode_16_64 0
		.amdhsa_float_denorm_mode_32 3
		.amdhsa_float_denorm_mode_16_64 3
		.amdhsa_dx10_clamp 1
		.amdhsa_ieee_mode 1
		.amdhsa_fp16_overflow 0
		.amdhsa_tg_split 0
		.amdhsa_exception_fp_ieee_invalid_op 0
		.amdhsa_exception_fp_denorm_src 0
		.amdhsa_exception_fp_ieee_div_zero 0
		.amdhsa_exception_fp_ieee_overflow 0
		.amdhsa_exception_fp_ieee_underflow 0
		.amdhsa_exception_fp_ieee_inexact 0
		.amdhsa_exception_int_div_zero 0
	.end_amdhsa_kernel
	.section	.text._ZN4vllm3moe10topkGatingILi2ELi2ELi4ELi8ELi32ElfLNS0_11ScoringFuncE0EEEvPKT5_PKbPfiPT4_PiiiibPKf,"axG",@progbits,_ZN4vllm3moe10topkGatingILi2ELi2ELi4ELi8ELi32ElfLNS0_11ScoringFuncE0EEEvPKT5_PKbPfiPT4_PiiiibPKf,comdat
.Lfunc_end48:
	.size	_ZN4vllm3moe10topkGatingILi2ELi2ELi4ELi8ELi32ElfLNS0_11ScoringFuncE0EEEvPKT5_PKbPfiPT4_PiiiibPKf, .Lfunc_end48-_ZN4vllm3moe10topkGatingILi2ELi2ELi4ELi8ELi32ElfLNS0_11ScoringFuncE0EEEvPKT5_PKbPfiPT4_PiiiibPKf
                                        ; -- End function
	.section	.AMDGPU.csdata,"",@progbits
; Kernel info:
; codeLenInByte = 1364
; NumSgprs: 28
; NumVgprs: 19
; NumAgprs: 0
; TotalNumVgprs: 19
; ScratchSize: 0
; MemoryBound: 1
; FloatMode: 240
; IeeeMode: 1
; LDSByteSize: 0 bytes/workgroup (compile time only)
; SGPRBlocks: 3
; VGPRBlocks: 2
; NumSGPRsForWavesPerEU: 28
; NumVGPRsForWavesPerEU: 19
; AccumOffset: 20
; Occupancy: 8
; WaveLimiterHint : 0
; COMPUTE_PGM_RSRC2:SCRATCH_EN: 0
; COMPUTE_PGM_RSRC2:USER_SGPR: 6
; COMPUTE_PGM_RSRC2:TRAP_HANDLER: 0
; COMPUTE_PGM_RSRC2:TGID_X_EN: 1
; COMPUTE_PGM_RSRC2:TGID_Y_EN: 0
; COMPUTE_PGM_RSRC2:TGID_Z_EN: 0
; COMPUTE_PGM_RSRC2:TIDIG_COMP_CNT: 1
; COMPUTE_PGM_RSRC3_GFX90A:ACCUM_OFFSET: 4
; COMPUTE_PGM_RSRC3_GFX90A:TG_SPLIT: 0
	.section	.text._ZN4vllm3moe10topkGatingILi4ELi4ELi4ELi16ELi64ElfLNS0_11ScoringFuncE0EEEvPKT5_PKbPfiPT4_PiiiibPKf,"axG",@progbits,_ZN4vllm3moe10topkGatingILi4ELi4ELi4ELi16ELi64ElfLNS0_11ScoringFuncE0EEEvPKT5_PKbPfiPT4_PiiiibPKf,comdat
	.protected	_ZN4vllm3moe10topkGatingILi4ELi4ELi4ELi16ELi64ElfLNS0_11ScoringFuncE0EEEvPKT5_PKbPfiPT4_PiiiibPKf ; -- Begin function _ZN4vllm3moe10topkGatingILi4ELi4ELi4ELi16ELi64ElfLNS0_11ScoringFuncE0EEEvPKT5_PKbPfiPT4_PiiiibPKf
	.globl	_ZN4vllm3moe10topkGatingILi4ELi4ELi4ELi16ELi64ElfLNS0_11ScoringFuncE0EEEvPKT5_PKbPfiPT4_PiiiibPKf
	.p2align	8
	.type	_ZN4vllm3moe10topkGatingILi4ELi4ELi4ELi16ELi64ElfLNS0_11ScoringFuncE0EEEvPKT5_PKbPfiPT4_PiiiibPKf,@function
_ZN4vllm3moe10topkGatingILi4ELi4ELi4ELi16ELi64ElfLNS0_11ScoringFuncE0EEEvPKT5_PKbPfiPT4_PiiiibPKf: ; @_ZN4vllm3moe10topkGatingILi4ELi4ELi4ELi16ELi64ElfLNS0_11ScoringFuncE0EEEvPKT5_PKbPfiPT4_PiiiibPKf
; %bb.0:
	s_load_dword s16, s[4:5], 0x18
	v_bfe_u32 v1, v0, 10, 10
	s_lshl_b32 s0, s6, 8
	v_lshlrev_b32_e32 v1, 6, v1
	v_and_b32_e32 v0, 0x3ff, v0
	v_add3_u32 v14, v1, v0, s0
	s_waitcnt lgkmcnt(0)
	v_cmp_gt_i32_e32 vcc, s16, v14
	s_and_saveexec_b64 s[0:1], vcc
	s_cbranch_execz .LBB49_20
; %bb.1:
	s_load_dwordx4 s[0:3], s[4:5], 0x0
	s_load_dwordx2 s[6:7], s[4:5], 0x10
	s_mov_b64 s[8:9], -1
	s_mov_b64 s[12:13], -1
	s_waitcnt lgkmcnt(0)
	s_cmp_eq_u64 s[2:3], 0
	s_cbranch_scc1 .LBB49_3
; %bb.2:
	v_ashrrev_i32_e32 v1, 31, v14
	v_mov_b32_e32 v2, s3
	v_add_co_u32_e32 v0, vcc, s2, v14
	v_addc_co_u32_e32 v1, vcc, v2, v1, vcc
	global_load_ubyte v0, v[0:1], off
	s_waitcnt vmcnt(0)
	v_and_b32_e32 v0, 1, v0
	v_cmp_eq_u32_e32 vcc, 1, v0
	s_xor_b64 s[2:3], vcc, -1
	s_orn2_b64 s[12:13], s[2:3], exec
.LBB49_3:
	v_lshlrev_b32_e32 v0, 2, v14
	v_ashrrev_i32_e32 v1, 31, v0
	v_lshlrev_b64 v[0:1], 2, v[0:1]
	v_mov_b32_e32 v2, s1
	v_add_co_u32_e32 v0, vcc, s0, v0
	v_addc_co_u32_e32 v1, vcc, v2, v1, vcc
	global_load_dwordx4 v[0:3], v[0:1], off
	v_mov_b32_e32 v5, 0x7f800000
	s_mov_b32 s2, 0x3fb8aa3b
	s_mov_b32 s3, 0xc2ce8ed0
	;; [unrolled: 1-line block ×3, first 2 shown]
	s_load_dwordx2 s[0:1], s[4:5], 0x40
	v_mov_b32_e32 v6, 0x207
	s_waitcnt lgkmcnt(0)
	s_cmp_eq_u64 s[0:1], 0
	s_waitcnt vmcnt(0)
	v_max_f32_e32 v4, v1, v1
	v_max_f32_e32 v7, v0, v0
	;; [unrolled: 1-line block ×3, first 2 shown]
	v_max3_f32 v4, v4, v2, v3
	v_pk_add_f32 v[0:1], v[0:1], v[4:5] op_sel_hi:[1,0] neg_lo:[0,1] neg_hi:[0,1]
	v_pk_add_f32 v[2:3], v[2:3], v[4:5] op_sel_hi:[1,0] neg_lo:[0,1] neg_hi:[0,1]
	v_mul_f32_e32 v4, 0x3fb8aa3b, v1
	v_mul_f32_e32 v7, 0x3fb8aa3b, v0
	v_fma_f32 v10, v1, s2, -v4
	v_rndne_f32_e32 v11, v4
	v_mul_f32_e32 v8, 0x3fb8aa3b, v3
	v_fma_f32 v12, v0, s2, -v7
	v_rndne_f32_e32 v13, v7
	v_fmac_f32_e32 v10, 0x32a5705f, v1
	v_sub_f32_e32 v4, v4, v11
	v_mul_f32_e32 v9, 0x3fb8aa3b, v2
	v_fma_f32 v15, v3, s2, -v8
	v_rndne_f32_e32 v16, v8
	v_fmac_f32_e32 v12, 0x32a5705f, v0
	v_sub_f32_e32 v7, v7, v13
	v_add_f32_e32 v4, v4, v10
	v_fma_f32 v17, v2, s2, -v9
	v_rndne_f32_e32 v18, v9
	v_cvt_i32_f32_e32 v11, v11
	v_fmac_f32_e32 v15, 0x32a5705f, v3
	v_sub_f32_e32 v8, v8, v16
	v_add_f32_e32 v7, v7, v12
	v_exp_f32_e32 v4, v4
	v_cvt_i32_f32_e32 v13, v13
	v_fmac_f32_e32 v17, 0x32a5705f, v2
	v_sub_f32_e32 v9, v9, v18
	v_add_f32_e32 v8, v8, v15
	v_exp_f32_e32 v7, v7
	v_cvt_i32_f32_e32 v16, v16
	v_add_f32_e32 v9, v9, v17
	v_exp_f32_e32 v8, v8
	v_cvt_i32_f32_e32 v18, v18
	v_exp_f32_e32 v9, v9
	v_ldexp_f32 v4, v4, v11
	v_cmp_ngt_f32_e32 vcc, s3, v1
	v_ldexp_f32 v7, v7, v13
	v_cndmask_b32_e32 v4, 0, v4, vcc
	v_cmp_ngt_f32_e32 vcc, s3, v0
	v_ldexp_f32 v8, v8, v16
	v_cndmask_b32_e32 v7, 0, v7, vcc
	;; [unrolled: 3-line block ×3, first 2 shown]
	v_cmp_ngt_f32_e32 vcc, s3, v2
	v_cndmask_b32_e32 v9, 0, v9, vcc
	v_cmp_nlt_f32_e32 vcc, s10, v1
	v_cndmask_b32_e32 v1, v5, v4, vcc
	v_cmp_nlt_f32_e32 vcc, s10, v0
	;; [unrolled: 2-line block ×4, first 2 shown]
	v_cndmask_b32_e32 v2, v5, v9, vcc
	v_add_f32_e32 v4, v0, v1
	v_add_f32_e32 v4, v4, v2
	v_add_f32_e32 v4, v4, v3
	v_div_scale_f32 v5, s[2:3], v4, v4, 1.0
	v_rcp_f32_e32 v7, v5
	v_div_scale_f32 v8, vcc, 1.0, v4, 1.0
	v_fma_f32 v9, -v5, v7, 1.0
	v_fmac_f32_e32 v7, v9, v7
	v_mul_f32_e32 v9, v8, v7
	v_fma_f32 v10, -v5, v9, v8
	v_fmac_f32_e32 v9, v10, v7
	v_fma_f32 v5, -v5, v9, v8
	v_div_fmas_f32 v5, v5, v7, v9
	v_div_fixup_f32 v4, v5, v4, 1.0
	v_pk_mul_f32 v[0:1], v[4:5], v[0:1] op_sel_hi:[0,1]
	v_cmp_class_f32_e32 vcc, v1, v6
	v_pk_mul_f32 v[2:3], v[4:5], v[2:3] op_sel_hi:[0,1]
	v_cndmask_b32_e64 v1, v1, 0, vcc
	v_cmp_class_f32_e32 vcc, v0, v6
	v_cndmask_b32_e64 v0, v0, 0, vcc
	v_cmp_class_f32_e32 vcc, v3, v6
	;; [unrolled: 2-line block ×3, first 2 shown]
	v_cndmask_b32_e64 v2, v2, 0, vcc
	s_cbranch_scc1 .LBB49_10
; %bb.4:
	s_load_dwordx4 s[0:3], s[0:1], 0x0
	s_waitcnt lgkmcnt(0)
	v_pk_add_f32 v[4:5], s[0:1], v[0:1]
	v_pk_add_f32 v[6:7], s[2:3], v[2:3]
	s_cbranch_execnz .LBB49_6
.LBB49_5:
	v_pk_mov_b32 v[6:7], v[2:3], v[2:3] op_sel:[0,1]
	v_pk_mov_b32 v[4:5], v[0:1], v[0:1] op_sel:[0,1]
.LBB49_6:
	s_load_dwordx4 s[8:11], s[4:5], 0x30
	s_waitcnt lgkmcnt(0)
	s_bitcmp1_b32 s11, 0
	s_cselect_b64 vcc, -1, 0
	s_cmp_gt_i32 s8, 0
	s_cselect_b64 s[14:15], -1, 0
	s_cmp_lt_i32 s8, 1
	s_mov_b32 s11, 0
	s_cbranch_scc1 .LBB49_11
; %bb.7:
	s_load_dwordx4 s[20:23], s[4:5], 0x20
	v_mul_lo_u32 v10, v14, s8
	v_ashrrev_i32_e32 v11, 31, v10
	v_lshlrev_b64 v[12:13], 2, v[10:11]
	v_mov_b32_e32 v9, s7
	v_add_co_u32_e64 v8, s[0:1], s6, v12
	v_addc_co_u32_e64 v9, s[0:1], v9, v13, s[0:1]
	v_lshlrev_b64 v[10:11], 3, v[10:11]
	s_waitcnt lgkmcnt(0)
	v_mov_b32_e32 v15, s21
	v_add_co_u32_e64 v10, s[0:1], s20, v10
	v_addc_co_u32_e64 v11, s[0:1], v15, v11, s[0:1]
	v_mov_b32_e32 v15, s23
	v_add_co_u32_e64 v12, s[0:1], s22, v12
	v_addc_co_u32_e64 v13, s[0:1], v15, v13, s[0:1]
	v_mov_b32_e32 v15, 0
	v_mov_b32_e32 v16, 0xc61c4000
	;; [unrolled: 1-line block ×3, first 2 shown]
.LBB49_8:                               ; =>This Inner Loop Header: Depth=1
	v_cmp_gt_f32_e64 s[0:1], v5, v4
	v_cndmask_b32_e64 v18, v4, v5, s[0:1]
	v_cndmask_b32_e64 v19, v0, v1, s[0:1]
	v_cndmask_b32_e64 v20, 0, 1, s[0:1]
	v_cmp_gt_f32_e64 s[0:1], v6, v18
	v_cndmask_b32_e64 v18, v18, v6, s[0:1]
	v_cndmask_b32_e64 v19, v19, v2, s[0:1]
	;; [unrolled: 1-line block ×3, first 2 shown]
	v_cmp_gt_f32_e64 s[0:1], v7, v18
	v_cndmask_b32_e64 v20, v20, 3, s[0:1]
	v_cndmask_b32_e64 v21, v19, v3, s[0:1]
	v_cmp_le_i32_e64 s[0:1], s9, v20
	v_cmp_gt_i32_e64 s[2:3], s10, v20
	s_and_b64 s[0:1], s[0:1], s[2:3]
	v_subrev_u32_e32 v18, s9, v20
	v_ashrrev_i32_e32 v19, 31, v18
	s_and_b64 s[0:1], s[12:13], s[0:1]
	v_cndmask_b32_e64 v19, 0, v19, s[0:1]
	v_cndmask_b32_e64 v18, 4, v18, s[0:1]
	global_store_dword v[8:9], v21, off
	global_store_dwordx2 v[10:11], v[18:19], off
	global_store_dword v[12:13], v17, off
	v_add_f32_e32 v18, v15, v21
	v_cmp_ne_u32_e64 s[0:1], 0, v20
	v_cndmask_b32_e32 v15, v15, v18, vcc
	v_cndmask_b32_e64 v18, v16, v4, s[0:1]
	v_cmp_ne_u32_e64 s[0:1], 1, v20
	s_add_i32 s11, s11, 1
	v_cndmask_b32_e64 v19, v16, v5, s[0:1]
	v_cmp_ne_u32_e64 s[0:1], 2, v20
	s_cmp_lt_i32 s11, s8
	v_cndmask_b32_e64 v21, v16, v6, s[0:1]
	v_cmp_ne_u32_e64 s[0:1], 3, v20
	v_cndmask_b32_e64 v20, v16, v7, s[0:1]
	s_cselect_b64 s[0:1], -1, 0
	v_cndmask_b32_e64 v7, v7, v20, s[0:1]
	v_cndmask_b32_e64 v6, v6, v21, s[0:1]
	v_cndmask_b32_e64 v5, v5, v19, s[0:1]
	v_cndmask_b32_e64 v4, v4, v18, s[0:1]
	v_add_co_u32_e64 v8, s[0:1], 4, v8
	v_addc_co_u32_e64 v9, s[0:1], 0, v9, s[0:1]
	v_add_co_u32_e64 v10, s[0:1], 8, v10
	v_addc_co_u32_e64 v11, s[0:1], 0, v11, s[0:1]
	v_add_co_u32_e64 v12, s[0:1], 4, v12
	v_add_u32_e32 v17, s16, v17
	s_cmp_eq_u32 s8, s11
	v_addc_co_u32_e64 v13, s[0:1], 0, v13, s[0:1]
	s_cbranch_scc0 .LBB49_8
; %bb.9:
	s_and_b64 vcc, exec, vcc
	s_cbranch_vccnz .LBB49_12
	s_branch .LBB49_20
.LBB49_10:
                                        ; implicit-def: $vgpr4_vgpr5_vgpr6_vgpr7
	s_andn2_b64 vcc, exec, s[8:9]
	s_cbranch_vccz .LBB49_5
	s_branch .LBB49_6
.LBB49_11:
	v_mov_b32_e32 v15, 0
	s_and_b64 vcc, exec, vcc
	s_cbranch_vccz .LBB49_20
.LBB49_12:
	s_andn2_b64 vcc, exec, s[14:15]
	s_cbranch_vccnz .LBB49_20
; %bb.13:
	v_cmp_lt_f32_e32 vcc, 0, v15
	s_mov_b32 s2, 0
	v_cndmask_b32_e32 v0, 1.0, v15, vcc
	v_mul_lo_u32 v4, v14, s8
	s_cmp_eq_u32 s8, 1
	s_mov_b64 s[0:1], -1
	s_cbranch_scc1 .LBB49_17
; %bb.14:
	s_and_b32 s2, s8, 0x7ffffffe
	v_mov_b32_e32 v1, v0
	v_mov_b32_e32 v5, s7
	s_mov_b32 s3, s2
	v_mov_b32_e32 v2, v4
.LBB49_15:                              ; =>This Inner Loop Header: Depth=1
	v_ashrrev_i32_e32 v3, 31, v2
	v_lshlrev_b64 v[6:7], 2, v[2:3]
	v_add_co_u32_e32 v6, vcc, s6, v6
	v_addc_co_u32_e32 v7, vcc, v5, v7, vcc
	global_load_dwordx2 v[8:9], v[6:7], off
	s_add_i32 s3, s3, -2
	s_cmp_lg_u32 s3, 0
	v_add_u32_e32 v2, 2, v2
	s_waitcnt vmcnt(0)
	v_div_scale_f32 v3, s[0:1], v1, v1, v9
	v_div_scale_f32 v11, s[0:1], v0, v0, v8
	v_rcp_f32_e32 v12, v3
	v_rcp_f32_e32 v13, v11
	v_div_scale_f32 v10, vcc, v9, v1, v9
	v_fma_f32 v15, -v3, v12, 1.0
	v_fma_f32 v16, -v11, v13, 1.0
	v_fmac_f32_e32 v12, v15, v12
	v_div_scale_f32 v14, s[0:1], v8, v0, v8
	v_fmac_f32_e32 v13, v16, v13
	v_mul_f32_e32 v15, v10, v12
	v_mul_f32_e32 v16, v14, v13
	v_fma_f32 v17, -v3, v15, v10
	v_fma_f32 v18, -v11, v16, v14
	v_fmac_f32_e32 v15, v17, v12
	v_fmac_f32_e32 v16, v18, v13
	v_fma_f32 v3, -v3, v15, v10
	v_fma_f32 v10, -v11, v16, v14
	v_div_fmas_f32 v3, v3, v12, v15
	s_mov_b64 vcc, s[0:1]
	v_div_fixup_f32 v9, v3, v1, v9
	v_div_fmas_f32 v3, v10, v13, v16
	v_div_fixup_f32 v8, v3, v0, v8
	global_store_dwordx2 v[6:7], v[8:9], off
	s_cbranch_scc1 .LBB49_15
; %bb.16:
	s_cmp_lg_u32 s2, s8
	s_cselect_b64 s[0:1], -1, 0
.LBB49_17:
	s_and_b64 vcc, exec, s[0:1]
	s_cbranch_vccz .LBB49_20
; %bb.18:
	v_ashrrev_i32_e32 v1, 31, v4
	v_add_co_u32_e32 v2, vcc, s2, v4
	v_addc_co_u32_e32 v3, vcc, 0, v1, vcc
	v_lshlrev_b64 v[2:3], 2, v[2:3]
	v_mov_b32_e32 v1, s7
	v_add_co_u32_e32 v2, vcc, s6, v2
	s_sub_i32 s0, s8, s2
	v_addc_co_u32_e32 v3, vcc, v1, v3, vcc
.LBB49_19:                              ; =>This Inner Loop Header: Depth=1
	global_load_dword v1, v[2:3], off
	s_add_i32 s0, s0, -1
	s_cmp_lg_u32 s0, 0
	s_waitcnt vmcnt(0)
	v_div_scale_f32 v4, s[2:3], v0, v0, v1
	v_rcp_f32_e32 v5, v4
	v_div_scale_f32 v6, vcc, v1, v0, v1
	v_fma_f32 v7, -v4, v5, 1.0
	v_fmac_f32_e32 v5, v7, v5
	v_mul_f32_e32 v7, v6, v5
	v_fma_f32 v8, -v4, v7, v6
	v_fmac_f32_e32 v7, v8, v5
	v_fma_f32 v4, -v4, v7, v6
	v_div_fmas_f32 v4, v4, v5, v7
	v_div_fixup_f32 v1, v4, v0, v1
	global_store_dword v[2:3], v1, off
	v_add_co_u32_e32 v2, vcc, 4, v2
	v_addc_co_u32_e32 v3, vcc, 0, v3, vcc
	s_cbranch_scc1 .LBB49_19
.LBB49_20:
	s_endpgm
	.section	.rodata,"a",@progbits
	.p2align	6, 0x0
	.amdhsa_kernel _ZN4vllm3moe10topkGatingILi4ELi4ELi4ELi16ELi64ElfLNS0_11ScoringFuncE0EEEvPKT5_PKbPfiPT4_PiiiibPKf
		.amdhsa_group_segment_fixed_size 0
		.amdhsa_private_segment_fixed_size 0
		.amdhsa_kernarg_size 72
		.amdhsa_user_sgpr_count 6
		.amdhsa_user_sgpr_private_segment_buffer 1
		.amdhsa_user_sgpr_dispatch_ptr 0
		.amdhsa_user_sgpr_queue_ptr 0
		.amdhsa_user_sgpr_kernarg_segment_ptr 1
		.amdhsa_user_sgpr_dispatch_id 0
		.amdhsa_user_sgpr_flat_scratch_init 0
		.amdhsa_user_sgpr_kernarg_preload_length 0
		.amdhsa_user_sgpr_kernarg_preload_offset 0
		.amdhsa_user_sgpr_private_segment_size 0
		.amdhsa_uses_dynamic_stack 0
		.amdhsa_system_sgpr_private_segment_wavefront_offset 0
		.amdhsa_system_sgpr_workgroup_id_x 1
		.amdhsa_system_sgpr_workgroup_id_y 0
		.amdhsa_system_sgpr_workgroup_id_z 0
		.amdhsa_system_sgpr_workgroup_info 0
		.amdhsa_system_vgpr_workitem_id 1
		.amdhsa_next_free_vgpr 22
		.amdhsa_next_free_sgpr 24
		.amdhsa_accum_offset 24
		.amdhsa_reserve_vcc 1
		.amdhsa_reserve_flat_scratch 0
		.amdhsa_float_round_mode_32 0
		.amdhsa_float_round_mode_16_64 0
		.amdhsa_float_denorm_mode_32 3
		.amdhsa_float_denorm_mode_16_64 3
		.amdhsa_dx10_clamp 1
		.amdhsa_ieee_mode 1
		.amdhsa_fp16_overflow 0
		.amdhsa_tg_split 0
		.amdhsa_exception_fp_ieee_invalid_op 0
		.amdhsa_exception_fp_denorm_src 0
		.amdhsa_exception_fp_ieee_div_zero 0
		.amdhsa_exception_fp_ieee_overflow 0
		.amdhsa_exception_fp_ieee_underflow 0
		.amdhsa_exception_fp_ieee_inexact 0
		.amdhsa_exception_int_div_zero 0
	.end_amdhsa_kernel
	.section	.text._ZN4vllm3moe10topkGatingILi4ELi4ELi4ELi16ELi64ElfLNS0_11ScoringFuncE0EEEvPKT5_PKbPfiPT4_PiiiibPKf,"axG",@progbits,_ZN4vllm3moe10topkGatingILi4ELi4ELi4ELi16ELi64ElfLNS0_11ScoringFuncE0EEEvPKT5_PKbPfiPT4_PiiiibPKf,comdat
.Lfunc_end49:
	.size	_ZN4vllm3moe10topkGatingILi4ELi4ELi4ELi16ELi64ElfLNS0_11ScoringFuncE0EEEvPKT5_PKbPfiPT4_PiiiibPKf, .Lfunc_end49-_ZN4vllm3moe10topkGatingILi4ELi4ELi4ELi16ELi64ElfLNS0_11ScoringFuncE0EEEvPKT5_PKbPfiPT4_PiiiibPKf
                                        ; -- End function
	.section	.AMDGPU.csdata,"",@progbits
; Kernel info:
; codeLenInByte = 1704
; NumSgprs: 28
; NumVgprs: 22
; NumAgprs: 0
; TotalNumVgprs: 22
; ScratchSize: 0
; MemoryBound: 1
; FloatMode: 240
; IeeeMode: 1
; LDSByteSize: 0 bytes/workgroup (compile time only)
; SGPRBlocks: 3
; VGPRBlocks: 2
; NumSGPRsForWavesPerEU: 28
; NumVGPRsForWavesPerEU: 22
; AccumOffset: 24
; Occupancy: 8
; WaveLimiterHint : 0
; COMPUTE_PGM_RSRC2:SCRATCH_EN: 0
; COMPUTE_PGM_RSRC2:USER_SGPR: 6
; COMPUTE_PGM_RSRC2:TRAP_HANDLER: 0
; COMPUTE_PGM_RSRC2:TGID_X_EN: 1
; COMPUTE_PGM_RSRC2:TGID_Y_EN: 0
; COMPUTE_PGM_RSRC2:TGID_Z_EN: 0
; COMPUTE_PGM_RSRC2:TIDIG_COMP_CNT: 1
; COMPUTE_PGM_RSRC3_GFX90A:ACCUM_OFFSET: 5
; COMPUTE_PGM_RSRC3_GFX90A:TG_SPLIT: 0
	.section	.text._ZN4vllm3moe10topkGatingILi4ELi4ELi4ELi16ELi32ElfLNS0_11ScoringFuncE0EEEvPKT5_PKbPfiPT4_PiiiibPKf,"axG",@progbits,_ZN4vllm3moe10topkGatingILi4ELi4ELi4ELi16ELi32ElfLNS0_11ScoringFuncE0EEEvPKT5_PKbPfiPT4_PiiiibPKf,comdat
	.protected	_ZN4vllm3moe10topkGatingILi4ELi4ELi4ELi16ELi32ElfLNS0_11ScoringFuncE0EEEvPKT5_PKbPfiPT4_PiiiibPKf ; -- Begin function _ZN4vllm3moe10topkGatingILi4ELi4ELi4ELi16ELi32ElfLNS0_11ScoringFuncE0EEEvPKT5_PKbPfiPT4_PiiiibPKf
	.globl	_ZN4vllm3moe10topkGatingILi4ELi4ELi4ELi16ELi32ElfLNS0_11ScoringFuncE0EEEvPKT5_PKbPfiPT4_PiiiibPKf
	.p2align	8
	.type	_ZN4vllm3moe10topkGatingILi4ELi4ELi4ELi16ELi32ElfLNS0_11ScoringFuncE0EEEvPKT5_PKbPfiPT4_PiiiibPKf,@function
_ZN4vllm3moe10topkGatingILi4ELi4ELi4ELi16ELi32ElfLNS0_11ScoringFuncE0EEEvPKT5_PKbPfiPT4_PiiiibPKf: ; @_ZN4vllm3moe10topkGatingILi4ELi4ELi4ELi16ELi32ElfLNS0_11ScoringFuncE0EEEvPKT5_PKbPfiPT4_PiiiibPKf
; %bb.0:
	s_load_dword s16, s[4:5], 0x18
	v_bfe_u32 v1, v0, 10, 10
	s_lshl_b32 s0, s6, 7
	v_lshlrev_b32_e32 v1, 5, v1
	v_and_b32_e32 v0, 0x3ff, v0
	v_add3_u32 v14, v1, v0, s0
	s_waitcnt lgkmcnt(0)
	v_cmp_gt_i32_e32 vcc, s16, v14
	s_and_saveexec_b64 s[0:1], vcc
	s_cbranch_execz .LBB50_20
; %bb.1:
	s_load_dwordx4 s[0:3], s[4:5], 0x0
	s_load_dwordx2 s[6:7], s[4:5], 0x10
	s_mov_b64 s[8:9], -1
	s_mov_b64 s[12:13], -1
	s_waitcnt lgkmcnt(0)
	s_cmp_eq_u64 s[2:3], 0
	s_cbranch_scc1 .LBB50_3
; %bb.2:
	v_ashrrev_i32_e32 v1, 31, v14
	v_mov_b32_e32 v2, s3
	v_add_co_u32_e32 v0, vcc, s2, v14
	v_addc_co_u32_e32 v1, vcc, v2, v1, vcc
	global_load_ubyte v0, v[0:1], off
	s_waitcnt vmcnt(0)
	v_and_b32_e32 v0, 1, v0
	v_cmp_eq_u32_e32 vcc, 1, v0
	s_xor_b64 s[2:3], vcc, -1
	s_orn2_b64 s[12:13], s[2:3], exec
.LBB50_3:
	v_lshlrev_b32_e32 v0, 2, v14
	v_ashrrev_i32_e32 v1, 31, v0
	v_lshlrev_b64 v[0:1], 2, v[0:1]
	v_mov_b32_e32 v2, s1
	v_add_co_u32_e32 v0, vcc, s0, v0
	v_addc_co_u32_e32 v1, vcc, v2, v1, vcc
	global_load_dwordx4 v[0:3], v[0:1], off
	v_mov_b32_e32 v5, 0x7f800000
	s_mov_b32 s2, 0x3fb8aa3b
	s_mov_b32 s3, 0xc2ce8ed0
	;; [unrolled: 1-line block ×3, first 2 shown]
	s_load_dwordx2 s[0:1], s[4:5], 0x40
	v_mov_b32_e32 v6, 0x207
	s_waitcnt lgkmcnt(0)
	s_cmp_eq_u64 s[0:1], 0
	s_waitcnt vmcnt(0)
	v_max_f32_e32 v4, v1, v1
	v_max_f32_e32 v7, v0, v0
	;; [unrolled: 1-line block ×3, first 2 shown]
	v_max3_f32 v4, v4, v2, v3
	v_pk_add_f32 v[0:1], v[0:1], v[4:5] op_sel_hi:[1,0] neg_lo:[0,1] neg_hi:[0,1]
	v_pk_add_f32 v[2:3], v[2:3], v[4:5] op_sel_hi:[1,0] neg_lo:[0,1] neg_hi:[0,1]
	v_mul_f32_e32 v4, 0x3fb8aa3b, v1
	v_mul_f32_e32 v7, 0x3fb8aa3b, v0
	v_fma_f32 v10, v1, s2, -v4
	v_rndne_f32_e32 v11, v4
	v_mul_f32_e32 v8, 0x3fb8aa3b, v3
	v_fma_f32 v12, v0, s2, -v7
	v_rndne_f32_e32 v13, v7
	v_fmac_f32_e32 v10, 0x32a5705f, v1
	v_sub_f32_e32 v4, v4, v11
	v_mul_f32_e32 v9, 0x3fb8aa3b, v2
	v_fma_f32 v15, v3, s2, -v8
	v_rndne_f32_e32 v16, v8
	v_fmac_f32_e32 v12, 0x32a5705f, v0
	v_sub_f32_e32 v7, v7, v13
	v_add_f32_e32 v4, v4, v10
	v_fma_f32 v17, v2, s2, -v9
	v_rndne_f32_e32 v18, v9
	v_cvt_i32_f32_e32 v11, v11
	v_fmac_f32_e32 v15, 0x32a5705f, v3
	v_sub_f32_e32 v8, v8, v16
	v_add_f32_e32 v7, v7, v12
	v_exp_f32_e32 v4, v4
	v_cvt_i32_f32_e32 v13, v13
	v_fmac_f32_e32 v17, 0x32a5705f, v2
	v_sub_f32_e32 v9, v9, v18
	v_add_f32_e32 v8, v8, v15
	v_exp_f32_e32 v7, v7
	v_cvt_i32_f32_e32 v16, v16
	v_add_f32_e32 v9, v9, v17
	v_exp_f32_e32 v8, v8
	v_cvt_i32_f32_e32 v18, v18
	v_exp_f32_e32 v9, v9
	v_ldexp_f32 v4, v4, v11
	v_cmp_ngt_f32_e32 vcc, s3, v1
	v_ldexp_f32 v7, v7, v13
	v_cndmask_b32_e32 v4, 0, v4, vcc
	v_cmp_ngt_f32_e32 vcc, s3, v0
	v_ldexp_f32 v8, v8, v16
	v_cndmask_b32_e32 v7, 0, v7, vcc
	;; [unrolled: 3-line block ×3, first 2 shown]
	v_cmp_ngt_f32_e32 vcc, s3, v2
	v_cndmask_b32_e32 v9, 0, v9, vcc
	v_cmp_nlt_f32_e32 vcc, s10, v1
	v_cndmask_b32_e32 v1, v5, v4, vcc
	v_cmp_nlt_f32_e32 vcc, s10, v0
	;; [unrolled: 2-line block ×4, first 2 shown]
	v_cndmask_b32_e32 v2, v5, v9, vcc
	v_add_f32_e32 v4, v0, v1
	v_add_f32_e32 v4, v4, v2
	v_add_f32_e32 v4, v4, v3
	v_div_scale_f32 v5, s[2:3], v4, v4, 1.0
	v_rcp_f32_e32 v7, v5
	v_div_scale_f32 v8, vcc, 1.0, v4, 1.0
	v_fma_f32 v9, -v5, v7, 1.0
	v_fmac_f32_e32 v7, v9, v7
	v_mul_f32_e32 v9, v8, v7
	v_fma_f32 v10, -v5, v9, v8
	v_fmac_f32_e32 v9, v10, v7
	v_fma_f32 v5, -v5, v9, v8
	v_div_fmas_f32 v5, v5, v7, v9
	v_div_fixup_f32 v4, v5, v4, 1.0
	v_pk_mul_f32 v[0:1], v[4:5], v[0:1] op_sel_hi:[0,1]
	v_cmp_class_f32_e32 vcc, v1, v6
	v_pk_mul_f32 v[2:3], v[4:5], v[2:3] op_sel_hi:[0,1]
	v_cndmask_b32_e64 v1, v1, 0, vcc
	v_cmp_class_f32_e32 vcc, v0, v6
	v_cndmask_b32_e64 v0, v0, 0, vcc
	v_cmp_class_f32_e32 vcc, v3, v6
	;; [unrolled: 2-line block ×3, first 2 shown]
	v_cndmask_b32_e64 v2, v2, 0, vcc
	s_cbranch_scc1 .LBB50_10
; %bb.4:
	s_load_dwordx4 s[0:3], s[0:1], 0x0
	s_waitcnt lgkmcnt(0)
	v_pk_add_f32 v[4:5], s[0:1], v[0:1]
	v_pk_add_f32 v[6:7], s[2:3], v[2:3]
	s_cbranch_execnz .LBB50_6
.LBB50_5:
	v_pk_mov_b32 v[6:7], v[2:3], v[2:3] op_sel:[0,1]
	v_pk_mov_b32 v[4:5], v[0:1], v[0:1] op_sel:[0,1]
.LBB50_6:
	s_load_dwordx4 s[8:11], s[4:5], 0x30
	s_waitcnt lgkmcnt(0)
	s_bitcmp1_b32 s11, 0
	s_cselect_b64 vcc, -1, 0
	s_cmp_gt_i32 s8, 0
	s_cselect_b64 s[14:15], -1, 0
	s_cmp_lt_i32 s8, 1
	s_mov_b32 s11, 0
	s_cbranch_scc1 .LBB50_11
; %bb.7:
	s_load_dwordx4 s[20:23], s[4:5], 0x20
	v_mul_lo_u32 v10, v14, s8
	v_ashrrev_i32_e32 v11, 31, v10
	v_lshlrev_b64 v[12:13], 2, v[10:11]
	v_mov_b32_e32 v9, s7
	v_add_co_u32_e64 v8, s[0:1], s6, v12
	v_addc_co_u32_e64 v9, s[0:1], v9, v13, s[0:1]
	v_lshlrev_b64 v[10:11], 3, v[10:11]
	s_waitcnt lgkmcnt(0)
	v_mov_b32_e32 v15, s21
	v_add_co_u32_e64 v10, s[0:1], s20, v10
	v_addc_co_u32_e64 v11, s[0:1], v15, v11, s[0:1]
	v_mov_b32_e32 v15, s23
	v_add_co_u32_e64 v12, s[0:1], s22, v12
	v_addc_co_u32_e64 v13, s[0:1], v15, v13, s[0:1]
	v_mov_b32_e32 v15, 0
	v_mov_b32_e32 v16, 0xc61c4000
	v_mov_b32_e32 v17, v14
.LBB50_8:                               ; =>This Inner Loop Header: Depth=1
	v_cmp_gt_f32_e64 s[0:1], v5, v4
	v_cndmask_b32_e64 v18, v4, v5, s[0:1]
	v_cndmask_b32_e64 v19, v0, v1, s[0:1]
	;; [unrolled: 1-line block ×3, first 2 shown]
	v_cmp_gt_f32_e64 s[0:1], v6, v18
	v_cndmask_b32_e64 v18, v18, v6, s[0:1]
	v_cndmask_b32_e64 v19, v19, v2, s[0:1]
	v_cndmask_b32_e64 v20, v20, 2, s[0:1]
	v_cmp_gt_f32_e64 s[0:1], v7, v18
	v_cndmask_b32_e64 v20, v20, 3, s[0:1]
	v_cndmask_b32_e64 v21, v19, v3, s[0:1]
	v_cmp_le_i32_e64 s[0:1], s9, v20
	v_cmp_gt_i32_e64 s[2:3], s10, v20
	s_and_b64 s[0:1], s[0:1], s[2:3]
	v_subrev_u32_e32 v18, s9, v20
	v_ashrrev_i32_e32 v19, 31, v18
	s_and_b64 s[0:1], s[12:13], s[0:1]
	v_cndmask_b32_e64 v19, 0, v19, s[0:1]
	v_cndmask_b32_e64 v18, 4, v18, s[0:1]
	global_store_dword v[8:9], v21, off
	global_store_dwordx2 v[10:11], v[18:19], off
	global_store_dword v[12:13], v17, off
	v_add_f32_e32 v18, v15, v21
	v_cmp_ne_u32_e64 s[0:1], 0, v20
	v_cndmask_b32_e32 v15, v15, v18, vcc
	v_cndmask_b32_e64 v18, v16, v4, s[0:1]
	v_cmp_ne_u32_e64 s[0:1], 1, v20
	s_add_i32 s11, s11, 1
	v_cndmask_b32_e64 v19, v16, v5, s[0:1]
	v_cmp_ne_u32_e64 s[0:1], 2, v20
	s_cmp_lt_i32 s11, s8
	v_cndmask_b32_e64 v21, v16, v6, s[0:1]
	v_cmp_ne_u32_e64 s[0:1], 3, v20
	v_cndmask_b32_e64 v20, v16, v7, s[0:1]
	s_cselect_b64 s[0:1], -1, 0
	v_cndmask_b32_e64 v7, v7, v20, s[0:1]
	v_cndmask_b32_e64 v6, v6, v21, s[0:1]
	;; [unrolled: 1-line block ×4, first 2 shown]
	v_add_co_u32_e64 v8, s[0:1], 4, v8
	v_addc_co_u32_e64 v9, s[0:1], 0, v9, s[0:1]
	v_add_co_u32_e64 v10, s[0:1], 8, v10
	v_addc_co_u32_e64 v11, s[0:1], 0, v11, s[0:1]
	v_add_co_u32_e64 v12, s[0:1], 4, v12
	v_add_u32_e32 v17, s16, v17
	s_cmp_eq_u32 s8, s11
	v_addc_co_u32_e64 v13, s[0:1], 0, v13, s[0:1]
	s_cbranch_scc0 .LBB50_8
; %bb.9:
	s_and_b64 vcc, exec, vcc
	s_cbranch_vccnz .LBB50_12
	s_branch .LBB50_20
.LBB50_10:
                                        ; implicit-def: $vgpr4_vgpr5_vgpr6_vgpr7
	s_andn2_b64 vcc, exec, s[8:9]
	s_cbranch_vccz .LBB50_5
	s_branch .LBB50_6
.LBB50_11:
	v_mov_b32_e32 v15, 0
	s_and_b64 vcc, exec, vcc
	s_cbranch_vccz .LBB50_20
.LBB50_12:
	s_andn2_b64 vcc, exec, s[14:15]
	s_cbranch_vccnz .LBB50_20
; %bb.13:
	v_cmp_lt_f32_e32 vcc, 0, v15
	s_mov_b32 s2, 0
	v_cndmask_b32_e32 v0, 1.0, v15, vcc
	v_mul_lo_u32 v4, v14, s8
	s_cmp_eq_u32 s8, 1
	s_mov_b64 s[0:1], -1
	s_cbranch_scc1 .LBB50_17
; %bb.14:
	s_and_b32 s2, s8, 0x7ffffffe
	v_mov_b32_e32 v1, v0
	v_mov_b32_e32 v5, s7
	s_mov_b32 s3, s2
	v_mov_b32_e32 v2, v4
.LBB50_15:                              ; =>This Inner Loop Header: Depth=1
	v_ashrrev_i32_e32 v3, 31, v2
	v_lshlrev_b64 v[6:7], 2, v[2:3]
	v_add_co_u32_e32 v6, vcc, s6, v6
	v_addc_co_u32_e32 v7, vcc, v5, v7, vcc
	global_load_dwordx2 v[8:9], v[6:7], off
	s_add_i32 s3, s3, -2
	s_cmp_lg_u32 s3, 0
	v_add_u32_e32 v2, 2, v2
	s_waitcnt vmcnt(0)
	v_div_scale_f32 v3, s[0:1], v1, v1, v9
	v_div_scale_f32 v11, s[0:1], v0, v0, v8
	v_rcp_f32_e32 v12, v3
	v_rcp_f32_e32 v13, v11
	v_div_scale_f32 v10, vcc, v9, v1, v9
	v_fma_f32 v15, -v3, v12, 1.0
	v_fma_f32 v16, -v11, v13, 1.0
	v_fmac_f32_e32 v12, v15, v12
	v_div_scale_f32 v14, s[0:1], v8, v0, v8
	v_fmac_f32_e32 v13, v16, v13
	v_mul_f32_e32 v15, v10, v12
	v_mul_f32_e32 v16, v14, v13
	v_fma_f32 v17, -v3, v15, v10
	v_fma_f32 v18, -v11, v16, v14
	v_fmac_f32_e32 v15, v17, v12
	v_fmac_f32_e32 v16, v18, v13
	v_fma_f32 v3, -v3, v15, v10
	v_fma_f32 v10, -v11, v16, v14
	v_div_fmas_f32 v3, v3, v12, v15
	s_mov_b64 vcc, s[0:1]
	v_div_fixup_f32 v9, v3, v1, v9
	v_div_fmas_f32 v3, v10, v13, v16
	v_div_fixup_f32 v8, v3, v0, v8
	global_store_dwordx2 v[6:7], v[8:9], off
	s_cbranch_scc1 .LBB50_15
; %bb.16:
	s_cmp_lg_u32 s2, s8
	s_cselect_b64 s[0:1], -1, 0
.LBB50_17:
	s_and_b64 vcc, exec, s[0:1]
	s_cbranch_vccz .LBB50_20
; %bb.18:
	v_ashrrev_i32_e32 v1, 31, v4
	v_add_co_u32_e32 v2, vcc, s2, v4
	v_addc_co_u32_e32 v3, vcc, 0, v1, vcc
	v_lshlrev_b64 v[2:3], 2, v[2:3]
	v_mov_b32_e32 v1, s7
	v_add_co_u32_e32 v2, vcc, s6, v2
	s_sub_i32 s0, s8, s2
	v_addc_co_u32_e32 v3, vcc, v1, v3, vcc
.LBB50_19:                              ; =>This Inner Loop Header: Depth=1
	global_load_dword v1, v[2:3], off
	s_add_i32 s0, s0, -1
	s_cmp_lg_u32 s0, 0
	s_waitcnt vmcnt(0)
	v_div_scale_f32 v4, s[2:3], v0, v0, v1
	v_rcp_f32_e32 v5, v4
	v_div_scale_f32 v6, vcc, v1, v0, v1
	v_fma_f32 v7, -v4, v5, 1.0
	v_fmac_f32_e32 v5, v7, v5
	v_mul_f32_e32 v7, v6, v5
	v_fma_f32 v8, -v4, v7, v6
	v_fmac_f32_e32 v7, v8, v5
	v_fma_f32 v4, -v4, v7, v6
	v_div_fmas_f32 v4, v4, v5, v7
	v_div_fixup_f32 v1, v4, v0, v1
	global_store_dword v[2:3], v1, off
	v_add_co_u32_e32 v2, vcc, 4, v2
	v_addc_co_u32_e32 v3, vcc, 0, v3, vcc
	s_cbranch_scc1 .LBB50_19
.LBB50_20:
	s_endpgm
	.section	.rodata,"a",@progbits
	.p2align	6, 0x0
	.amdhsa_kernel _ZN4vllm3moe10topkGatingILi4ELi4ELi4ELi16ELi32ElfLNS0_11ScoringFuncE0EEEvPKT5_PKbPfiPT4_PiiiibPKf
		.amdhsa_group_segment_fixed_size 0
		.amdhsa_private_segment_fixed_size 0
		.amdhsa_kernarg_size 72
		.amdhsa_user_sgpr_count 6
		.amdhsa_user_sgpr_private_segment_buffer 1
		.amdhsa_user_sgpr_dispatch_ptr 0
		.amdhsa_user_sgpr_queue_ptr 0
		.amdhsa_user_sgpr_kernarg_segment_ptr 1
		.amdhsa_user_sgpr_dispatch_id 0
		.amdhsa_user_sgpr_flat_scratch_init 0
		.amdhsa_user_sgpr_kernarg_preload_length 0
		.amdhsa_user_sgpr_kernarg_preload_offset 0
		.amdhsa_user_sgpr_private_segment_size 0
		.amdhsa_uses_dynamic_stack 0
		.amdhsa_system_sgpr_private_segment_wavefront_offset 0
		.amdhsa_system_sgpr_workgroup_id_x 1
		.amdhsa_system_sgpr_workgroup_id_y 0
		.amdhsa_system_sgpr_workgroup_id_z 0
		.amdhsa_system_sgpr_workgroup_info 0
		.amdhsa_system_vgpr_workitem_id 1
		.amdhsa_next_free_vgpr 22
		.amdhsa_next_free_sgpr 24
		.amdhsa_accum_offset 24
		.amdhsa_reserve_vcc 1
		.amdhsa_reserve_flat_scratch 0
		.amdhsa_float_round_mode_32 0
		.amdhsa_float_round_mode_16_64 0
		.amdhsa_float_denorm_mode_32 3
		.amdhsa_float_denorm_mode_16_64 3
		.amdhsa_dx10_clamp 1
		.amdhsa_ieee_mode 1
		.amdhsa_fp16_overflow 0
		.amdhsa_tg_split 0
		.amdhsa_exception_fp_ieee_invalid_op 0
		.amdhsa_exception_fp_denorm_src 0
		.amdhsa_exception_fp_ieee_div_zero 0
		.amdhsa_exception_fp_ieee_overflow 0
		.amdhsa_exception_fp_ieee_underflow 0
		.amdhsa_exception_fp_ieee_inexact 0
		.amdhsa_exception_int_div_zero 0
	.end_amdhsa_kernel
	.section	.text._ZN4vllm3moe10topkGatingILi4ELi4ELi4ELi16ELi32ElfLNS0_11ScoringFuncE0EEEvPKT5_PKbPfiPT4_PiiiibPKf,"axG",@progbits,_ZN4vllm3moe10topkGatingILi4ELi4ELi4ELi16ELi32ElfLNS0_11ScoringFuncE0EEEvPKT5_PKbPfiPT4_PiiiibPKf,comdat
.Lfunc_end50:
	.size	_ZN4vllm3moe10topkGatingILi4ELi4ELi4ELi16ELi32ElfLNS0_11ScoringFuncE0EEEvPKT5_PKbPfiPT4_PiiiibPKf, .Lfunc_end50-_ZN4vllm3moe10topkGatingILi4ELi4ELi4ELi16ELi32ElfLNS0_11ScoringFuncE0EEEvPKT5_PKbPfiPT4_PiiiibPKf
                                        ; -- End function
	.section	.AMDGPU.csdata,"",@progbits
; Kernel info:
; codeLenInByte = 1704
; NumSgprs: 28
; NumVgprs: 22
; NumAgprs: 0
; TotalNumVgprs: 22
; ScratchSize: 0
; MemoryBound: 1
; FloatMode: 240
; IeeeMode: 1
; LDSByteSize: 0 bytes/workgroup (compile time only)
; SGPRBlocks: 3
; VGPRBlocks: 2
; NumSGPRsForWavesPerEU: 28
; NumVGPRsForWavesPerEU: 22
; AccumOffset: 24
; Occupancy: 8
; WaveLimiterHint : 0
; COMPUTE_PGM_RSRC2:SCRATCH_EN: 0
; COMPUTE_PGM_RSRC2:USER_SGPR: 6
; COMPUTE_PGM_RSRC2:TRAP_HANDLER: 0
; COMPUTE_PGM_RSRC2:TGID_X_EN: 1
; COMPUTE_PGM_RSRC2:TGID_Y_EN: 0
; COMPUTE_PGM_RSRC2:TGID_Z_EN: 0
; COMPUTE_PGM_RSRC2:TIDIG_COMP_CNT: 1
; COMPUTE_PGM_RSRC3_GFX90A:ACCUM_OFFSET: 5
; COMPUTE_PGM_RSRC3_GFX90A:TG_SPLIT: 0
	.section	.text._ZN4vllm3moe10topkGatingILi4ELi8ELi4ELi16ELi64ElfLNS0_11ScoringFuncE0EEEvPKT5_PKbPfiPT4_PiiiibPKf,"axG",@progbits,_ZN4vllm3moe10topkGatingILi4ELi8ELi4ELi16ELi64ElfLNS0_11ScoringFuncE0EEEvPKT5_PKbPfiPT4_PiiiibPKf,comdat
	.protected	_ZN4vllm3moe10topkGatingILi4ELi8ELi4ELi16ELi64ElfLNS0_11ScoringFuncE0EEEvPKT5_PKbPfiPT4_PiiiibPKf ; -- Begin function _ZN4vllm3moe10topkGatingILi4ELi8ELi4ELi16ELi64ElfLNS0_11ScoringFuncE0EEEvPKT5_PKbPfiPT4_PiiiibPKf
	.globl	_ZN4vllm3moe10topkGatingILi4ELi8ELi4ELi16ELi64ElfLNS0_11ScoringFuncE0EEEvPKT5_PKbPfiPT4_PiiiibPKf
	.p2align	8
	.type	_ZN4vllm3moe10topkGatingILi4ELi8ELi4ELi16ELi64ElfLNS0_11ScoringFuncE0EEEvPKT5_PKbPfiPT4_PiiiibPKf,@function
_ZN4vllm3moe10topkGatingILi4ELi8ELi4ELi16ELi64ElfLNS0_11ScoringFuncE0EEEvPKT5_PKbPfiPT4_PiiiibPKf: ; @_ZN4vllm3moe10topkGatingILi4ELi8ELi4ELi16ELi64ElfLNS0_11ScoringFuncE0EEEvPKT5_PKbPfiPT4_PiiiibPKf
; %bb.0:
	s_load_dword s24, s[4:5], 0x18
	v_bfe_u32 v1, v0, 10, 10
	v_and_b32_e32 v0, 0x3ff, v0
	s_lshl_b32 s0, s6, 7
	v_lshlrev_b32_e32 v1, 5, v1
	v_lshrrev_b32_e32 v2, 1, v0
	v_add3_u32 v8, s0, v1, v2
	s_waitcnt lgkmcnt(0)
	v_cmp_gt_i32_e32 vcc, s24, v8
	s_and_saveexec_b64 s[0:1], vcc
	s_cbranch_execz .LBB51_30
; %bb.1:
	s_load_dwordx4 s[0:3], s[4:5], 0x0
	s_load_dwordx2 s[6:7], s[4:5], 0x10
	s_mov_b64 s[8:9], -1
	s_mov_b64 s[16:17], -1
	s_waitcnt lgkmcnt(0)
	s_cmp_eq_u64 s[2:3], 0
	s_cbranch_scc1 .LBB51_3
; %bb.2:
	v_ashrrev_i32_e32 v1, 31, v8
	v_mov_b32_e32 v3, s3
	v_add_co_u32_e32 v2, vcc, s2, v8
	v_addc_co_u32_e32 v3, vcc, v3, v1, vcc
	global_load_ubyte v1, v[2:3], off
	s_waitcnt vmcnt(0)
	v_and_b32_e32 v1, 1, v1
	v_cmp_eq_u32_e32 vcc, 1, v1
	s_xor_b64 s[2:3], vcc, -1
	s_orn2_b64 s[16:17], s[2:3], exec
.LBB51_3:
	v_lshlrev_b32_e32 v2, 3, v8
	v_ashrrev_i32_e32 v3, 31, v2
	v_lshlrev_b64 v[2:3], 2, v[2:3]
	v_mov_b32_e32 v1, s1
	v_add_co_u32_e32 v2, vcc, s0, v2
	v_and_b32_e32 v9, 1, v0
	v_addc_co_u32_e32 v1, vcc, v1, v3, vcc
	v_lshlrev_b32_e32 v0, 4, v9
	v_add_co_u32_e32 v0, vcc, v2, v0
	v_addc_co_u32_e32 v1, vcc, 0, v1, vcc
	global_load_dwordx4 v[0:3], v[0:1], off
	v_mbcnt_lo_u32_b32 v4, -1, 0
	v_mbcnt_hi_u32_b32 v4, -1, v4
	v_and_b32_e32 v6, 0x7e, v4
	v_xor_b32_e32 v5, 1, v4
	v_add_u32_e32 v6, 2, v6
	v_cmp_lt_i32_e32 vcc, v5, v6
	v_cndmask_b32_e32 v4, v4, v5, vcc
	v_lshlrev_b32_e32 v10, 2, v4
	s_mov_b32 s0, 0x3fb8aa3b
	s_mov_b32 s1, 0xc2ce8ed0
	;; [unrolled: 1-line block ×3, first 2 shown]
	v_mov_b32_e32 v6, 0x7f800000
	s_movk_i32 s10, 0x1f8
	s_waitcnt vmcnt(0)
	v_max_f32_e32 v4, v1, v1
	v_max_f32_e32 v5, v0, v0
	;; [unrolled: 1-line block ×3, first 2 shown]
	v_max3_f32 v4, v4, v2, v3
	ds_bpermute_b32 v5, v10, v4
	s_waitcnt lgkmcnt(0)
	v_max_f32_e32 v5, v5, v5
	v_max_f32_e32 v4, v4, v5
	v_pk_add_f32 v[0:1], v[0:1], v[4:5] op_sel_hi:[1,0] neg_lo:[0,1] neg_hi:[0,1]
	v_sub_f32_e32 v2, v2, v4
	v_sub_f32_e32 v3, v3, v4
	v_mul_f32_e32 v4, 0x3fb8aa3b, v1
	v_mul_f32_e32 v5, 0x3fb8aa3b, v0
	v_fma_f32 v12, v1, s0, -v4
	v_rndne_f32_e32 v13, v4
	v_mul_f32_e32 v7, 0x3fb8aa3b, v2
	v_fma_f32 v14, v0, s0, -v5
	v_rndne_f32_e32 v15, v5
	v_fmac_f32_e32 v12, 0x32a5705f, v1
	v_sub_f32_e32 v4, v4, v13
	v_mul_f32_e32 v11, 0x3fb8aa3b, v3
	v_fma_f32 v16, v2, s0, -v7
	v_rndne_f32_e32 v17, v7
	v_fmac_f32_e32 v14, 0x32a5705f, v0
	v_sub_f32_e32 v5, v5, v15
	v_add_f32_e32 v4, v4, v12
	v_fma_f32 v18, v3, s0, -v11
	v_rndne_f32_e32 v19, v11
	v_cvt_i32_f32_e32 v13, v13
	v_fmac_f32_e32 v16, 0x32a5705f, v2
	v_sub_f32_e32 v7, v7, v17
	v_add_f32_e32 v5, v5, v14
	v_exp_f32_e32 v4, v4
	v_cvt_i32_f32_e32 v15, v15
	v_fmac_f32_e32 v18, 0x32a5705f, v3
	v_sub_f32_e32 v11, v11, v19
	v_add_f32_e32 v7, v7, v16
	v_exp_f32_e32 v5, v5
	v_cvt_i32_f32_e32 v17, v17
	v_add_f32_e32 v11, v11, v18
	v_exp_f32_e32 v7, v7
	v_cvt_i32_f32_e32 v19, v19
	v_exp_f32_e32 v11, v11
	v_ldexp_f32 v4, v4, v13
	v_cmp_ngt_f32_e32 vcc, s1, v1
	v_ldexp_f32 v5, v5, v15
	v_cndmask_b32_e32 v4, 0, v4, vcc
	v_cmp_ngt_f32_e32 vcc, s1, v0
	v_ldexp_f32 v7, v7, v17
	v_cndmask_b32_e32 v5, 0, v5, vcc
	;; [unrolled: 3-line block ×3, first 2 shown]
	v_cmp_ngt_f32_e32 vcc, s1, v3
	v_cndmask_b32_e32 v11, 0, v11, vcc
	v_cmp_nlt_f32_e32 vcc, s2, v1
	v_cndmask_b32_e32 v1, v6, v4, vcc
	v_cmp_nlt_f32_e32 vcc, s2, v0
	;; [unrolled: 2-line block ×4, first 2 shown]
	v_add_f32_e32 v4, v0, v1
	v_cndmask_b32_e32 v3, v6, v11, vcc
	v_add_f32_e32 v4, v4, v2
	v_add_f32_e32 v4, v4, v3
	ds_bpermute_b32 v5, v10, v4
	s_load_dwordx2 s[0:1], s[4:5], 0x40
	v_lshlrev_b32_e32 v11, 2, v9
	s_waitcnt lgkmcnt(0)
	v_add_f32_e32 v4, v4, v5
	v_div_scale_f32 v5, s[2:3], v4, v4, 1.0
	v_rcp_f32_e32 v6, v5
	v_div_scale_f32 v7, vcc, 1.0, v4, 1.0
	s_cmp_eq_u64 s[0:1], 0
	v_fma_f32 v12, -v5, v6, 1.0
	v_fmac_f32_e32 v6, v12, v6
	v_mul_f32_e32 v12, v7, v6
	v_fma_f32 v13, -v5, v12, v7
	v_fmac_f32_e32 v12, v13, v6
	v_fma_f32 v5, -v5, v12, v7
	v_div_fmas_f32 v5, v5, v6, v12
	v_div_fixup_f32 v4, v5, v4, 1.0
	v_mul_f32_e32 v0, v4, v0
	v_mul_f32_e32 v1, v4, v1
	v_cmp_class_f32_e64 vcc, v0, s10
	v_mul_f32_e32 v2, v4, v2
	v_cndmask_b32_e32 v0, 0, v0, vcc
	v_cmp_class_f32_e64 vcc, v1, s10
	v_mul_f32_e32 v3, v4, v3
	v_cndmask_b32_e32 v1, 0, v1, vcc
	v_cmp_class_f32_e64 vcc, v2, s10
	v_cndmask_b32_e32 v2, 0, v2, vcc
	v_cmp_class_f32_e64 vcc, v3, s10
	v_cndmask_b32_e32 v3, 0, v3, vcc
	s_cbranch_scc1 .LBB51_19
; %bb.4:
	v_lshlrev_b32_e32 v4, 2, v11
	global_load_dwordx4 v[4:7], v4, s[0:1]
	s_waitcnt vmcnt(0)
	v_pk_add_f32 v[4:5], v[4:5], v[0:1]
	v_pk_add_f32 v[6:7], v[6:7], v[2:3]
	s_cbranch_execnz .LBB51_6
.LBB51_5:
	v_pk_mov_b32 v[6:7], v[2:3], v[2:3] op_sel:[0,1]
	v_pk_mov_b32 v[4:5], v[0:1], v[0:1] op_sel:[0,1]
.LBB51_6:
	s_load_dwordx4 s[8:11], s[4:5], 0x30
	s_mov_b32 s25, 0
	v_cmp_eq_u32_e64 s[0:1], 0, v9
	s_waitcnt lgkmcnt(0)
	s_bitcmp1_b32 s11, 0
	s_cselect_b64 vcc, -1, 0
	s_cmp_gt_i32 s8, 0
	s_cselect_b64 s[18:19], -1, 0
	s_cmp_lt_i32 s8, 1
	s_cbranch_scc1 .LBB51_20
; %bb.7:
	s_load_dwordx4 s[12:15], s[4:5], 0x20
	v_mul_lo_u32 v13, v8, s8
	v_mov_b32_e32 v12, 0
	v_mov_b32_e32 v14, 0xc61c4000
	;; [unrolled: 1-line block ×3, first 2 shown]
	s_branch .LBB51_10
.LBB51_8:                               ;   in Loop: Header=BB51_10 Depth=1
	s_or_b64 exec, exec, s[4:5]
.LBB51_9:                               ;   in Loop: Header=BB51_10 Depth=1
	s_cmp_eq_u32 s8, s25
	v_add_u32_e32 v15, s24, v15
	s_cbranch_scc1 .LBB51_21
.LBB51_10:                              ; =>This Inner Loop Header: Depth=1
	v_cmp_gt_f32_e64 s[2:3], v5, v4
	v_cndmask_b32_e64 v16, v4, v5, s[2:3]
	v_cndmask_b32_e64 v17, v0, v1, s[2:3]
	v_cndmask_b32_e64 v18, 0, 1, s[2:3]
	v_cmp_gt_f32_e64 s[2:3], v6, v16
	v_cndmask_b32_e64 v16, v16, v6, s[2:3]
	v_cndmask_b32_e64 v17, v17, v2, s[2:3]
	v_cndmask_b32_e64 v18, v18, 2, s[2:3]
	;; [unrolled: 4-line block ×3, first 2 shown]
	v_or_b32_e32 v16, v11, v16
	ds_bpermute_b32 v21, v10, v20
	ds_bpermute_b32 v19, v10, v17
	;; [unrolled: 1-line block ×3, first 2 shown]
	s_waitcnt lgkmcnt(0)
	v_cmp_lt_f32_e64 s[20:21], v20, v21
	v_cmp_nlt_f32_e64 s[2:3], v20, v21
	s_and_saveexec_b64 s[22:23], s[2:3]
	s_cbranch_execnz .LBB51_14
; %bb.11:                               ;   in Loop: Header=BB51_10 Depth=1
	s_or_b64 exec, exec, s[22:23]
	s_and_saveexec_b64 s[2:3], s[20:21]
	s_cbranch_execnz .LBB51_15
.LBB51_12:                              ;   in Loop: Header=BB51_10 Depth=1
	s_or_b64 exec, exec, s[2:3]
	s_and_saveexec_b64 s[20:21], s[0:1]
	s_cbranch_execnz .LBB51_16
.LBB51_13:                              ;   in Loop: Header=BB51_10 Depth=1
	s_or_b64 exec, exec, s[20:21]
	s_add_i32 s25, s25, 1
	s_cmp_ge_i32 s25, s8
	s_cbranch_scc1 .LBB51_9
	s_branch .LBB51_17
.LBB51_14:                              ;   in Loop: Header=BB51_10 Depth=1
	v_cmp_eq_f32_e64 s[2:3], v20, v21
	v_cmp_lt_i32_e64 s[4:5], v18, v16
	s_and_b64 s[2:3], s[2:3], s[4:5]
	s_andn2_b64 s[4:5], s[20:21], exec
	s_and_b64 s[2:3], s[2:3], exec
	s_or_b64 s[20:21], s[4:5], s[2:3]
	s_or_b64 exec, exec, s[22:23]
	s_and_saveexec_b64 s[2:3], s[20:21]
	s_cbranch_execz .LBB51_12
.LBB51_15:                              ;   in Loop: Header=BB51_10 Depth=1
	v_mov_b32_e32 v17, v19
	v_mov_b32_e32 v16, v18
	s_or_b64 exec, exec, s[2:3]
	s_and_saveexec_b64 s[20:21], s[0:1]
	s_cbranch_execz .LBB51_13
.LBB51_16:                              ;   in Loop: Header=BB51_10 Depth=1
	v_add_u32_e32 v18, s25, v13
	v_ashrrev_i32_e32 v19, 31, v18
	v_cmp_le_i32_e64 s[2:3], s9, v16
	v_cmp_gt_i32_e64 s[4:5], s10, v16
	v_lshlrev_b64 v[20:21], 2, v[18:19]
	s_and_b64 s[4:5], s[2:3], s[4:5]
	v_mov_b32_e32 v23, s7
	v_add_co_u32_e64 v22, s[2:3], s6, v20
	v_addc_co_u32_e64 v23, s[2:3], v23, v21, s[2:3]
	global_store_dword v[22:23], v17, off
	v_subrev_u32_e32 v22, s9, v16
	v_ashrrev_i32_e32 v23, 31, v22
	s_and_b64 s[2:3], s[16:17], s[4:5]
	v_lshlrev_b64 v[18:19], 3, v[18:19]
	v_cndmask_b32_e64 v23, 0, v23, s[2:3]
	v_cndmask_b32_e64 v22, 8, v22, s[2:3]
	v_mov_b32_e32 v24, s13
	v_add_co_u32_e64 v18, s[2:3], s12, v18
	v_addc_co_u32_e64 v19, s[2:3], v24, v19, s[2:3]
	global_store_dwordx2 v[18:19], v[22:23], off
	v_mov_b32_e32 v19, s15
	v_add_co_u32_e64 v18, s[2:3], s14, v20
	v_add_f32_e32 v17, v12, v17
	v_addc_co_u32_e64 v19, s[2:3], v19, v21, s[2:3]
	v_cndmask_b32_e32 v12, v12, v17, vcc
	global_store_dword v[18:19], v15, off
	s_or_b64 exec, exec, s[20:21]
	s_add_i32 s25, s25, 1
	s_cmp_ge_i32 s25, s8
	s_cbranch_scc1 .LBB51_9
.LBB51_17:                              ;   in Loop: Header=BB51_10 Depth=1
	v_ashrrev_i32_e32 v18, 31, v16
	v_lshrrev_b32_e32 v17, 30, v18
	v_add_u32_e32 v19, v16, v17
	v_ashrrev_i32_e32 v17, 2, v19
	v_lshrrev_b32_e32 v19, 31, v19
	v_add_u32_e32 v19, v17, v19
	v_and_b32_e32 v19, -2, v19
	v_sub_u32_e32 v19, v17, v19
	v_cmp_eq_u32_e64 s[2:3], v9, v19
	s_and_saveexec_b64 s[4:5], s[2:3]
	s_cbranch_execz .LBB51_8
; %bb.18:                               ;   in Loop: Header=BB51_10 Depth=1
	v_lshrrev_b32_e32 v18, 29, v18
	v_add_u32_e32 v18, v16, v18
	v_lshlrev_b32_e32 v17, 2, v17
	v_ashrrev_i32_e32 v18, 3, v18
	v_sub_u32_e32 v16, v16, v17
	v_lshl_add_u32 v16, v18, 2, v16
	v_cmp_ne_u32_e64 s[2:3], 3, v16
	v_cndmask_b32_e64 v7, v14, v7, s[2:3]
	v_cmp_ne_u32_e64 s[2:3], 2, v16
	v_cndmask_b32_e64 v6, v14, v6, s[2:3]
	;; [unrolled: 2-line block ×4, first 2 shown]
	s_branch .LBB51_8
.LBB51_19:
                                        ; implicit-def: $vgpr4_vgpr5_vgpr6_vgpr7
	s_andn2_b64 vcc, exec, s[8:9]
	s_cbranch_vccz .LBB51_5
	s_branch .LBB51_6
.LBB51_20:
	v_mov_b32_e32 v12, 0
.LBB51_21:
	v_cmp_eq_u32_e64 s[0:1], 0, v9
	s_and_b64 s[0:1], s[0:1], vcc
	s_and_b64 exec, exec, s[0:1]
	s_cbranch_execz .LBB51_30
; %bb.22:
	s_andn2_b64 vcc, exec, s[18:19]
	s_cbranch_vccnz .LBB51_30
; %bb.23:
	v_cmp_lt_f32_e32 vcc, 0, v12
	s_mov_b32 s2, 0
	v_cndmask_b32_e32 v0, 1.0, v12, vcc
	v_mul_lo_u32 v4, v8, s8
	s_cmp_eq_u32 s8, 1
	s_mov_b64 s[0:1], -1
	s_cbranch_scc1 .LBB51_27
; %bb.24:
	s_and_b32 s2, s8, 0x7ffffffe
	v_mov_b32_e32 v1, v0
	v_mov_b32_e32 v5, s7
	s_mov_b32 s3, s2
	v_mov_b32_e32 v2, v4
.LBB51_25:                              ; =>This Inner Loop Header: Depth=1
	v_ashrrev_i32_e32 v3, 31, v2
	v_lshlrev_b64 v[6:7], 2, v[2:3]
	v_add_co_u32_e32 v6, vcc, s6, v6
	v_addc_co_u32_e32 v7, vcc, v5, v7, vcc
	global_load_dwordx2 v[8:9], v[6:7], off
	s_add_i32 s3, s3, -2
	s_cmp_lg_u32 s3, 0
	v_add_u32_e32 v2, 2, v2
	s_waitcnt vmcnt(0)
	v_div_scale_f32 v3, s[0:1], v1, v1, v9
	v_div_scale_f32 v11, s[0:1], v0, v0, v8
	v_rcp_f32_e32 v12, v3
	v_rcp_f32_e32 v13, v11
	v_div_scale_f32 v10, vcc, v9, v1, v9
	v_fma_f32 v15, -v3, v12, 1.0
	v_fma_f32 v16, -v11, v13, 1.0
	v_fmac_f32_e32 v12, v15, v12
	v_div_scale_f32 v14, s[0:1], v8, v0, v8
	v_fmac_f32_e32 v13, v16, v13
	v_mul_f32_e32 v15, v10, v12
	v_mul_f32_e32 v16, v14, v13
	v_fma_f32 v17, -v3, v15, v10
	v_fma_f32 v18, -v11, v16, v14
	v_fmac_f32_e32 v15, v17, v12
	v_fmac_f32_e32 v16, v18, v13
	v_fma_f32 v3, -v3, v15, v10
	v_fma_f32 v10, -v11, v16, v14
	v_div_fmas_f32 v3, v3, v12, v15
	s_mov_b64 vcc, s[0:1]
	v_div_fixup_f32 v9, v3, v1, v9
	v_div_fmas_f32 v3, v10, v13, v16
	v_div_fixup_f32 v8, v3, v0, v8
	global_store_dwordx2 v[6:7], v[8:9], off
	s_cbranch_scc1 .LBB51_25
; %bb.26:
	s_cmp_lg_u32 s2, s8
	s_cselect_b64 s[0:1], -1, 0
.LBB51_27:
	s_and_b64 vcc, exec, s[0:1]
	s_cbranch_vccz .LBB51_30
; %bb.28:
	v_ashrrev_i32_e32 v1, 31, v4
	v_add_co_u32_e32 v2, vcc, s2, v4
	v_addc_co_u32_e32 v3, vcc, 0, v1, vcc
	v_lshlrev_b64 v[2:3], 2, v[2:3]
	v_mov_b32_e32 v1, s7
	v_add_co_u32_e32 v2, vcc, s6, v2
	s_sub_i32 s0, s8, s2
	v_addc_co_u32_e32 v3, vcc, v1, v3, vcc
.LBB51_29:                              ; =>This Inner Loop Header: Depth=1
	global_load_dword v1, v[2:3], off
	s_add_i32 s0, s0, -1
	s_cmp_lg_u32 s0, 0
	s_waitcnt vmcnt(0)
	v_div_scale_f32 v4, s[2:3], v0, v0, v1
	v_rcp_f32_e32 v5, v4
	v_div_scale_f32 v6, vcc, v1, v0, v1
	v_fma_f32 v7, -v4, v5, 1.0
	v_fmac_f32_e32 v5, v7, v5
	v_mul_f32_e32 v7, v6, v5
	v_fma_f32 v8, -v4, v7, v6
	v_fmac_f32_e32 v7, v8, v5
	v_fma_f32 v4, -v4, v7, v6
	v_div_fmas_f32 v4, v4, v5, v7
	v_div_fixup_f32 v1, v4, v0, v1
	global_store_dword v[2:3], v1, off
	v_add_co_u32_e32 v2, vcc, 4, v2
	v_addc_co_u32_e32 v3, vcc, 0, v3, vcc
	s_cbranch_scc1 .LBB51_29
.LBB51_30:
	s_endpgm
	.section	.rodata,"a",@progbits
	.p2align	6, 0x0
	.amdhsa_kernel _ZN4vllm3moe10topkGatingILi4ELi8ELi4ELi16ELi64ElfLNS0_11ScoringFuncE0EEEvPKT5_PKbPfiPT4_PiiiibPKf
		.amdhsa_group_segment_fixed_size 0
		.amdhsa_private_segment_fixed_size 0
		.amdhsa_kernarg_size 72
		.amdhsa_user_sgpr_count 6
		.amdhsa_user_sgpr_private_segment_buffer 1
		.amdhsa_user_sgpr_dispatch_ptr 0
		.amdhsa_user_sgpr_queue_ptr 0
		.amdhsa_user_sgpr_kernarg_segment_ptr 1
		.amdhsa_user_sgpr_dispatch_id 0
		.amdhsa_user_sgpr_flat_scratch_init 0
		.amdhsa_user_sgpr_kernarg_preload_length 0
		.amdhsa_user_sgpr_kernarg_preload_offset 0
		.amdhsa_user_sgpr_private_segment_size 0
		.amdhsa_uses_dynamic_stack 0
		.amdhsa_system_sgpr_private_segment_wavefront_offset 0
		.amdhsa_system_sgpr_workgroup_id_x 1
		.amdhsa_system_sgpr_workgroup_id_y 0
		.amdhsa_system_sgpr_workgroup_id_z 0
		.amdhsa_system_sgpr_workgroup_info 0
		.amdhsa_system_vgpr_workitem_id 1
		.amdhsa_next_free_vgpr 25
		.amdhsa_next_free_sgpr 26
		.amdhsa_accum_offset 28
		.amdhsa_reserve_vcc 1
		.amdhsa_reserve_flat_scratch 0
		.amdhsa_float_round_mode_32 0
		.amdhsa_float_round_mode_16_64 0
		.amdhsa_float_denorm_mode_32 3
		.amdhsa_float_denorm_mode_16_64 3
		.amdhsa_dx10_clamp 1
		.amdhsa_ieee_mode 1
		.amdhsa_fp16_overflow 0
		.amdhsa_tg_split 0
		.amdhsa_exception_fp_ieee_invalid_op 0
		.amdhsa_exception_fp_denorm_src 0
		.amdhsa_exception_fp_ieee_div_zero 0
		.amdhsa_exception_fp_ieee_overflow 0
		.amdhsa_exception_fp_ieee_underflow 0
		.amdhsa_exception_fp_ieee_inexact 0
		.amdhsa_exception_int_div_zero 0
	.end_amdhsa_kernel
	.section	.text._ZN4vllm3moe10topkGatingILi4ELi8ELi4ELi16ELi64ElfLNS0_11ScoringFuncE0EEEvPKT5_PKbPfiPT4_PiiiibPKf,"axG",@progbits,_ZN4vllm3moe10topkGatingILi4ELi8ELi4ELi16ELi64ElfLNS0_11ScoringFuncE0EEEvPKT5_PKbPfiPT4_PiiiibPKf,comdat
.Lfunc_end51:
	.size	_ZN4vllm3moe10topkGatingILi4ELi8ELi4ELi16ELi64ElfLNS0_11ScoringFuncE0EEEvPKT5_PKbPfiPT4_PiiiibPKf, .Lfunc_end51-_ZN4vllm3moe10topkGatingILi4ELi8ELi4ELi16ELi64ElfLNS0_11ScoringFuncE0EEEvPKT5_PKbPfiPT4_PiiiibPKf
                                        ; -- End function
	.section	.AMDGPU.csdata,"",@progbits
; Kernel info:
; codeLenInByte = 1996
; NumSgprs: 30
; NumVgprs: 25
; NumAgprs: 0
; TotalNumVgprs: 25
; ScratchSize: 0
; MemoryBound: 0
; FloatMode: 240
; IeeeMode: 1
; LDSByteSize: 0 bytes/workgroup (compile time only)
; SGPRBlocks: 3
; VGPRBlocks: 3
; NumSGPRsForWavesPerEU: 30
; NumVGPRsForWavesPerEU: 25
; AccumOffset: 28
; Occupancy: 8
; WaveLimiterHint : 0
; COMPUTE_PGM_RSRC2:SCRATCH_EN: 0
; COMPUTE_PGM_RSRC2:USER_SGPR: 6
; COMPUTE_PGM_RSRC2:TRAP_HANDLER: 0
; COMPUTE_PGM_RSRC2:TGID_X_EN: 1
; COMPUTE_PGM_RSRC2:TGID_Y_EN: 0
; COMPUTE_PGM_RSRC2:TGID_Z_EN: 0
; COMPUTE_PGM_RSRC2:TIDIG_COMP_CNT: 1
; COMPUTE_PGM_RSRC3_GFX90A:ACCUM_OFFSET: 6
; COMPUTE_PGM_RSRC3_GFX90A:TG_SPLIT: 0
	.section	.text._ZN4vllm3moe10topkGatingILi4ELi8ELi4ELi16ELi32ElfLNS0_11ScoringFuncE0EEEvPKT5_PKbPfiPT4_PiiiibPKf,"axG",@progbits,_ZN4vllm3moe10topkGatingILi4ELi8ELi4ELi16ELi32ElfLNS0_11ScoringFuncE0EEEvPKT5_PKbPfiPT4_PiiiibPKf,comdat
	.protected	_ZN4vllm3moe10topkGatingILi4ELi8ELi4ELi16ELi32ElfLNS0_11ScoringFuncE0EEEvPKT5_PKbPfiPT4_PiiiibPKf ; -- Begin function _ZN4vllm3moe10topkGatingILi4ELi8ELi4ELi16ELi32ElfLNS0_11ScoringFuncE0EEEvPKT5_PKbPfiPT4_PiiiibPKf
	.globl	_ZN4vllm3moe10topkGatingILi4ELi8ELi4ELi16ELi32ElfLNS0_11ScoringFuncE0EEEvPKT5_PKbPfiPT4_PiiiibPKf
	.p2align	8
	.type	_ZN4vllm3moe10topkGatingILi4ELi8ELi4ELi16ELi32ElfLNS0_11ScoringFuncE0EEEvPKT5_PKbPfiPT4_PiiiibPKf,@function
_ZN4vllm3moe10topkGatingILi4ELi8ELi4ELi16ELi32ElfLNS0_11ScoringFuncE0EEEvPKT5_PKbPfiPT4_PiiiibPKf: ; @_ZN4vllm3moe10topkGatingILi4ELi8ELi4ELi16ELi32ElfLNS0_11ScoringFuncE0EEEvPKT5_PKbPfiPT4_PiiiibPKf
; %bb.0:
	s_load_dword s24, s[4:5], 0x18
	v_bfe_u32 v1, v0, 10, 10
	v_and_b32_e32 v0, 0x3ff, v0
	s_lshl_b32 s0, s6, 6
	v_lshlrev_b32_e32 v1, 4, v1
	v_lshrrev_b32_e32 v2, 1, v0
	v_add3_u32 v8, s0, v1, v2
	s_waitcnt lgkmcnt(0)
	v_cmp_gt_i32_e32 vcc, s24, v8
	s_and_saveexec_b64 s[0:1], vcc
	s_cbranch_execz .LBB52_30
; %bb.1:
	s_load_dwordx4 s[0:3], s[4:5], 0x0
	s_load_dwordx2 s[6:7], s[4:5], 0x10
	s_mov_b64 s[8:9], -1
	s_mov_b64 s[16:17], -1
	s_waitcnt lgkmcnt(0)
	s_cmp_eq_u64 s[2:3], 0
	s_cbranch_scc1 .LBB52_3
; %bb.2:
	v_ashrrev_i32_e32 v1, 31, v8
	v_mov_b32_e32 v3, s3
	v_add_co_u32_e32 v2, vcc, s2, v8
	v_addc_co_u32_e32 v3, vcc, v3, v1, vcc
	global_load_ubyte v1, v[2:3], off
	s_waitcnt vmcnt(0)
	v_and_b32_e32 v1, 1, v1
	v_cmp_eq_u32_e32 vcc, 1, v1
	s_xor_b64 s[2:3], vcc, -1
	s_orn2_b64 s[16:17], s[2:3], exec
.LBB52_3:
	v_lshlrev_b32_e32 v2, 3, v8
	v_ashrrev_i32_e32 v3, 31, v2
	v_lshlrev_b64 v[2:3], 2, v[2:3]
	v_mov_b32_e32 v1, s1
	v_add_co_u32_e32 v2, vcc, s0, v2
	v_and_b32_e32 v9, 1, v0
	v_addc_co_u32_e32 v1, vcc, v1, v3, vcc
	v_lshlrev_b32_e32 v0, 4, v9
	v_add_co_u32_e32 v0, vcc, v2, v0
	v_addc_co_u32_e32 v1, vcc, 0, v1, vcc
	global_load_dwordx4 v[0:3], v[0:1], off
	v_mbcnt_lo_u32_b32 v4, -1, 0
	v_mbcnt_hi_u32_b32 v4, -1, v4
	v_and_b32_e32 v6, 0x7e, v4
	v_xor_b32_e32 v5, 1, v4
	v_add_u32_e32 v6, 2, v6
	v_cmp_lt_i32_e32 vcc, v5, v6
	v_cndmask_b32_e32 v4, v4, v5, vcc
	v_lshlrev_b32_e32 v10, 2, v4
	s_mov_b32 s0, 0x3fb8aa3b
	s_mov_b32 s1, 0xc2ce8ed0
	;; [unrolled: 1-line block ×3, first 2 shown]
	v_mov_b32_e32 v6, 0x7f800000
	s_movk_i32 s10, 0x1f8
	s_waitcnt vmcnt(0)
	v_max_f32_e32 v4, v1, v1
	v_max_f32_e32 v5, v0, v0
	;; [unrolled: 1-line block ×3, first 2 shown]
	v_max3_f32 v4, v4, v2, v3
	ds_bpermute_b32 v5, v10, v4
	s_waitcnt lgkmcnt(0)
	v_max_f32_e32 v5, v5, v5
	v_max_f32_e32 v4, v4, v5
	v_pk_add_f32 v[0:1], v[0:1], v[4:5] op_sel_hi:[1,0] neg_lo:[0,1] neg_hi:[0,1]
	v_sub_f32_e32 v2, v2, v4
	v_sub_f32_e32 v3, v3, v4
	v_mul_f32_e32 v4, 0x3fb8aa3b, v1
	v_mul_f32_e32 v5, 0x3fb8aa3b, v0
	v_fma_f32 v12, v1, s0, -v4
	v_rndne_f32_e32 v13, v4
	v_mul_f32_e32 v7, 0x3fb8aa3b, v2
	v_fma_f32 v14, v0, s0, -v5
	v_rndne_f32_e32 v15, v5
	v_fmac_f32_e32 v12, 0x32a5705f, v1
	v_sub_f32_e32 v4, v4, v13
	v_mul_f32_e32 v11, 0x3fb8aa3b, v3
	v_fma_f32 v16, v2, s0, -v7
	v_rndne_f32_e32 v17, v7
	v_fmac_f32_e32 v14, 0x32a5705f, v0
	v_sub_f32_e32 v5, v5, v15
	v_add_f32_e32 v4, v4, v12
	v_fma_f32 v18, v3, s0, -v11
	v_rndne_f32_e32 v19, v11
	v_cvt_i32_f32_e32 v13, v13
	v_fmac_f32_e32 v16, 0x32a5705f, v2
	v_sub_f32_e32 v7, v7, v17
	v_add_f32_e32 v5, v5, v14
	v_exp_f32_e32 v4, v4
	v_cvt_i32_f32_e32 v15, v15
	v_fmac_f32_e32 v18, 0x32a5705f, v3
	v_sub_f32_e32 v11, v11, v19
	v_add_f32_e32 v7, v7, v16
	v_exp_f32_e32 v5, v5
	v_cvt_i32_f32_e32 v17, v17
	v_add_f32_e32 v11, v11, v18
	v_exp_f32_e32 v7, v7
	v_cvt_i32_f32_e32 v19, v19
	v_exp_f32_e32 v11, v11
	v_ldexp_f32 v4, v4, v13
	v_cmp_ngt_f32_e32 vcc, s1, v1
	v_ldexp_f32 v5, v5, v15
	v_cndmask_b32_e32 v4, 0, v4, vcc
	v_cmp_ngt_f32_e32 vcc, s1, v0
	v_ldexp_f32 v7, v7, v17
	v_cndmask_b32_e32 v5, 0, v5, vcc
	;; [unrolled: 3-line block ×3, first 2 shown]
	v_cmp_ngt_f32_e32 vcc, s1, v3
	v_cndmask_b32_e32 v11, 0, v11, vcc
	v_cmp_nlt_f32_e32 vcc, s2, v1
	v_cndmask_b32_e32 v1, v6, v4, vcc
	v_cmp_nlt_f32_e32 vcc, s2, v0
	;; [unrolled: 2-line block ×4, first 2 shown]
	v_add_f32_e32 v4, v0, v1
	v_cndmask_b32_e32 v3, v6, v11, vcc
	v_add_f32_e32 v4, v4, v2
	v_add_f32_e32 v4, v4, v3
	ds_bpermute_b32 v5, v10, v4
	s_load_dwordx2 s[0:1], s[4:5], 0x40
	v_lshlrev_b32_e32 v11, 2, v9
	s_waitcnt lgkmcnt(0)
	v_add_f32_e32 v4, v4, v5
	v_div_scale_f32 v5, s[2:3], v4, v4, 1.0
	v_rcp_f32_e32 v6, v5
	v_div_scale_f32 v7, vcc, 1.0, v4, 1.0
	s_cmp_eq_u64 s[0:1], 0
	v_fma_f32 v12, -v5, v6, 1.0
	v_fmac_f32_e32 v6, v12, v6
	v_mul_f32_e32 v12, v7, v6
	v_fma_f32 v13, -v5, v12, v7
	v_fmac_f32_e32 v12, v13, v6
	v_fma_f32 v5, -v5, v12, v7
	v_div_fmas_f32 v5, v5, v6, v12
	v_div_fixup_f32 v4, v5, v4, 1.0
	v_mul_f32_e32 v0, v4, v0
	v_mul_f32_e32 v1, v4, v1
	v_cmp_class_f32_e64 vcc, v0, s10
	v_mul_f32_e32 v2, v4, v2
	v_cndmask_b32_e32 v0, 0, v0, vcc
	v_cmp_class_f32_e64 vcc, v1, s10
	v_mul_f32_e32 v3, v4, v3
	v_cndmask_b32_e32 v1, 0, v1, vcc
	v_cmp_class_f32_e64 vcc, v2, s10
	v_cndmask_b32_e32 v2, 0, v2, vcc
	v_cmp_class_f32_e64 vcc, v3, s10
	v_cndmask_b32_e32 v3, 0, v3, vcc
	s_cbranch_scc1 .LBB52_19
; %bb.4:
	v_lshlrev_b32_e32 v4, 2, v11
	global_load_dwordx4 v[4:7], v4, s[0:1]
	s_waitcnt vmcnt(0)
	v_pk_add_f32 v[4:5], v[4:5], v[0:1]
	v_pk_add_f32 v[6:7], v[6:7], v[2:3]
	s_cbranch_execnz .LBB52_6
.LBB52_5:
	v_pk_mov_b32 v[6:7], v[2:3], v[2:3] op_sel:[0,1]
	v_pk_mov_b32 v[4:5], v[0:1], v[0:1] op_sel:[0,1]
.LBB52_6:
	s_load_dwordx4 s[8:11], s[4:5], 0x30
	s_mov_b32 s25, 0
	v_cmp_eq_u32_e64 s[0:1], 0, v9
	s_waitcnt lgkmcnt(0)
	s_bitcmp1_b32 s11, 0
	s_cselect_b64 vcc, -1, 0
	s_cmp_gt_i32 s8, 0
	s_cselect_b64 s[18:19], -1, 0
	s_cmp_lt_i32 s8, 1
	s_cbranch_scc1 .LBB52_20
; %bb.7:
	s_load_dwordx4 s[12:15], s[4:5], 0x20
	v_mul_lo_u32 v13, v8, s8
	v_mov_b32_e32 v12, 0
	v_mov_b32_e32 v14, 0xc61c4000
	;; [unrolled: 1-line block ×3, first 2 shown]
	s_branch .LBB52_10
.LBB52_8:                               ;   in Loop: Header=BB52_10 Depth=1
	s_or_b64 exec, exec, s[4:5]
.LBB52_9:                               ;   in Loop: Header=BB52_10 Depth=1
	s_cmp_eq_u32 s8, s25
	v_add_u32_e32 v15, s24, v15
	s_cbranch_scc1 .LBB52_21
.LBB52_10:                              ; =>This Inner Loop Header: Depth=1
	v_cmp_gt_f32_e64 s[2:3], v5, v4
	v_cndmask_b32_e64 v16, v4, v5, s[2:3]
	v_cndmask_b32_e64 v17, v0, v1, s[2:3]
	v_cndmask_b32_e64 v18, 0, 1, s[2:3]
	v_cmp_gt_f32_e64 s[2:3], v6, v16
	v_cndmask_b32_e64 v16, v16, v6, s[2:3]
	v_cndmask_b32_e64 v17, v17, v2, s[2:3]
	v_cndmask_b32_e64 v18, v18, 2, s[2:3]
	;; [unrolled: 4-line block ×3, first 2 shown]
	v_or_b32_e32 v16, v11, v16
	ds_bpermute_b32 v21, v10, v20
	ds_bpermute_b32 v19, v10, v17
	;; [unrolled: 1-line block ×3, first 2 shown]
	s_waitcnt lgkmcnt(0)
	v_cmp_lt_f32_e64 s[20:21], v20, v21
	v_cmp_nlt_f32_e64 s[2:3], v20, v21
	s_and_saveexec_b64 s[22:23], s[2:3]
	s_cbranch_execnz .LBB52_14
; %bb.11:                               ;   in Loop: Header=BB52_10 Depth=1
	s_or_b64 exec, exec, s[22:23]
	s_and_saveexec_b64 s[2:3], s[20:21]
	s_cbranch_execnz .LBB52_15
.LBB52_12:                              ;   in Loop: Header=BB52_10 Depth=1
	s_or_b64 exec, exec, s[2:3]
	s_and_saveexec_b64 s[20:21], s[0:1]
	s_cbranch_execnz .LBB52_16
.LBB52_13:                              ;   in Loop: Header=BB52_10 Depth=1
	s_or_b64 exec, exec, s[20:21]
	s_add_i32 s25, s25, 1
	s_cmp_ge_i32 s25, s8
	s_cbranch_scc1 .LBB52_9
	s_branch .LBB52_17
.LBB52_14:                              ;   in Loop: Header=BB52_10 Depth=1
	v_cmp_eq_f32_e64 s[2:3], v20, v21
	v_cmp_lt_i32_e64 s[4:5], v18, v16
	s_and_b64 s[2:3], s[2:3], s[4:5]
	s_andn2_b64 s[4:5], s[20:21], exec
	s_and_b64 s[2:3], s[2:3], exec
	s_or_b64 s[20:21], s[4:5], s[2:3]
	s_or_b64 exec, exec, s[22:23]
	s_and_saveexec_b64 s[2:3], s[20:21]
	s_cbranch_execz .LBB52_12
.LBB52_15:                              ;   in Loop: Header=BB52_10 Depth=1
	v_mov_b32_e32 v17, v19
	v_mov_b32_e32 v16, v18
	s_or_b64 exec, exec, s[2:3]
	s_and_saveexec_b64 s[20:21], s[0:1]
	s_cbranch_execz .LBB52_13
.LBB52_16:                              ;   in Loop: Header=BB52_10 Depth=1
	v_add_u32_e32 v18, s25, v13
	v_ashrrev_i32_e32 v19, 31, v18
	v_cmp_le_i32_e64 s[2:3], s9, v16
	v_cmp_gt_i32_e64 s[4:5], s10, v16
	v_lshlrev_b64 v[20:21], 2, v[18:19]
	s_and_b64 s[4:5], s[2:3], s[4:5]
	v_mov_b32_e32 v23, s7
	v_add_co_u32_e64 v22, s[2:3], s6, v20
	v_addc_co_u32_e64 v23, s[2:3], v23, v21, s[2:3]
	global_store_dword v[22:23], v17, off
	v_subrev_u32_e32 v22, s9, v16
	v_ashrrev_i32_e32 v23, 31, v22
	s_and_b64 s[2:3], s[16:17], s[4:5]
	v_lshlrev_b64 v[18:19], 3, v[18:19]
	v_cndmask_b32_e64 v23, 0, v23, s[2:3]
	v_cndmask_b32_e64 v22, 8, v22, s[2:3]
	v_mov_b32_e32 v24, s13
	v_add_co_u32_e64 v18, s[2:3], s12, v18
	v_addc_co_u32_e64 v19, s[2:3], v24, v19, s[2:3]
	global_store_dwordx2 v[18:19], v[22:23], off
	v_mov_b32_e32 v19, s15
	v_add_co_u32_e64 v18, s[2:3], s14, v20
	v_add_f32_e32 v17, v12, v17
	v_addc_co_u32_e64 v19, s[2:3], v19, v21, s[2:3]
	v_cndmask_b32_e32 v12, v12, v17, vcc
	global_store_dword v[18:19], v15, off
	s_or_b64 exec, exec, s[20:21]
	s_add_i32 s25, s25, 1
	s_cmp_ge_i32 s25, s8
	s_cbranch_scc1 .LBB52_9
.LBB52_17:                              ;   in Loop: Header=BB52_10 Depth=1
	v_ashrrev_i32_e32 v18, 31, v16
	v_lshrrev_b32_e32 v17, 30, v18
	v_add_u32_e32 v19, v16, v17
	v_ashrrev_i32_e32 v17, 2, v19
	v_lshrrev_b32_e32 v19, 31, v19
	v_add_u32_e32 v19, v17, v19
	v_and_b32_e32 v19, -2, v19
	v_sub_u32_e32 v19, v17, v19
	v_cmp_eq_u32_e64 s[2:3], v9, v19
	s_and_saveexec_b64 s[4:5], s[2:3]
	s_cbranch_execz .LBB52_8
; %bb.18:                               ;   in Loop: Header=BB52_10 Depth=1
	v_lshrrev_b32_e32 v18, 29, v18
	v_add_u32_e32 v18, v16, v18
	v_lshlrev_b32_e32 v17, 2, v17
	v_ashrrev_i32_e32 v18, 3, v18
	v_sub_u32_e32 v16, v16, v17
	v_lshl_add_u32 v16, v18, 2, v16
	v_cmp_ne_u32_e64 s[2:3], 3, v16
	v_cndmask_b32_e64 v7, v14, v7, s[2:3]
	v_cmp_ne_u32_e64 s[2:3], 2, v16
	v_cndmask_b32_e64 v6, v14, v6, s[2:3]
	;; [unrolled: 2-line block ×4, first 2 shown]
	s_branch .LBB52_8
.LBB52_19:
                                        ; implicit-def: $vgpr4_vgpr5_vgpr6_vgpr7
	s_andn2_b64 vcc, exec, s[8:9]
	s_cbranch_vccz .LBB52_5
	s_branch .LBB52_6
.LBB52_20:
	v_mov_b32_e32 v12, 0
.LBB52_21:
	v_cmp_eq_u32_e64 s[0:1], 0, v9
	s_and_b64 s[0:1], s[0:1], vcc
	s_and_b64 exec, exec, s[0:1]
	s_cbranch_execz .LBB52_30
; %bb.22:
	s_andn2_b64 vcc, exec, s[18:19]
	s_cbranch_vccnz .LBB52_30
; %bb.23:
	v_cmp_lt_f32_e32 vcc, 0, v12
	s_mov_b32 s2, 0
	v_cndmask_b32_e32 v0, 1.0, v12, vcc
	v_mul_lo_u32 v4, v8, s8
	s_cmp_eq_u32 s8, 1
	s_mov_b64 s[0:1], -1
	s_cbranch_scc1 .LBB52_27
; %bb.24:
	s_and_b32 s2, s8, 0x7ffffffe
	v_mov_b32_e32 v1, v0
	v_mov_b32_e32 v5, s7
	s_mov_b32 s3, s2
	v_mov_b32_e32 v2, v4
.LBB52_25:                              ; =>This Inner Loop Header: Depth=1
	v_ashrrev_i32_e32 v3, 31, v2
	v_lshlrev_b64 v[6:7], 2, v[2:3]
	v_add_co_u32_e32 v6, vcc, s6, v6
	v_addc_co_u32_e32 v7, vcc, v5, v7, vcc
	global_load_dwordx2 v[8:9], v[6:7], off
	s_add_i32 s3, s3, -2
	s_cmp_lg_u32 s3, 0
	v_add_u32_e32 v2, 2, v2
	s_waitcnt vmcnt(0)
	v_div_scale_f32 v3, s[0:1], v1, v1, v9
	v_div_scale_f32 v11, s[0:1], v0, v0, v8
	v_rcp_f32_e32 v12, v3
	v_rcp_f32_e32 v13, v11
	v_div_scale_f32 v10, vcc, v9, v1, v9
	v_fma_f32 v15, -v3, v12, 1.0
	v_fma_f32 v16, -v11, v13, 1.0
	v_fmac_f32_e32 v12, v15, v12
	v_div_scale_f32 v14, s[0:1], v8, v0, v8
	v_fmac_f32_e32 v13, v16, v13
	v_mul_f32_e32 v15, v10, v12
	v_mul_f32_e32 v16, v14, v13
	v_fma_f32 v17, -v3, v15, v10
	v_fma_f32 v18, -v11, v16, v14
	v_fmac_f32_e32 v15, v17, v12
	v_fmac_f32_e32 v16, v18, v13
	v_fma_f32 v3, -v3, v15, v10
	v_fma_f32 v10, -v11, v16, v14
	v_div_fmas_f32 v3, v3, v12, v15
	s_mov_b64 vcc, s[0:1]
	v_div_fixup_f32 v9, v3, v1, v9
	v_div_fmas_f32 v3, v10, v13, v16
	v_div_fixup_f32 v8, v3, v0, v8
	global_store_dwordx2 v[6:7], v[8:9], off
	s_cbranch_scc1 .LBB52_25
; %bb.26:
	s_cmp_lg_u32 s2, s8
	s_cselect_b64 s[0:1], -1, 0
.LBB52_27:
	s_and_b64 vcc, exec, s[0:1]
	s_cbranch_vccz .LBB52_30
; %bb.28:
	v_ashrrev_i32_e32 v1, 31, v4
	v_add_co_u32_e32 v2, vcc, s2, v4
	v_addc_co_u32_e32 v3, vcc, 0, v1, vcc
	v_lshlrev_b64 v[2:3], 2, v[2:3]
	v_mov_b32_e32 v1, s7
	v_add_co_u32_e32 v2, vcc, s6, v2
	s_sub_i32 s0, s8, s2
	v_addc_co_u32_e32 v3, vcc, v1, v3, vcc
.LBB52_29:                              ; =>This Inner Loop Header: Depth=1
	global_load_dword v1, v[2:3], off
	s_add_i32 s0, s0, -1
	s_cmp_lg_u32 s0, 0
	s_waitcnt vmcnt(0)
	v_div_scale_f32 v4, s[2:3], v0, v0, v1
	v_rcp_f32_e32 v5, v4
	v_div_scale_f32 v6, vcc, v1, v0, v1
	v_fma_f32 v7, -v4, v5, 1.0
	v_fmac_f32_e32 v5, v7, v5
	v_mul_f32_e32 v7, v6, v5
	v_fma_f32 v8, -v4, v7, v6
	v_fmac_f32_e32 v7, v8, v5
	v_fma_f32 v4, -v4, v7, v6
	v_div_fmas_f32 v4, v4, v5, v7
	v_div_fixup_f32 v1, v4, v0, v1
	global_store_dword v[2:3], v1, off
	v_add_co_u32_e32 v2, vcc, 4, v2
	v_addc_co_u32_e32 v3, vcc, 0, v3, vcc
	s_cbranch_scc1 .LBB52_29
.LBB52_30:
	s_endpgm
	.section	.rodata,"a",@progbits
	.p2align	6, 0x0
	.amdhsa_kernel _ZN4vllm3moe10topkGatingILi4ELi8ELi4ELi16ELi32ElfLNS0_11ScoringFuncE0EEEvPKT5_PKbPfiPT4_PiiiibPKf
		.amdhsa_group_segment_fixed_size 0
		.amdhsa_private_segment_fixed_size 0
		.amdhsa_kernarg_size 72
		.amdhsa_user_sgpr_count 6
		.amdhsa_user_sgpr_private_segment_buffer 1
		.amdhsa_user_sgpr_dispatch_ptr 0
		.amdhsa_user_sgpr_queue_ptr 0
		.amdhsa_user_sgpr_kernarg_segment_ptr 1
		.amdhsa_user_sgpr_dispatch_id 0
		.amdhsa_user_sgpr_flat_scratch_init 0
		.amdhsa_user_sgpr_kernarg_preload_length 0
		.amdhsa_user_sgpr_kernarg_preload_offset 0
		.amdhsa_user_sgpr_private_segment_size 0
		.amdhsa_uses_dynamic_stack 0
		.amdhsa_system_sgpr_private_segment_wavefront_offset 0
		.amdhsa_system_sgpr_workgroup_id_x 1
		.amdhsa_system_sgpr_workgroup_id_y 0
		.amdhsa_system_sgpr_workgroup_id_z 0
		.amdhsa_system_sgpr_workgroup_info 0
		.amdhsa_system_vgpr_workitem_id 1
		.amdhsa_next_free_vgpr 25
		.amdhsa_next_free_sgpr 26
		.amdhsa_accum_offset 28
		.amdhsa_reserve_vcc 1
		.amdhsa_reserve_flat_scratch 0
		.amdhsa_float_round_mode_32 0
		.amdhsa_float_round_mode_16_64 0
		.amdhsa_float_denorm_mode_32 3
		.amdhsa_float_denorm_mode_16_64 3
		.amdhsa_dx10_clamp 1
		.amdhsa_ieee_mode 1
		.amdhsa_fp16_overflow 0
		.amdhsa_tg_split 0
		.amdhsa_exception_fp_ieee_invalid_op 0
		.amdhsa_exception_fp_denorm_src 0
		.amdhsa_exception_fp_ieee_div_zero 0
		.amdhsa_exception_fp_ieee_overflow 0
		.amdhsa_exception_fp_ieee_underflow 0
		.amdhsa_exception_fp_ieee_inexact 0
		.amdhsa_exception_int_div_zero 0
	.end_amdhsa_kernel
	.section	.text._ZN4vllm3moe10topkGatingILi4ELi8ELi4ELi16ELi32ElfLNS0_11ScoringFuncE0EEEvPKT5_PKbPfiPT4_PiiiibPKf,"axG",@progbits,_ZN4vllm3moe10topkGatingILi4ELi8ELi4ELi16ELi32ElfLNS0_11ScoringFuncE0EEEvPKT5_PKbPfiPT4_PiiiibPKf,comdat
.Lfunc_end52:
	.size	_ZN4vllm3moe10topkGatingILi4ELi8ELi4ELi16ELi32ElfLNS0_11ScoringFuncE0EEEvPKT5_PKbPfiPT4_PiiiibPKf, .Lfunc_end52-_ZN4vllm3moe10topkGatingILi4ELi8ELi4ELi16ELi32ElfLNS0_11ScoringFuncE0EEEvPKT5_PKbPfiPT4_PiiiibPKf
                                        ; -- End function
	.section	.AMDGPU.csdata,"",@progbits
; Kernel info:
; codeLenInByte = 1996
; NumSgprs: 30
; NumVgprs: 25
; NumAgprs: 0
; TotalNumVgprs: 25
; ScratchSize: 0
; MemoryBound: 0
; FloatMode: 240
; IeeeMode: 1
; LDSByteSize: 0 bytes/workgroup (compile time only)
; SGPRBlocks: 3
; VGPRBlocks: 3
; NumSGPRsForWavesPerEU: 30
; NumVGPRsForWavesPerEU: 25
; AccumOffset: 28
; Occupancy: 8
; WaveLimiterHint : 0
; COMPUTE_PGM_RSRC2:SCRATCH_EN: 0
; COMPUTE_PGM_RSRC2:USER_SGPR: 6
; COMPUTE_PGM_RSRC2:TRAP_HANDLER: 0
; COMPUTE_PGM_RSRC2:TGID_X_EN: 1
; COMPUTE_PGM_RSRC2:TGID_Y_EN: 0
; COMPUTE_PGM_RSRC2:TGID_Z_EN: 0
; COMPUTE_PGM_RSRC2:TIDIG_COMP_CNT: 1
; COMPUTE_PGM_RSRC3_GFX90A:ACCUM_OFFSET: 6
; COMPUTE_PGM_RSRC3_GFX90A:TG_SPLIT: 0
	.section	.text._ZN4vllm3moe10topkGatingILi4ELi16ELi4ELi16ELi64ElfLNS0_11ScoringFuncE0EEEvPKT5_PKbPfiPT4_PiiiibPKf,"axG",@progbits,_ZN4vllm3moe10topkGatingILi4ELi16ELi4ELi16ELi64ElfLNS0_11ScoringFuncE0EEEvPKT5_PKbPfiPT4_PiiiibPKf,comdat
	.protected	_ZN4vllm3moe10topkGatingILi4ELi16ELi4ELi16ELi64ElfLNS0_11ScoringFuncE0EEEvPKT5_PKbPfiPT4_PiiiibPKf ; -- Begin function _ZN4vllm3moe10topkGatingILi4ELi16ELi4ELi16ELi64ElfLNS0_11ScoringFuncE0EEEvPKT5_PKbPfiPT4_PiiiibPKf
	.globl	_ZN4vllm3moe10topkGatingILi4ELi16ELi4ELi16ELi64ElfLNS0_11ScoringFuncE0EEEvPKT5_PKbPfiPT4_PiiiibPKf
	.p2align	8
	.type	_ZN4vllm3moe10topkGatingILi4ELi16ELi4ELi16ELi64ElfLNS0_11ScoringFuncE0EEEvPKT5_PKbPfiPT4_PiiiibPKf,@function
_ZN4vllm3moe10topkGatingILi4ELi16ELi4ELi16ELi64ElfLNS0_11ScoringFuncE0EEEvPKT5_PKbPfiPT4_PiiiibPKf: ; @_ZN4vllm3moe10topkGatingILi4ELi16ELi4ELi16ELi64ElfLNS0_11ScoringFuncE0EEEvPKT5_PKbPfiPT4_PiiiibPKf
; %bb.0:
	s_load_dword s22, s[4:5], 0x18
	v_bfe_u32 v1, v0, 10, 10
	v_and_b32_e32 v0, 0x3ff, v0
	s_lshl_b32 s0, s6, 6
	v_lshlrev_b32_e32 v1, 4, v1
	v_lshrrev_b32_e32 v2, 2, v0
	v_add3_u32 v8, s0, v1, v2
	s_waitcnt lgkmcnt(0)
	v_cmp_gt_i32_e32 vcc, s22, v8
	s_and_saveexec_b64 s[0:1], vcc
	s_cbranch_execz .LBB53_26
; %bb.1:
	s_load_dwordx4 s[0:3], s[4:5], 0x0
	s_load_dwordx2 s[16:17], s[4:5], 0x10
	s_mov_b64 s[6:7], -1
	s_mov_b64 s[18:19], -1
	s_waitcnt lgkmcnt(0)
	s_cmp_eq_u64 s[2:3], 0
	s_cbranch_scc1 .LBB53_3
; %bb.2:
	v_ashrrev_i32_e32 v1, 31, v8
	v_mov_b32_e32 v3, s3
	v_add_co_u32_e32 v2, vcc, s2, v8
	v_addc_co_u32_e32 v3, vcc, v3, v1, vcc
	global_load_ubyte v1, v[2:3], off
	s_waitcnt vmcnt(0)
	v_and_b32_e32 v1, 1, v1
	v_cmp_eq_u32_e32 vcc, 1, v1
	s_xor_b64 s[2:3], vcc, -1
	s_orn2_b64 s[18:19], s[2:3], exec
.LBB53_3:
	v_lshlrev_b32_e32 v2, 4, v8
	v_ashrrev_i32_e32 v3, 31, v2
	v_lshlrev_b64 v[2:3], 2, v[2:3]
	v_mov_b32_e32 v1, s1
	v_add_co_u32_e32 v2, vcc, s0, v2
	v_and_b32_e32 v9, 3, v0
	v_addc_co_u32_e32 v1, vcc, v1, v3, vcc
	v_lshlrev_b32_e32 v0, 4, v9
	v_add_co_u32_e32 v0, vcc, v2, v0
	v_addc_co_u32_e32 v1, vcc, 0, v1, vcc
	global_load_dwordx4 v[0:3], v[0:1], off
	v_mbcnt_lo_u32_b32 v4, -1, 0
	v_mbcnt_hi_u32_b32 v4, -1, v4
	v_and_b32_e32 v5, 0x7c, v4
	v_xor_b32_e32 v6, 2, v4
	v_add_u32_e32 v5, 4, v5
	v_cmp_lt_i32_e32 vcc, v6, v5
	v_cndmask_b32_e32 v6, v4, v6, vcc
	v_lshlrev_b32_e32 v10, 2, v6
	v_xor_b32_e32 v11, 1, v4
	v_cmp_lt_i32_e32 vcc, v11, v5
	v_cndmask_b32_e32 v4, v4, v11, vcc
	v_lshlrev_b32_e32 v11, 2, v4
	s_mov_b32 s0, 0x3fb8aa3b
	s_mov_b32 s1, 0xc2ce8ed0
	;; [unrolled: 1-line block ×3, first 2 shown]
	s_movk_i32 s8, 0x1f8
	s_waitcnt vmcnt(0)
	v_max_f32_e32 v6, v1, v1
	v_max_f32_e32 v7, v0, v0
	;; [unrolled: 1-line block ×3, first 2 shown]
	v_max3_f32 v6, v6, v2, v3
	ds_bpermute_b32 v7, v10, v6
	s_waitcnt lgkmcnt(0)
	v_max_f32_e32 v4, v7, v7
	v_max_f32_e32 v4, v6, v4
	ds_bpermute_b32 v5, v11, v4
	v_mov_b32_e32 v6, 0x7f800000
	s_waitcnt lgkmcnt(0)
	v_max_f32_e32 v5, v5, v5
	v_max_f32_e32 v4, v4, v5
	v_pk_add_f32 v[0:1], v[0:1], v[4:5] op_sel_hi:[1,0] neg_lo:[0,1] neg_hi:[0,1]
	v_sub_f32_e32 v2, v2, v4
	v_sub_f32_e32 v3, v3, v4
	v_mul_f32_e32 v4, 0x3fb8aa3b, v1
	v_mul_f32_e32 v5, 0x3fb8aa3b, v0
	v_fma_f32 v13, v1, s0, -v4
	v_rndne_f32_e32 v14, v4
	v_mul_f32_e32 v7, 0x3fb8aa3b, v2
	v_fma_f32 v15, v0, s0, -v5
	v_rndne_f32_e32 v16, v5
	v_fmac_f32_e32 v13, 0x32a5705f, v1
	v_sub_f32_e32 v4, v4, v14
	v_mul_f32_e32 v12, 0x3fb8aa3b, v3
	v_fma_f32 v17, v2, s0, -v7
	v_rndne_f32_e32 v18, v7
	v_fmac_f32_e32 v15, 0x32a5705f, v0
	v_sub_f32_e32 v5, v5, v16
	v_add_f32_e32 v4, v4, v13
	v_fma_f32 v19, v3, s0, -v12
	v_rndne_f32_e32 v20, v12
	v_cvt_i32_f32_e32 v14, v14
	v_fmac_f32_e32 v17, 0x32a5705f, v2
	v_sub_f32_e32 v7, v7, v18
	v_add_f32_e32 v5, v5, v15
	v_exp_f32_e32 v4, v4
	v_cvt_i32_f32_e32 v16, v16
	v_fmac_f32_e32 v19, 0x32a5705f, v3
	v_sub_f32_e32 v12, v12, v20
	v_add_f32_e32 v7, v7, v17
	v_exp_f32_e32 v5, v5
	v_cvt_i32_f32_e32 v18, v18
	v_add_f32_e32 v12, v12, v19
	v_exp_f32_e32 v7, v7
	v_cvt_i32_f32_e32 v20, v20
	v_exp_f32_e32 v12, v12
	v_ldexp_f32 v4, v4, v14
	v_cmp_ngt_f32_e32 vcc, s1, v1
	v_ldexp_f32 v5, v5, v16
	v_cndmask_b32_e32 v4, 0, v4, vcc
	v_cmp_ngt_f32_e32 vcc, s1, v0
	v_ldexp_f32 v7, v7, v18
	v_cndmask_b32_e32 v5, 0, v5, vcc
	;; [unrolled: 3-line block ×3, first 2 shown]
	v_cmp_ngt_f32_e32 vcc, s1, v3
	v_cndmask_b32_e32 v12, 0, v12, vcc
	v_cmp_nlt_f32_e32 vcc, s2, v1
	v_cndmask_b32_e32 v1, v6, v4, vcc
	v_cmp_nlt_f32_e32 vcc, s2, v0
	;; [unrolled: 2-line block ×4, first 2 shown]
	v_add_f32_e32 v4, v0, v1
	v_cndmask_b32_e32 v3, v6, v12, vcc
	v_add_f32_e32 v4, v4, v2
	v_add_f32_e32 v4, v4, v3
	ds_bpermute_b32 v5, v10, v4
	s_load_dwordx2 s[0:1], s[4:5], 0x40
	v_lshlrev_b32_e32 v12, 2, v9
	s_waitcnt lgkmcnt(0)
	v_add_f32_e32 v4, v4, v5
	ds_bpermute_b32 v5, v11, v4
	s_cmp_eq_u64 s[0:1], 0
	s_waitcnt lgkmcnt(0)
	v_add_f32_e32 v4, v4, v5
	v_div_scale_f32 v5, s[2:3], v4, v4, 1.0
	v_rcp_f32_e32 v6, v5
	v_div_scale_f32 v7, vcc, 1.0, v4, 1.0
	v_fma_f32 v13, -v5, v6, 1.0
	v_fmac_f32_e32 v6, v13, v6
	v_mul_f32_e32 v13, v7, v6
	v_fma_f32 v14, -v5, v13, v7
	v_fmac_f32_e32 v13, v14, v6
	v_fma_f32 v5, -v5, v13, v7
	v_div_fmas_f32 v5, v5, v6, v13
	v_div_fixup_f32 v4, v5, v4, 1.0
	v_mul_f32_e32 v0, v4, v0
	v_mul_f32_e32 v1, v4, v1
	v_cmp_class_f32_e64 vcc, v0, s8
	v_mul_f32_e32 v2, v4, v2
	v_cndmask_b32_e32 v0, 0, v0, vcc
	v_cmp_class_f32_e64 vcc, v1, s8
	v_mul_f32_e32 v3, v4, v3
	v_cndmask_b32_e32 v1, 0, v1, vcc
	v_cmp_class_f32_e64 vcc, v2, s8
	v_cndmask_b32_e32 v2, 0, v2, vcc
	v_cmp_class_f32_e64 vcc, v3, s8
	v_cndmask_b32_e32 v3, 0, v3, vcc
	s_cbranch_scc1 .LBB53_15
; %bb.4:
	v_lshlrev_b32_e32 v4, 2, v12
	global_load_dwordx4 v[4:7], v4, s[0:1]
	s_waitcnt vmcnt(0)
	v_pk_add_f32 v[4:5], v[4:5], v[0:1]
	v_pk_add_f32 v[6:7], v[6:7], v[2:3]
	s_cbranch_execnz .LBB53_6
.LBB53_5:
	v_pk_mov_b32 v[6:7], v[2:3], v[2:3] op_sel:[0,1]
	v_pk_mov_b32 v[4:5], v[0:1], v[0:1] op_sel:[0,1]
.LBB53_6:
	s_load_dwordx4 s[8:11], s[4:5], 0x30
	s_mov_b32 s23, 0
	v_cmp_eq_u32_e64 s[0:1], 0, v9
	s_waitcnt lgkmcnt(0)
	s_bitcmp1_b32 s11, 0
	s_cselect_b64 vcc, -1, 0
	s_cmp_gt_i32 s8, 0
	s_cselect_b64 s[20:21], -1, 0
	s_cmp_lt_i32 s8, 1
	s_cbranch_scc1 .LBB53_16
; %bb.7:
	s_load_dwordx4 s[12:15], s[4:5], 0x20
	v_mul_lo_u32 v14, v8, s8
	v_mov_b32_e32 v13, 0
	v_mov_b32_e32 v15, 0xc61c4000
	;; [unrolled: 1-line block ×3, first 2 shown]
	s_branch .LBB53_10
.LBB53_8:                               ;   in Loop: Header=BB53_10 Depth=1
	s_or_b64 exec, exec, s[4:5]
.LBB53_9:                               ;   in Loop: Header=BB53_10 Depth=1
	s_cmp_eq_u32 s8, s23
	v_add_u32_e32 v16, s22, v16
	s_cbranch_scc1 .LBB53_17
.LBB53_10:                              ; =>This Inner Loop Header: Depth=1
	v_cmp_gt_f32_e64 s[2:3], v5, v4
	v_cndmask_b32_e64 v17, v4, v5, s[2:3]
	v_cndmask_b32_e64 v18, v0, v1, s[2:3]
	s_waitcnt lgkmcnt(0)
	v_cndmask_b32_e64 v19, 0, 1, s[2:3]
	v_cmp_gt_f32_e64 s[2:3], v6, v17
	v_cndmask_b32_e64 v17, v17, v6, s[2:3]
	v_cndmask_b32_e64 v18, v18, v2, s[2:3]
	;; [unrolled: 1-line block ×3, first 2 shown]
	v_cmp_gt_f32_e64 s[2:3], v7, v17
	v_cndmask_b32_e64 v19, v19, 3, s[2:3]
	v_cndmask_b32_e64 v17, v17, v7, s[2:3]
	v_or_b32_e32 v19, v12, v19
	ds_bpermute_b32 v20, v10, v17
	ds_bpermute_b32 v21, v10, v19
	v_cndmask_b32_e64 v18, v18, v3, s[2:3]
	ds_bpermute_b32 v22, v10, v18
	s_waitcnt lgkmcnt(0)
	v_cmp_eq_f32_e64 s[4:5], v17, v20
	v_cmp_lt_i32_e64 s[6:7], v21, v19
	v_cmp_lt_f32_e64 s[2:3], v17, v20
	s_and_b64 s[4:5], s[4:5], s[6:7]
	s_or_b64 s[2:3], s[2:3], s[4:5]
	v_cndmask_b32_e64 v21, v19, v21, s[2:3]
	v_cndmask_b32_e64 v17, v17, v20, s[2:3]
	ds_bpermute_b32 v20, v11, v17
	ds_bpermute_b32 v23, v11, v21
	v_cndmask_b32_e64 v18, v18, v22, s[2:3]
	ds_bpermute_b32 v19, v11, v18
	s_waitcnt lgkmcnt(2)
	v_cmp_eq_f32_e64 s[4:5], v17, v20
	s_waitcnt lgkmcnt(1)
	v_cmp_lt_i32_e64 s[6:7], v23, v21
	v_cmp_lt_f32_e64 s[2:3], v17, v20
	s_and_b64 s[4:5], s[4:5], s[6:7]
	s_or_b64 s[2:3], s[2:3], s[4:5]
	v_cndmask_b32_e64 v17, v21, v23, s[2:3]
	s_and_saveexec_b64 s[6:7], s[0:1]
	s_cbranch_execnz .LBB53_12
; %bb.11:                               ;   in Loop: Header=BB53_10 Depth=1
	s_or_b64 exec, exec, s[6:7]
	s_add_i32 s23, s23, 1
	s_cmp_ge_i32 s23, s8
	s_cbranch_scc1 .LBB53_9
	s_branch .LBB53_13
.LBB53_12:                              ;   in Loop: Header=BB53_10 Depth=1
	s_waitcnt lgkmcnt(0)
	v_cndmask_b32_e64 v24, v18, v19, s[2:3]
	v_add_u32_e32 v18, s23, v14
	v_ashrrev_i32_e32 v19, 31, v18
	v_cmp_le_i32_e64 s[2:3], s9, v17
	v_cmp_gt_i32_e64 s[4:5], s10, v17
	v_lshlrev_b64 v[20:21], 2, v[18:19]
	s_and_b64 s[4:5], s[2:3], s[4:5]
	v_mov_b32_e32 v23, s17
	v_add_co_u32_e64 v22, s[2:3], s16, v20
	v_addc_co_u32_e64 v23, s[2:3], v23, v21, s[2:3]
	global_store_dword v[22:23], v24, off
	v_subrev_u32_e32 v22, s9, v17
	v_ashrrev_i32_e32 v23, 31, v22
	s_and_b64 s[2:3], s[18:19], s[4:5]
	v_lshlrev_b64 v[18:19], 3, v[18:19]
	v_cndmask_b32_e64 v23, 0, v23, s[2:3]
	v_cndmask_b32_e64 v22, 16, v22, s[2:3]
	v_mov_b32_e32 v25, s13
	v_add_co_u32_e64 v18, s[2:3], s12, v18
	v_addc_co_u32_e64 v19, s[2:3], v25, v19, s[2:3]
	global_store_dwordx2 v[18:19], v[22:23], off
	v_mov_b32_e32 v19, s15
	v_add_co_u32_e64 v18, s[2:3], s14, v20
	v_addc_co_u32_e64 v19, s[2:3], v19, v21, s[2:3]
	global_store_dword v[18:19], v16, off
	v_add_f32_e32 v18, v13, v24
	v_cndmask_b32_e32 v13, v13, v18, vcc
	s_or_b64 exec, exec, s[6:7]
	s_add_i32 s23, s23, 1
	s_cmp_ge_i32 s23, s8
	s_cbranch_scc1 .LBB53_9
.LBB53_13:                              ;   in Loop: Header=BB53_10 Depth=1
	s_waitcnt lgkmcnt(0)
	v_ashrrev_i32_e32 v19, 31, v17
	v_lshrrev_b32_e32 v18, 30, v19
	v_add_u32_e32 v18, v17, v18
	v_ashrrev_i32_e32 v18, 2, v18
	v_lshrrev_b32_e32 v20, 30, v18
	v_add_u32_e32 v20, v18, v20
	v_and_b32_e32 v20, -4, v20
	v_sub_u32_e32 v20, v18, v20
	v_cmp_eq_u32_e64 s[2:3], v9, v20
	s_and_saveexec_b64 s[4:5], s[2:3]
	s_cbranch_execz .LBB53_8
; %bb.14:                               ;   in Loop: Header=BB53_10 Depth=1
	v_lshrrev_b32_e32 v19, 28, v19
	v_add_u32_e32 v19, v17, v19
	v_lshlrev_b32_e32 v18, 2, v18
	v_ashrrev_i32_e32 v19, 4, v19
	v_sub_u32_e32 v17, v17, v18
	v_lshl_add_u32 v17, v19, 2, v17
	v_cmp_ne_u32_e64 s[2:3], 3, v17
	v_cndmask_b32_e64 v7, v15, v7, s[2:3]
	v_cmp_ne_u32_e64 s[2:3], 2, v17
	v_cndmask_b32_e64 v6, v15, v6, s[2:3]
	;; [unrolled: 2-line block ×4, first 2 shown]
	s_branch .LBB53_8
.LBB53_15:
                                        ; implicit-def: $vgpr4_vgpr5_vgpr6_vgpr7
	s_andn2_b64 vcc, exec, s[6:7]
	s_cbranch_vccz .LBB53_5
	s_branch .LBB53_6
.LBB53_16:
	v_mov_b32_e32 v13, 0
.LBB53_17:
	v_cmp_eq_u32_e64 s[0:1], 0, v9
	s_and_b64 s[0:1], s[0:1], vcc
	s_and_b64 exec, exec, s[0:1]
	s_cbranch_execz .LBB53_26
; %bb.18:
	s_andn2_b64 vcc, exec, s[20:21]
	s_cbranch_vccnz .LBB53_26
; %bb.19:
	v_cmp_lt_f32_e32 vcc, 0, v13
	s_mov_b32 s2, 0
	v_cndmask_b32_e32 v0, 1.0, v13, vcc
	v_mul_lo_u32 v4, v8, s8
	s_cmp_eq_u32 s8, 1
	s_mov_b64 s[0:1], -1
	s_cbranch_scc1 .LBB53_23
; %bb.20:
	s_and_b32 s2, s8, 0x7ffffffe
	v_mov_b32_e32 v1, v0
	v_mov_b32_e32 v5, s17
	s_mov_b32 s3, s2
	v_mov_b32_e32 v2, v4
.LBB53_21:                              ; =>This Inner Loop Header: Depth=1
	v_ashrrev_i32_e32 v3, 31, v2
	v_lshlrev_b64 v[6:7], 2, v[2:3]
	v_add_co_u32_e32 v6, vcc, s16, v6
	v_addc_co_u32_e32 v7, vcc, v5, v7, vcc
	global_load_dwordx2 v[8:9], v[6:7], off
	s_add_i32 s3, s3, -2
	s_cmp_lg_u32 s3, 0
	v_add_u32_e32 v2, 2, v2
	s_waitcnt vmcnt(0)
	v_div_scale_f32 v3, s[0:1], v1, v1, v9
	v_div_scale_f32 v11, s[0:1], v0, v0, v8
	v_rcp_f32_e32 v12, v3
	v_rcp_f32_e32 v13, v11
	v_div_scale_f32 v10, vcc, v9, v1, v9
	v_fma_f32 v15, -v3, v12, 1.0
	v_fma_f32 v16, -v11, v13, 1.0
	v_fmac_f32_e32 v12, v15, v12
	v_div_scale_f32 v14, s[0:1], v8, v0, v8
	v_fmac_f32_e32 v13, v16, v13
	v_mul_f32_e32 v15, v10, v12
	v_mul_f32_e32 v16, v14, v13
	v_fma_f32 v17, -v3, v15, v10
	v_fma_f32 v18, -v11, v16, v14
	v_fmac_f32_e32 v15, v17, v12
	v_fmac_f32_e32 v16, v18, v13
	v_fma_f32 v3, -v3, v15, v10
	v_fma_f32 v10, -v11, v16, v14
	v_div_fmas_f32 v3, v3, v12, v15
	s_mov_b64 vcc, s[0:1]
	v_div_fixup_f32 v9, v3, v1, v9
	v_div_fmas_f32 v3, v10, v13, v16
	v_div_fixup_f32 v8, v3, v0, v8
	global_store_dwordx2 v[6:7], v[8:9], off
	s_cbranch_scc1 .LBB53_21
; %bb.22:
	s_cmp_lg_u32 s2, s8
	s_cselect_b64 s[0:1], -1, 0
.LBB53_23:
	s_and_b64 vcc, exec, s[0:1]
	s_cbranch_vccz .LBB53_26
; %bb.24:
	v_ashrrev_i32_e32 v1, 31, v4
	v_add_co_u32_e32 v2, vcc, s2, v4
	v_addc_co_u32_e32 v3, vcc, 0, v1, vcc
	v_lshlrev_b64 v[2:3], 2, v[2:3]
	v_mov_b32_e32 v1, s17
	v_add_co_u32_e32 v2, vcc, s16, v2
	s_sub_i32 s0, s8, s2
	v_addc_co_u32_e32 v3, vcc, v1, v3, vcc
.LBB53_25:                              ; =>This Inner Loop Header: Depth=1
	global_load_dword v1, v[2:3], off
	s_add_i32 s0, s0, -1
	s_cmp_lg_u32 s0, 0
	s_waitcnt vmcnt(0)
	v_div_scale_f32 v4, s[2:3], v0, v0, v1
	v_rcp_f32_e32 v5, v4
	v_div_scale_f32 v6, vcc, v1, v0, v1
	v_fma_f32 v7, -v4, v5, 1.0
	v_fmac_f32_e32 v5, v7, v5
	v_mul_f32_e32 v7, v6, v5
	v_fma_f32 v8, -v4, v7, v6
	v_fmac_f32_e32 v7, v8, v5
	v_fma_f32 v4, -v4, v7, v6
	v_div_fmas_f32 v4, v4, v5, v7
	v_div_fixup_f32 v1, v4, v0, v1
	global_store_dword v[2:3], v1, off
	v_add_co_u32_e32 v2, vcc, 4, v2
	v_addc_co_u32_e32 v3, vcc, 0, v3, vcc
	s_cbranch_scc1 .LBB53_25
.LBB53_26:
	s_endpgm
	.section	.rodata,"a",@progbits
	.p2align	6, 0x0
	.amdhsa_kernel _ZN4vllm3moe10topkGatingILi4ELi16ELi4ELi16ELi64ElfLNS0_11ScoringFuncE0EEEvPKT5_PKbPfiPT4_PiiiibPKf
		.amdhsa_group_segment_fixed_size 0
		.amdhsa_private_segment_fixed_size 0
		.amdhsa_kernarg_size 72
		.amdhsa_user_sgpr_count 6
		.amdhsa_user_sgpr_private_segment_buffer 1
		.amdhsa_user_sgpr_dispatch_ptr 0
		.amdhsa_user_sgpr_queue_ptr 0
		.amdhsa_user_sgpr_kernarg_segment_ptr 1
		.amdhsa_user_sgpr_dispatch_id 0
		.amdhsa_user_sgpr_flat_scratch_init 0
		.amdhsa_user_sgpr_kernarg_preload_length 0
		.amdhsa_user_sgpr_kernarg_preload_offset 0
		.amdhsa_user_sgpr_private_segment_size 0
		.amdhsa_uses_dynamic_stack 0
		.amdhsa_system_sgpr_private_segment_wavefront_offset 0
		.amdhsa_system_sgpr_workgroup_id_x 1
		.amdhsa_system_sgpr_workgroup_id_y 0
		.amdhsa_system_sgpr_workgroup_id_z 0
		.amdhsa_system_sgpr_workgroup_info 0
		.amdhsa_system_vgpr_workitem_id 1
		.amdhsa_next_free_vgpr 26
		.amdhsa_next_free_sgpr 24
		.amdhsa_accum_offset 28
		.amdhsa_reserve_vcc 1
		.amdhsa_reserve_flat_scratch 0
		.amdhsa_float_round_mode_32 0
		.amdhsa_float_round_mode_16_64 0
		.amdhsa_float_denorm_mode_32 3
		.amdhsa_float_denorm_mode_16_64 3
		.amdhsa_dx10_clamp 1
		.amdhsa_ieee_mode 1
		.amdhsa_fp16_overflow 0
		.amdhsa_tg_split 0
		.amdhsa_exception_fp_ieee_invalid_op 0
		.amdhsa_exception_fp_denorm_src 0
		.amdhsa_exception_fp_ieee_div_zero 0
		.amdhsa_exception_fp_ieee_overflow 0
		.amdhsa_exception_fp_ieee_underflow 0
		.amdhsa_exception_fp_ieee_inexact 0
		.amdhsa_exception_int_div_zero 0
	.end_amdhsa_kernel
	.section	.text._ZN4vllm3moe10topkGatingILi4ELi16ELi4ELi16ELi64ElfLNS0_11ScoringFuncE0EEEvPKT5_PKbPfiPT4_PiiiibPKf,"axG",@progbits,_ZN4vllm3moe10topkGatingILi4ELi16ELi4ELi16ELi64ElfLNS0_11ScoringFuncE0EEEvPKT5_PKbPfiPT4_PiiiibPKf,comdat
.Lfunc_end53:
	.size	_ZN4vllm3moe10topkGatingILi4ELi16ELi4ELi16ELi64ElfLNS0_11ScoringFuncE0EEEvPKT5_PKbPfiPT4_PiiiibPKf, .Lfunc_end53-_ZN4vllm3moe10topkGatingILi4ELi16ELi4ELi16ELi64ElfLNS0_11ScoringFuncE0EEEvPKT5_PKbPfiPT4_PiiiibPKf
                                        ; -- End function
	.section	.AMDGPU.csdata,"",@progbits
; Kernel info:
; codeLenInByte = 2092
; NumSgprs: 28
; NumVgprs: 26
; NumAgprs: 0
; TotalNumVgprs: 26
; ScratchSize: 0
; MemoryBound: 0
; FloatMode: 240
; IeeeMode: 1
; LDSByteSize: 0 bytes/workgroup (compile time only)
; SGPRBlocks: 3
; VGPRBlocks: 3
; NumSGPRsForWavesPerEU: 28
; NumVGPRsForWavesPerEU: 26
; AccumOffset: 28
; Occupancy: 8
; WaveLimiterHint : 0
; COMPUTE_PGM_RSRC2:SCRATCH_EN: 0
; COMPUTE_PGM_RSRC2:USER_SGPR: 6
; COMPUTE_PGM_RSRC2:TRAP_HANDLER: 0
; COMPUTE_PGM_RSRC2:TGID_X_EN: 1
; COMPUTE_PGM_RSRC2:TGID_Y_EN: 0
; COMPUTE_PGM_RSRC2:TGID_Z_EN: 0
; COMPUTE_PGM_RSRC2:TIDIG_COMP_CNT: 1
; COMPUTE_PGM_RSRC3_GFX90A:ACCUM_OFFSET: 6
; COMPUTE_PGM_RSRC3_GFX90A:TG_SPLIT: 0
	.section	.text._ZN4vllm3moe10topkGatingILi4ELi16ELi4ELi16ELi32ElfLNS0_11ScoringFuncE0EEEvPKT5_PKbPfiPT4_PiiiibPKf,"axG",@progbits,_ZN4vllm3moe10topkGatingILi4ELi16ELi4ELi16ELi32ElfLNS0_11ScoringFuncE0EEEvPKT5_PKbPfiPT4_PiiiibPKf,comdat
	.protected	_ZN4vllm3moe10topkGatingILi4ELi16ELi4ELi16ELi32ElfLNS0_11ScoringFuncE0EEEvPKT5_PKbPfiPT4_PiiiibPKf ; -- Begin function _ZN4vllm3moe10topkGatingILi4ELi16ELi4ELi16ELi32ElfLNS0_11ScoringFuncE0EEEvPKT5_PKbPfiPT4_PiiiibPKf
	.globl	_ZN4vllm3moe10topkGatingILi4ELi16ELi4ELi16ELi32ElfLNS0_11ScoringFuncE0EEEvPKT5_PKbPfiPT4_PiiiibPKf
	.p2align	8
	.type	_ZN4vllm3moe10topkGatingILi4ELi16ELi4ELi16ELi32ElfLNS0_11ScoringFuncE0EEEvPKT5_PKbPfiPT4_PiiiibPKf,@function
_ZN4vllm3moe10topkGatingILi4ELi16ELi4ELi16ELi32ElfLNS0_11ScoringFuncE0EEEvPKT5_PKbPfiPT4_PiiiibPKf: ; @_ZN4vllm3moe10topkGatingILi4ELi16ELi4ELi16ELi32ElfLNS0_11ScoringFuncE0EEEvPKT5_PKbPfiPT4_PiiiibPKf
; %bb.0:
	s_load_dword s22, s[4:5], 0x18
	v_bfe_u32 v1, v0, 10, 10
	v_and_b32_e32 v0, 0x3ff, v0
	s_lshl_b32 s0, s6, 5
	v_lshlrev_b32_e32 v1, 3, v1
	v_lshrrev_b32_e32 v2, 2, v0
	v_add3_u32 v8, s0, v1, v2
	s_waitcnt lgkmcnt(0)
	v_cmp_gt_i32_e32 vcc, s22, v8
	s_and_saveexec_b64 s[0:1], vcc
	s_cbranch_execz .LBB54_26
; %bb.1:
	s_load_dwordx4 s[0:3], s[4:5], 0x0
	s_load_dwordx2 s[16:17], s[4:5], 0x10
	s_mov_b64 s[6:7], -1
	s_mov_b64 s[18:19], -1
	s_waitcnt lgkmcnt(0)
	s_cmp_eq_u64 s[2:3], 0
	s_cbranch_scc1 .LBB54_3
; %bb.2:
	v_ashrrev_i32_e32 v1, 31, v8
	v_mov_b32_e32 v3, s3
	v_add_co_u32_e32 v2, vcc, s2, v8
	v_addc_co_u32_e32 v3, vcc, v3, v1, vcc
	global_load_ubyte v1, v[2:3], off
	s_waitcnt vmcnt(0)
	v_and_b32_e32 v1, 1, v1
	v_cmp_eq_u32_e32 vcc, 1, v1
	s_xor_b64 s[2:3], vcc, -1
	s_orn2_b64 s[18:19], s[2:3], exec
.LBB54_3:
	v_lshlrev_b32_e32 v2, 4, v8
	v_ashrrev_i32_e32 v3, 31, v2
	v_lshlrev_b64 v[2:3], 2, v[2:3]
	v_mov_b32_e32 v1, s1
	v_add_co_u32_e32 v2, vcc, s0, v2
	v_and_b32_e32 v9, 3, v0
	v_addc_co_u32_e32 v1, vcc, v1, v3, vcc
	v_lshlrev_b32_e32 v0, 4, v9
	v_add_co_u32_e32 v0, vcc, v2, v0
	v_addc_co_u32_e32 v1, vcc, 0, v1, vcc
	global_load_dwordx4 v[0:3], v[0:1], off
	v_mbcnt_lo_u32_b32 v4, -1, 0
	v_mbcnt_hi_u32_b32 v4, -1, v4
	v_and_b32_e32 v5, 0x7c, v4
	v_xor_b32_e32 v6, 2, v4
	v_add_u32_e32 v5, 4, v5
	v_cmp_lt_i32_e32 vcc, v6, v5
	v_cndmask_b32_e32 v6, v4, v6, vcc
	v_lshlrev_b32_e32 v10, 2, v6
	v_xor_b32_e32 v11, 1, v4
	v_cmp_lt_i32_e32 vcc, v11, v5
	v_cndmask_b32_e32 v4, v4, v11, vcc
	v_lshlrev_b32_e32 v11, 2, v4
	s_mov_b32 s0, 0x3fb8aa3b
	s_mov_b32 s1, 0xc2ce8ed0
	;; [unrolled: 1-line block ×3, first 2 shown]
	s_movk_i32 s8, 0x1f8
	s_waitcnt vmcnt(0)
	v_max_f32_e32 v6, v1, v1
	v_max_f32_e32 v7, v0, v0
	;; [unrolled: 1-line block ×3, first 2 shown]
	v_max3_f32 v6, v6, v2, v3
	ds_bpermute_b32 v7, v10, v6
	s_waitcnt lgkmcnt(0)
	v_max_f32_e32 v4, v7, v7
	v_max_f32_e32 v4, v6, v4
	ds_bpermute_b32 v5, v11, v4
	v_mov_b32_e32 v6, 0x7f800000
	s_waitcnt lgkmcnt(0)
	v_max_f32_e32 v5, v5, v5
	v_max_f32_e32 v4, v4, v5
	v_pk_add_f32 v[0:1], v[0:1], v[4:5] op_sel_hi:[1,0] neg_lo:[0,1] neg_hi:[0,1]
	v_sub_f32_e32 v2, v2, v4
	v_sub_f32_e32 v3, v3, v4
	v_mul_f32_e32 v4, 0x3fb8aa3b, v1
	v_mul_f32_e32 v5, 0x3fb8aa3b, v0
	v_fma_f32 v13, v1, s0, -v4
	v_rndne_f32_e32 v14, v4
	v_mul_f32_e32 v7, 0x3fb8aa3b, v2
	v_fma_f32 v15, v0, s0, -v5
	v_rndne_f32_e32 v16, v5
	v_fmac_f32_e32 v13, 0x32a5705f, v1
	v_sub_f32_e32 v4, v4, v14
	v_mul_f32_e32 v12, 0x3fb8aa3b, v3
	v_fma_f32 v17, v2, s0, -v7
	v_rndne_f32_e32 v18, v7
	v_fmac_f32_e32 v15, 0x32a5705f, v0
	v_sub_f32_e32 v5, v5, v16
	v_add_f32_e32 v4, v4, v13
	v_fma_f32 v19, v3, s0, -v12
	v_rndne_f32_e32 v20, v12
	v_cvt_i32_f32_e32 v14, v14
	v_fmac_f32_e32 v17, 0x32a5705f, v2
	v_sub_f32_e32 v7, v7, v18
	v_add_f32_e32 v5, v5, v15
	v_exp_f32_e32 v4, v4
	v_cvt_i32_f32_e32 v16, v16
	v_fmac_f32_e32 v19, 0x32a5705f, v3
	v_sub_f32_e32 v12, v12, v20
	v_add_f32_e32 v7, v7, v17
	v_exp_f32_e32 v5, v5
	v_cvt_i32_f32_e32 v18, v18
	v_add_f32_e32 v12, v12, v19
	v_exp_f32_e32 v7, v7
	v_cvt_i32_f32_e32 v20, v20
	v_exp_f32_e32 v12, v12
	v_ldexp_f32 v4, v4, v14
	v_cmp_ngt_f32_e32 vcc, s1, v1
	v_ldexp_f32 v5, v5, v16
	v_cndmask_b32_e32 v4, 0, v4, vcc
	v_cmp_ngt_f32_e32 vcc, s1, v0
	v_ldexp_f32 v7, v7, v18
	v_cndmask_b32_e32 v5, 0, v5, vcc
	;; [unrolled: 3-line block ×3, first 2 shown]
	v_cmp_ngt_f32_e32 vcc, s1, v3
	v_cndmask_b32_e32 v12, 0, v12, vcc
	v_cmp_nlt_f32_e32 vcc, s2, v1
	v_cndmask_b32_e32 v1, v6, v4, vcc
	v_cmp_nlt_f32_e32 vcc, s2, v0
	;; [unrolled: 2-line block ×4, first 2 shown]
	v_add_f32_e32 v4, v0, v1
	v_cndmask_b32_e32 v3, v6, v12, vcc
	v_add_f32_e32 v4, v4, v2
	v_add_f32_e32 v4, v4, v3
	ds_bpermute_b32 v5, v10, v4
	s_load_dwordx2 s[0:1], s[4:5], 0x40
	v_lshlrev_b32_e32 v12, 2, v9
	s_waitcnt lgkmcnt(0)
	v_add_f32_e32 v4, v4, v5
	ds_bpermute_b32 v5, v11, v4
	s_cmp_eq_u64 s[0:1], 0
	s_waitcnt lgkmcnt(0)
	v_add_f32_e32 v4, v4, v5
	v_div_scale_f32 v5, s[2:3], v4, v4, 1.0
	v_rcp_f32_e32 v6, v5
	v_div_scale_f32 v7, vcc, 1.0, v4, 1.0
	v_fma_f32 v13, -v5, v6, 1.0
	v_fmac_f32_e32 v6, v13, v6
	v_mul_f32_e32 v13, v7, v6
	v_fma_f32 v14, -v5, v13, v7
	v_fmac_f32_e32 v13, v14, v6
	v_fma_f32 v5, -v5, v13, v7
	v_div_fmas_f32 v5, v5, v6, v13
	v_div_fixup_f32 v4, v5, v4, 1.0
	v_mul_f32_e32 v0, v4, v0
	v_mul_f32_e32 v1, v4, v1
	v_cmp_class_f32_e64 vcc, v0, s8
	v_mul_f32_e32 v2, v4, v2
	v_cndmask_b32_e32 v0, 0, v0, vcc
	v_cmp_class_f32_e64 vcc, v1, s8
	v_mul_f32_e32 v3, v4, v3
	v_cndmask_b32_e32 v1, 0, v1, vcc
	v_cmp_class_f32_e64 vcc, v2, s8
	v_cndmask_b32_e32 v2, 0, v2, vcc
	v_cmp_class_f32_e64 vcc, v3, s8
	v_cndmask_b32_e32 v3, 0, v3, vcc
	s_cbranch_scc1 .LBB54_15
; %bb.4:
	v_lshlrev_b32_e32 v4, 2, v12
	global_load_dwordx4 v[4:7], v4, s[0:1]
	s_waitcnt vmcnt(0)
	v_pk_add_f32 v[4:5], v[4:5], v[0:1]
	v_pk_add_f32 v[6:7], v[6:7], v[2:3]
	s_cbranch_execnz .LBB54_6
.LBB54_5:
	v_pk_mov_b32 v[6:7], v[2:3], v[2:3] op_sel:[0,1]
	v_pk_mov_b32 v[4:5], v[0:1], v[0:1] op_sel:[0,1]
.LBB54_6:
	s_load_dwordx4 s[8:11], s[4:5], 0x30
	s_mov_b32 s23, 0
	v_cmp_eq_u32_e64 s[0:1], 0, v9
	s_waitcnt lgkmcnt(0)
	s_bitcmp1_b32 s11, 0
	s_cselect_b64 vcc, -1, 0
	s_cmp_gt_i32 s8, 0
	s_cselect_b64 s[20:21], -1, 0
	s_cmp_lt_i32 s8, 1
	s_cbranch_scc1 .LBB54_16
; %bb.7:
	s_load_dwordx4 s[12:15], s[4:5], 0x20
	v_mul_lo_u32 v14, v8, s8
	v_mov_b32_e32 v13, 0
	v_mov_b32_e32 v15, 0xc61c4000
	;; [unrolled: 1-line block ×3, first 2 shown]
	s_branch .LBB54_10
.LBB54_8:                               ;   in Loop: Header=BB54_10 Depth=1
	s_or_b64 exec, exec, s[4:5]
.LBB54_9:                               ;   in Loop: Header=BB54_10 Depth=1
	s_cmp_eq_u32 s8, s23
	v_add_u32_e32 v16, s22, v16
	s_cbranch_scc1 .LBB54_17
.LBB54_10:                              ; =>This Inner Loop Header: Depth=1
	v_cmp_gt_f32_e64 s[2:3], v5, v4
	v_cndmask_b32_e64 v17, v4, v5, s[2:3]
	v_cndmask_b32_e64 v18, v0, v1, s[2:3]
	s_waitcnt lgkmcnt(0)
	v_cndmask_b32_e64 v19, 0, 1, s[2:3]
	v_cmp_gt_f32_e64 s[2:3], v6, v17
	v_cndmask_b32_e64 v17, v17, v6, s[2:3]
	v_cndmask_b32_e64 v18, v18, v2, s[2:3]
	;; [unrolled: 1-line block ×3, first 2 shown]
	v_cmp_gt_f32_e64 s[2:3], v7, v17
	v_cndmask_b32_e64 v19, v19, 3, s[2:3]
	v_cndmask_b32_e64 v17, v17, v7, s[2:3]
	v_or_b32_e32 v19, v12, v19
	ds_bpermute_b32 v20, v10, v17
	ds_bpermute_b32 v21, v10, v19
	v_cndmask_b32_e64 v18, v18, v3, s[2:3]
	ds_bpermute_b32 v22, v10, v18
	s_waitcnt lgkmcnt(0)
	v_cmp_eq_f32_e64 s[4:5], v17, v20
	v_cmp_lt_i32_e64 s[6:7], v21, v19
	v_cmp_lt_f32_e64 s[2:3], v17, v20
	s_and_b64 s[4:5], s[4:5], s[6:7]
	s_or_b64 s[2:3], s[2:3], s[4:5]
	v_cndmask_b32_e64 v21, v19, v21, s[2:3]
	v_cndmask_b32_e64 v17, v17, v20, s[2:3]
	ds_bpermute_b32 v20, v11, v17
	ds_bpermute_b32 v23, v11, v21
	v_cndmask_b32_e64 v18, v18, v22, s[2:3]
	ds_bpermute_b32 v19, v11, v18
	s_waitcnt lgkmcnt(2)
	v_cmp_eq_f32_e64 s[4:5], v17, v20
	s_waitcnt lgkmcnt(1)
	v_cmp_lt_i32_e64 s[6:7], v23, v21
	v_cmp_lt_f32_e64 s[2:3], v17, v20
	s_and_b64 s[4:5], s[4:5], s[6:7]
	s_or_b64 s[2:3], s[2:3], s[4:5]
	v_cndmask_b32_e64 v17, v21, v23, s[2:3]
	s_and_saveexec_b64 s[6:7], s[0:1]
	s_cbranch_execnz .LBB54_12
; %bb.11:                               ;   in Loop: Header=BB54_10 Depth=1
	s_or_b64 exec, exec, s[6:7]
	s_add_i32 s23, s23, 1
	s_cmp_ge_i32 s23, s8
	s_cbranch_scc1 .LBB54_9
	s_branch .LBB54_13
.LBB54_12:                              ;   in Loop: Header=BB54_10 Depth=1
	s_waitcnt lgkmcnt(0)
	v_cndmask_b32_e64 v24, v18, v19, s[2:3]
	v_add_u32_e32 v18, s23, v14
	v_ashrrev_i32_e32 v19, 31, v18
	v_cmp_le_i32_e64 s[2:3], s9, v17
	v_cmp_gt_i32_e64 s[4:5], s10, v17
	v_lshlrev_b64 v[20:21], 2, v[18:19]
	s_and_b64 s[4:5], s[2:3], s[4:5]
	v_mov_b32_e32 v23, s17
	v_add_co_u32_e64 v22, s[2:3], s16, v20
	v_addc_co_u32_e64 v23, s[2:3], v23, v21, s[2:3]
	global_store_dword v[22:23], v24, off
	v_subrev_u32_e32 v22, s9, v17
	v_ashrrev_i32_e32 v23, 31, v22
	s_and_b64 s[2:3], s[18:19], s[4:5]
	v_lshlrev_b64 v[18:19], 3, v[18:19]
	v_cndmask_b32_e64 v23, 0, v23, s[2:3]
	v_cndmask_b32_e64 v22, 16, v22, s[2:3]
	v_mov_b32_e32 v25, s13
	v_add_co_u32_e64 v18, s[2:3], s12, v18
	v_addc_co_u32_e64 v19, s[2:3], v25, v19, s[2:3]
	global_store_dwordx2 v[18:19], v[22:23], off
	v_mov_b32_e32 v19, s15
	v_add_co_u32_e64 v18, s[2:3], s14, v20
	v_addc_co_u32_e64 v19, s[2:3], v19, v21, s[2:3]
	global_store_dword v[18:19], v16, off
	v_add_f32_e32 v18, v13, v24
	v_cndmask_b32_e32 v13, v13, v18, vcc
	s_or_b64 exec, exec, s[6:7]
	s_add_i32 s23, s23, 1
	s_cmp_ge_i32 s23, s8
	s_cbranch_scc1 .LBB54_9
.LBB54_13:                              ;   in Loop: Header=BB54_10 Depth=1
	s_waitcnt lgkmcnt(0)
	v_ashrrev_i32_e32 v19, 31, v17
	v_lshrrev_b32_e32 v18, 30, v19
	v_add_u32_e32 v18, v17, v18
	v_ashrrev_i32_e32 v18, 2, v18
	v_lshrrev_b32_e32 v20, 30, v18
	v_add_u32_e32 v20, v18, v20
	v_and_b32_e32 v20, -4, v20
	v_sub_u32_e32 v20, v18, v20
	v_cmp_eq_u32_e64 s[2:3], v9, v20
	s_and_saveexec_b64 s[4:5], s[2:3]
	s_cbranch_execz .LBB54_8
; %bb.14:                               ;   in Loop: Header=BB54_10 Depth=1
	v_lshrrev_b32_e32 v19, 28, v19
	v_add_u32_e32 v19, v17, v19
	v_lshlrev_b32_e32 v18, 2, v18
	v_ashrrev_i32_e32 v19, 4, v19
	v_sub_u32_e32 v17, v17, v18
	v_lshl_add_u32 v17, v19, 2, v17
	v_cmp_ne_u32_e64 s[2:3], 3, v17
	v_cndmask_b32_e64 v7, v15, v7, s[2:3]
	v_cmp_ne_u32_e64 s[2:3], 2, v17
	v_cndmask_b32_e64 v6, v15, v6, s[2:3]
	;; [unrolled: 2-line block ×4, first 2 shown]
	s_branch .LBB54_8
.LBB54_15:
                                        ; implicit-def: $vgpr4_vgpr5_vgpr6_vgpr7
	s_andn2_b64 vcc, exec, s[6:7]
	s_cbranch_vccz .LBB54_5
	s_branch .LBB54_6
.LBB54_16:
	v_mov_b32_e32 v13, 0
.LBB54_17:
	v_cmp_eq_u32_e64 s[0:1], 0, v9
	s_and_b64 s[0:1], s[0:1], vcc
	s_and_b64 exec, exec, s[0:1]
	s_cbranch_execz .LBB54_26
; %bb.18:
	s_andn2_b64 vcc, exec, s[20:21]
	s_cbranch_vccnz .LBB54_26
; %bb.19:
	v_cmp_lt_f32_e32 vcc, 0, v13
	s_mov_b32 s2, 0
	v_cndmask_b32_e32 v0, 1.0, v13, vcc
	v_mul_lo_u32 v4, v8, s8
	s_cmp_eq_u32 s8, 1
	s_mov_b64 s[0:1], -1
	s_cbranch_scc1 .LBB54_23
; %bb.20:
	s_and_b32 s2, s8, 0x7ffffffe
	v_mov_b32_e32 v1, v0
	v_mov_b32_e32 v5, s17
	s_mov_b32 s3, s2
	v_mov_b32_e32 v2, v4
.LBB54_21:                              ; =>This Inner Loop Header: Depth=1
	v_ashrrev_i32_e32 v3, 31, v2
	v_lshlrev_b64 v[6:7], 2, v[2:3]
	v_add_co_u32_e32 v6, vcc, s16, v6
	v_addc_co_u32_e32 v7, vcc, v5, v7, vcc
	global_load_dwordx2 v[8:9], v[6:7], off
	s_add_i32 s3, s3, -2
	s_cmp_lg_u32 s3, 0
	v_add_u32_e32 v2, 2, v2
	s_waitcnt vmcnt(0)
	v_div_scale_f32 v3, s[0:1], v1, v1, v9
	v_div_scale_f32 v11, s[0:1], v0, v0, v8
	v_rcp_f32_e32 v12, v3
	v_rcp_f32_e32 v13, v11
	v_div_scale_f32 v10, vcc, v9, v1, v9
	v_fma_f32 v15, -v3, v12, 1.0
	v_fma_f32 v16, -v11, v13, 1.0
	v_fmac_f32_e32 v12, v15, v12
	v_div_scale_f32 v14, s[0:1], v8, v0, v8
	v_fmac_f32_e32 v13, v16, v13
	v_mul_f32_e32 v15, v10, v12
	v_mul_f32_e32 v16, v14, v13
	v_fma_f32 v17, -v3, v15, v10
	v_fma_f32 v18, -v11, v16, v14
	v_fmac_f32_e32 v15, v17, v12
	v_fmac_f32_e32 v16, v18, v13
	v_fma_f32 v3, -v3, v15, v10
	v_fma_f32 v10, -v11, v16, v14
	v_div_fmas_f32 v3, v3, v12, v15
	s_mov_b64 vcc, s[0:1]
	v_div_fixup_f32 v9, v3, v1, v9
	v_div_fmas_f32 v3, v10, v13, v16
	v_div_fixup_f32 v8, v3, v0, v8
	global_store_dwordx2 v[6:7], v[8:9], off
	s_cbranch_scc1 .LBB54_21
; %bb.22:
	s_cmp_lg_u32 s2, s8
	s_cselect_b64 s[0:1], -1, 0
.LBB54_23:
	s_and_b64 vcc, exec, s[0:1]
	s_cbranch_vccz .LBB54_26
; %bb.24:
	v_ashrrev_i32_e32 v1, 31, v4
	v_add_co_u32_e32 v2, vcc, s2, v4
	v_addc_co_u32_e32 v3, vcc, 0, v1, vcc
	v_lshlrev_b64 v[2:3], 2, v[2:3]
	v_mov_b32_e32 v1, s17
	v_add_co_u32_e32 v2, vcc, s16, v2
	s_sub_i32 s0, s8, s2
	v_addc_co_u32_e32 v3, vcc, v1, v3, vcc
.LBB54_25:                              ; =>This Inner Loop Header: Depth=1
	global_load_dword v1, v[2:3], off
	s_add_i32 s0, s0, -1
	s_cmp_lg_u32 s0, 0
	s_waitcnt vmcnt(0)
	v_div_scale_f32 v4, s[2:3], v0, v0, v1
	v_rcp_f32_e32 v5, v4
	v_div_scale_f32 v6, vcc, v1, v0, v1
	v_fma_f32 v7, -v4, v5, 1.0
	v_fmac_f32_e32 v5, v7, v5
	v_mul_f32_e32 v7, v6, v5
	v_fma_f32 v8, -v4, v7, v6
	v_fmac_f32_e32 v7, v8, v5
	v_fma_f32 v4, -v4, v7, v6
	v_div_fmas_f32 v4, v4, v5, v7
	v_div_fixup_f32 v1, v4, v0, v1
	global_store_dword v[2:3], v1, off
	v_add_co_u32_e32 v2, vcc, 4, v2
	v_addc_co_u32_e32 v3, vcc, 0, v3, vcc
	s_cbranch_scc1 .LBB54_25
.LBB54_26:
	s_endpgm
	.section	.rodata,"a",@progbits
	.p2align	6, 0x0
	.amdhsa_kernel _ZN4vllm3moe10topkGatingILi4ELi16ELi4ELi16ELi32ElfLNS0_11ScoringFuncE0EEEvPKT5_PKbPfiPT4_PiiiibPKf
		.amdhsa_group_segment_fixed_size 0
		.amdhsa_private_segment_fixed_size 0
		.amdhsa_kernarg_size 72
		.amdhsa_user_sgpr_count 6
		.amdhsa_user_sgpr_private_segment_buffer 1
		.amdhsa_user_sgpr_dispatch_ptr 0
		.amdhsa_user_sgpr_queue_ptr 0
		.amdhsa_user_sgpr_kernarg_segment_ptr 1
		.amdhsa_user_sgpr_dispatch_id 0
		.amdhsa_user_sgpr_flat_scratch_init 0
		.amdhsa_user_sgpr_kernarg_preload_length 0
		.amdhsa_user_sgpr_kernarg_preload_offset 0
		.amdhsa_user_sgpr_private_segment_size 0
		.amdhsa_uses_dynamic_stack 0
		.amdhsa_system_sgpr_private_segment_wavefront_offset 0
		.amdhsa_system_sgpr_workgroup_id_x 1
		.amdhsa_system_sgpr_workgroup_id_y 0
		.amdhsa_system_sgpr_workgroup_id_z 0
		.amdhsa_system_sgpr_workgroup_info 0
		.amdhsa_system_vgpr_workitem_id 1
		.amdhsa_next_free_vgpr 26
		.amdhsa_next_free_sgpr 24
		.amdhsa_accum_offset 28
		.amdhsa_reserve_vcc 1
		.amdhsa_reserve_flat_scratch 0
		.amdhsa_float_round_mode_32 0
		.amdhsa_float_round_mode_16_64 0
		.amdhsa_float_denorm_mode_32 3
		.amdhsa_float_denorm_mode_16_64 3
		.amdhsa_dx10_clamp 1
		.amdhsa_ieee_mode 1
		.amdhsa_fp16_overflow 0
		.amdhsa_tg_split 0
		.amdhsa_exception_fp_ieee_invalid_op 0
		.amdhsa_exception_fp_denorm_src 0
		.amdhsa_exception_fp_ieee_div_zero 0
		.amdhsa_exception_fp_ieee_overflow 0
		.amdhsa_exception_fp_ieee_underflow 0
		.amdhsa_exception_fp_ieee_inexact 0
		.amdhsa_exception_int_div_zero 0
	.end_amdhsa_kernel
	.section	.text._ZN4vllm3moe10topkGatingILi4ELi16ELi4ELi16ELi32ElfLNS0_11ScoringFuncE0EEEvPKT5_PKbPfiPT4_PiiiibPKf,"axG",@progbits,_ZN4vllm3moe10topkGatingILi4ELi16ELi4ELi16ELi32ElfLNS0_11ScoringFuncE0EEEvPKT5_PKbPfiPT4_PiiiibPKf,comdat
.Lfunc_end54:
	.size	_ZN4vllm3moe10topkGatingILi4ELi16ELi4ELi16ELi32ElfLNS0_11ScoringFuncE0EEEvPKT5_PKbPfiPT4_PiiiibPKf, .Lfunc_end54-_ZN4vllm3moe10topkGatingILi4ELi16ELi4ELi16ELi32ElfLNS0_11ScoringFuncE0EEEvPKT5_PKbPfiPT4_PiiiibPKf
                                        ; -- End function
	.section	.AMDGPU.csdata,"",@progbits
; Kernel info:
; codeLenInByte = 2092
; NumSgprs: 28
; NumVgprs: 26
; NumAgprs: 0
; TotalNumVgprs: 26
; ScratchSize: 0
; MemoryBound: 0
; FloatMode: 240
; IeeeMode: 1
; LDSByteSize: 0 bytes/workgroup (compile time only)
; SGPRBlocks: 3
; VGPRBlocks: 3
; NumSGPRsForWavesPerEU: 28
; NumVGPRsForWavesPerEU: 26
; AccumOffset: 28
; Occupancy: 8
; WaveLimiterHint : 0
; COMPUTE_PGM_RSRC2:SCRATCH_EN: 0
; COMPUTE_PGM_RSRC2:USER_SGPR: 6
; COMPUTE_PGM_RSRC2:TRAP_HANDLER: 0
; COMPUTE_PGM_RSRC2:TGID_X_EN: 1
; COMPUTE_PGM_RSRC2:TGID_Y_EN: 0
; COMPUTE_PGM_RSRC2:TGID_Z_EN: 0
; COMPUTE_PGM_RSRC2:TIDIG_COMP_CNT: 1
; COMPUTE_PGM_RSRC3_GFX90A:ACCUM_OFFSET: 6
; COMPUTE_PGM_RSRC3_GFX90A:TG_SPLIT: 0
	.section	.text._ZN4vllm3moe10topkGatingILi4ELi32ELi4ELi16ELi64ElfLNS0_11ScoringFuncE0EEEvPKT5_PKbPfiPT4_PiiiibPKf,"axG",@progbits,_ZN4vllm3moe10topkGatingILi4ELi32ELi4ELi16ELi64ElfLNS0_11ScoringFuncE0EEEvPKT5_PKbPfiPT4_PiiiibPKf,comdat
	.protected	_ZN4vllm3moe10topkGatingILi4ELi32ELi4ELi16ELi64ElfLNS0_11ScoringFuncE0EEEvPKT5_PKbPfiPT4_PiiiibPKf ; -- Begin function _ZN4vllm3moe10topkGatingILi4ELi32ELi4ELi16ELi64ElfLNS0_11ScoringFuncE0EEEvPKT5_PKbPfiPT4_PiiiibPKf
	.globl	_ZN4vllm3moe10topkGatingILi4ELi32ELi4ELi16ELi64ElfLNS0_11ScoringFuncE0EEEvPKT5_PKbPfiPT4_PiiiibPKf
	.p2align	8
	.type	_ZN4vllm3moe10topkGatingILi4ELi32ELi4ELi16ELi64ElfLNS0_11ScoringFuncE0EEEvPKT5_PKbPfiPT4_PiiiibPKf,@function
_ZN4vllm3moe10topkGatingILi4ELi32ELi4ELi16ELi64ElfLNS0_11ScoringFuncE0EEEvPKT5_PKbPfiPT4_PiiiibPKf: ; @_ZN4vllm3moe10topkGatingILi4ELi32ELi4ELi16ELi64ElfLNS0_11ScoringFuncE0EEEvPKT5_PKbPfiPT4_PiiiibPKf
; %bb.0:
	s_load_dword s24, s[4:5], 0x18
	v_bfe_u32 v1, v0, 10, 10
	v_and_b32_e32 v0, 0x3ff, v0
	s_lshl_b32 s0, s6, 5
	v_lshlrev_b32_e32 v1, 3, v1
	v_lshrrev_b32_e32 v2, 3, v0
	v_add3_u32 v9, s0, v1, v2
	s_waitcnt lgkmcnt(0)
	v_cmp_gt_i32_e32 vcc, s24, v9
	s_and_saveexec_b64 s[0:1], vcc
	s_cbranch_execz .LBB55_30
; %bb.1:
	s_load_dwordx4 s[0:3], s[4:5], 0x0
	s_load_dwordx2 s[16:17], s[4:5], 0x10
	s_mov_b64 s[6:7], -1
	s_mov_b64 s[18:19], -1
	s_waitcnt lgkmcnt(0)
	s_cmp_eq_u64 s[2:3], 0
	s_cbranch_scc1 .LBB55_3
; %bb.2:
	v_ashrrev_i32_e32 v1, 31, v9
	v_mov_b32_e32 v3, s3
	v_add_co_u32_e32 v2, vcc, s2, v9
	v_addc_co_u32_e32 v3, vcc, v3, v1, vcc
	global_load_ubyte v1, v[2:3], off
	s_waitcnt vmcnt(0)
	v_and_b32_e32 v1, 1, v1
	v_cmp_eq_u32_e32 vcc, 1, v1
	s_xor_b64 s[2:3], vcc, -1
	s_orn2_b64 s[18:19], s[2:3], exec
.LBB55_3:
	v_lshlrev_b32_e32 v2, 5, v9
	v_ashrrev_i32_e32 v3, 31, v2
	v_lshlrev_b64 v[2:3], 2, v[2:3]
	v_mov_b32_e32 v1, s1
	v_add_co_u32_e32 v2, vcc, s0, v2
	v_and_b32_e32 v13, 7, v0
	v_addc_co_u32_e32 v1, vcc, v1, v3, vcc
	v_lshlrev_b32_e32 v0, 4, v13
	v_add_co_u32_e32 v0, vcc, v2, v0
	v_addc_co_u32_e32 v1, vcc, 0, v1, vcc
	global_load_dwordx4 v[0:3], v[0:1], off
	v_mbcnt_lo_u32_b32 v4, -1, 0
	v_mbcnt_hi_u32_b32 v4, -1, v4
	v_and_b32_e32 v5, 0x78, v4
	v_xor_b32_e32 v6, 4, v4
	v_add_u32_e32 v5, 8, v5
	v_cmp_lt_i32_e32 vcc, v6, v5
	v_cndmask_b32_e32 v6, v4, v6, vcc
	v_lshlrev_b32_e32 v14, 2, v6
	v_xor_b32_e32 v8, 2, v4
	v_cmp_lt_i32_e32 vcc, v8, v5
	v_cndmask_b32_e32 v8, v4, v8, vcc
	v_lshlrev_b32_e32 v15, 2, v8
	v_xor_b32_e32 v8, 1, v4
	v_cmp_lt_i32_e32 vcc, v8, v5
	v_cndmask_b32_e32 v4, v4, v8, vcc
	v_lshlrev_b32_e32 v16, 2, v4
	s_mov_b32 s0, 0x3fb8aa3b
	s_mov_b32 s1, 0xc2ce8ed0
	;; [unrolled: 1-line block ×3, first 2 shown]
	s_movk_i32 s8, 0x1f8
	s_waitcnt vmcnt(0)
	v_max_f32_e32 v6, v1, v1
	v_max_f32_e32 v7, v0, v0
	;; [unrolled: 1-line block ×3, first 2 shown]
	v_max3_f32 v6, v6, v2, v3
	ds_bpermute_b32 v7, v14, v6
	s_waitcnt lgkmcnt(0)
	v_max_f32_e32 v7, v7, v7
	v_max_f32_e32 v6, v6, v7
	ds_bpermute_b32 v7, v15, v6
	s_waitcnt lgkmcnt(0)
	v_max_f32_e32 v4, v7, v7
	v_max_f32_e32 v4, v6, v4
	ds_bpermute_b32 v5, v16, v4
	v_mov_b32_e32 v6, 0x7f800000
	s_waitcnt lgkmcnt(0)
	v_max_f32_e32 v5, v5, v5
	v_max_f32_e32 v4, v4, v5
	v_pk_add_f32 v[0:1], v[0:1], v[4:5] op_sel_hi:[1,0] neg_lo:[0,1] neg_hi:[0,1]
	v_sub_f32_e32 v2, v2, v4
	v_sub_f32_e32 v3, v3, v4
	v_mul_f32_e32 v4, 0x3fb8aa3b, v1
	v_mul_f32_e32 v5, 0x3fb8aa3b, v0
	v_fma_f32 v10, v1, s0, -v4
	v_rndne_f32_e32 v11, v4
	v_mul_f32_e32 v7, 0x3fb8aa3b, v2
	v_fma_f32 v12, v0, s0, -v5
	v_rndne_f32_e32 v17, v5
	v_fmac_f32_e32 v10, 0x32a5705f, v1
	v_sub_f32_e32 v4, v4, v11
	v_mul_f32_e32 v8, 0x3fb8aa3b, v3
	v_fma_f32 v18, v2, s0, -v7
	v_rndne_f32_e32 v19, v7
	v_fmac_f32_e32 v12, 0x32a5705f, v0
	v_sub_f32_e32 v5, v5, v17
	v_add_f32_e32 v4, v4, v10
	v_fma_f32 v20, v3, s0, -v8
	v_rndne_f32_e32 v21, v8
	v_cvt_i32_f32_e32 v11, v11
	v_fmac_f32_e32 v18, 0x32a5705f, v2
	v_sub_f32_e32 v7, v7, v19
	v_add_f32_e32 v5, v5, v12
	v_exp_f32_e32 v4, v4
	v_cvt_i32_f32_e32 v17, v17
	v_fmac_f32_e32 v20, 0x32a5705f, v3
	v_sub_f32_e32 v8, v8, v21
	v_add_f32_e32 v7, v7, v18
	v_exp_f32_e32 v5, v5
	v_cvt_i32_f32_e32 v19, v19
	v_add_f32_e32 v8, v8, v20
	v_exp_f32_e32 v7, v7
	v_cvt_i32_f32_e32 v21, v21
	v_exp_f32_e32 v8, v8
	v_ldexp_f32 v4, v4, v11
	v_cmp_ngt_f32_e32 vcc, s1, v1
	v_ldexp_f32 v5, v5, v17
	v_cndmask_b32_e32 v4, 0, v4, vcc
	v_cmp_ngt_f32_e32 vcc, s1, v0
	v_ldexp_f32 v7, v7, v19
	v_cndmask_b32_e32 v5, 0, v5, vcc
	;; [unrolled: 3-line block ×3, first 2 shown]
	v_cmp_ngt_f32_e32 vcc, s1, v3
	v_cndmask_b32_e32 v8, 0, v8, vcc
	v_cmp_nlt_f32_e32 vcc, s2, v1
	v_cndmask_b32_e32 v1, v6, v4, vcc
	v_cmp_nlt_f32_e32 vcc, s2, v0
	;; [unrolled: 2-line block ×4, first 2 shown]
	v_add_f32_e32 v4, v0, v1
	v_cndmask_b32_e32 v3, v6, v8, vcc
	v_add_f32_e32 v4, v4, v2
	v_add_f32_e32 v4, v4, v3
	ds_bpermute_b32 v5, v14, v4
	s_load_dwordx2 s[0:1], s[4:5], 0x40
	v_lshlrev_b32_e32 v17, 2, v13
	s_waitcnt lgkmcnt(0)
	v_add_f32_e32 v4, v4, v5
	ds_bpermute_b32 v5, v15, v4
	s_cmp_eq_u64 s[0:1], 0
	s_waitcnt lgkmcnt(0)
	v_add_f32_e32 v4, v4, v5
	ds_bpermute_b32 v5, v16, v4
	s_waitcnt lgkmcnt(0)
	v_add_f32_e32 v4, v4, v5
	v_div_scale_f32 v5, s[2:3], v4, v4, 1.0
	v_rcp_f32_e32 v6, v5
	v_div_scale_f32 v7, vcc, 1.0, v4, 1.0
	v_fma_f32 v8, -v5, v6, 1.0
	v_fmac_f32_e32 v6, v8, v6
	v_mul_f32_e32 v8, v7, v6
	v_fma_f32 v10, -v5, v8, v7
	v_fmac_f32_e32 v8, v10, v6
	v_fma_f32 v5, -v5, v8, v7
	v_div_fmas_f32 v5, v5, v6, v8
	v_div_fixup_f32 v4, v5, v4, 1.0
	v_mul_f32_e32 v0, v4, v0
	v_mul_f32_e32 v1, v4, v1
	v_cmp_class_f32_e64 vcc, v0, s8
	v_mul_f32_e32 v2, v4, v2
	v_cndmask_b32_e32 v0, 0, v0, vcc
	v_cmp_class_f32_e64 vcc, v1, s8
	v_mul_f32_e32 v3, v4, v3
	v_cndmask_b32_e32 v1, 0, v1, vcc
	v_cmp_class_f32_e64 vcc, v2, s8
	v_cndmask_b32_e32 v2, 0, v2, vcc
	v_cmp_class_f32_e64 vcc, v3, s8
	v_cndmask_b32_e32 v3, 0, v3, vcc
	s_cbranch_scc1 .LBB55_19
; %bb.4:
	v_lshlrev_b32_e32 v4, 2, v17
	global_load_dwordx4 v[4:7], v4, s[0:1]
	s_waitcnt vmcnt(0)
	v_pk_add_f32 v[4:5], v[4:5], v[0:1]
	v_pk_add_f32 v[6:7], v[6:7], v[2:3]
	s_cbranch_execnz .LBB55_6
.LBB55_5:
	v_pk_mov_b32 v[6:7], v[2:3], v[2:3] op_sel:[0,1]
	v_pk_mov_b32 v[4:5], v[0:1], v[0:1] op_sel:[0,1]
.LBB55_6:
	s_load_dwordx4 s[8:11], s[4:5], 0x30
	s_mov_b32 s25, 0
	v_cmp_eq_u32_e64 s[0:1], 0, v13
	s_waitcnt lgkmcnt(0)
	s_bitcmp1_b32 s11, 0
	s_cselect_b64 vcc, -1, 0
	s_cmp_gt_i32 s8, 0
	s_cselect_b64 s[20:21], -1, 0
	s_cmp_lt_i32 s8, 1
	s_cbranch_scc1 .LBB55_20
; %bb.7:
	s_load_dwordx4 s[12:15], s[4:5], 0x20
	v_mul_lo_u32 v19, v9, s8
	v_mov_b32_e32 v18, 0
	v_mov_b32_e32 v20, 0xc61c4000
	;; [unrolled: 1-line block ×3, first 2 shown]
	s_branch .LBB55_10
.LBB55_8:                               ;   in Loop: Header=BB55_10 Depth=1
	s_or_b64 exec, exec, s[4:5]
.LBB55_9:                               ;   in Loop: Header=BB55_10 Depth=1
	s_cmp_eq_u32 s8, s25
	v_add_u32_e32 v21, s24, v21
	s_cbranch_scc1 .LBB55_21
.LBB55_10:                              ; =>This Inner Loop Header: Depth=1
	v_cmp_gt_f32_e64 s[2:3], v5, v4
	v_cndmask_b32_e64 v8, v4, v5, s[2:3]
	v_cndmask_b32_e64 v10, v0, v1, s[2:3]
	s_waitcnt lgkmcnt(0)
	v_cndmask_b32_e64 v11, 0, 1, s[2:3]
	v_cmp_gt_f32_e64 s[2:3], v6, v8
	v_cndmask_b32_e64 v8, v8, v6, s[2:3]
	v_cndmask_b32_e64 v10, v10, v2, s[2:3]
	;; [unrolled: 1-line block ×3, first 2 shown]
	v_cmp_gt_f32_e64 s[2:3], v7, v8
	v_cndmask_b32_e64 v11, v11, 3, s[2:3]
	v_cndmask_b32_e64 v8, v8, v7, s[2:3]
	v_or_b32_e32 v11, v17, v11
	ds_bpermute_b32 v12, v14, v8
	ds_bpermute_b32 v22, v14, v11
	v_cndmask_b32_e64 v10, v10, v3, s[2:3]
	ds_bpermute_b32 v24, v14, v10
	s_waitcnt lgkmcnt(0)
	v_cmp_eq_f32_e64 s[4:5], v8, v12
	v_cmp_lt_i32_e64 s[6:7], v22, v11
	v_cmp_lt_f32_e64 s[2:3], v8, v12
	s_and_b64 s[4:5], s[4:5], s[6:7]
	s_or_b64 s[2:3], s[2:3], s[4:5]
	v_cndmask_b32_e64 v23, v8, v12, s[2:3]
	v_cndmask_b32_e64 v22, v11, v22, s[2:3]
	;; [unrolled: 1-line block ×3, first 2 shown]
	ds_bpermute_b32 v25, v15, v23
	ds_bpermute_b32 v12, v15, v8
	;; [unrolled: 1-line block ×3, first 2 shown]
                                        ; implicit-def: $vgpr10_vgpr11
	s_waitcnt lgkmcnt(2)
	v_cmp_lt_f32_e64 s[6:7], v23, v25
	v_cmp_nlt_f32_e64 s[2:3], v23, v25
	s_and_saveexec_b64 s[22:23], s[2:3]
	s_cbranch_execz .LBB55_12
; %bb.11:                               ;   in Loop: Header=BB55_10 Depth=1
	v_cmp_eq_f32_e64 s[2:3], v23, v25
	s_waitcnt lgkmcnt(0)
	v_cmp_lt_i32_e64 s[4:5], v24, v22
	s_and_b64 s[2:3], s[2:3], s[4:5]
	s_andn2_b64 s[4:5], s[6:7], exec
	s_and_b64 s[2:3], s[2:3], exec
	s_or_b64 s[6:7], s[4:5], s[2:3]
	v_pk_mov_b32 v[10:11], v[8:9], v[8:9] op_sel:[0,1]
.LBB55_12:                              ;   in Loop: Header=BB55_10 Depth=1
	s_or_b64 exec, exec, s[22:23]
	s_and_saveexec_b64 s[2:3], s[6:7]
	s_cbranch_execz .LBB55_14
; %bb.13:                               ;   in Loop: Header=BB55_10 Depth=1
	v_mov_b32_e32 v23, v25
	s_waitcnt lgkmcnt(1)
	v_mov_b32_e32 v8, v12
	s_waitcnt lgkmcnt(0)
	v_mov_b32_e32 v22, v24
	v_pk_mov_b32 v[10:11], v[12:13], v[12:13] op_sel:[0,1]
.LBB55_14:                              ;   in Loop: Header=BB55_10 Depth=1
	s_or_b64 exec, exec, s[2:3]
	s_waitcnt lgkmcnt(1)
	ds_bpermute_b32 v12, v16, v23
	s_waitcnt lgkmcnt(1)
	ds_bpermute_b32 v24, v16, v22
	ds_bpermute_b32 v11, v16, v8
	s_waitcnt lgkmcnt(2)
	v_cmp_eq_f32_e64 s[4:5], v23, v12
	s_waitcnt lgkmcnt(1)
	v_cmp_lt_i32_e64 s[6:7], v24, v22
	v_cmp_lt_f32_e64 s[2:3], v23, v12
	s_and_b64 s[4:5], s[4:5], s[6:7]
	s_or_b64 s[2:3], s[2:3], s[4:5]
	v_cndmask_b32_e64 v8, v22, v24, s[2:3]
	s_and_saveexec_b64 s[6:7], s[0:1]
	s_cbranch_execnz .LBB55_16
; %bb.15:                               ;   in Loop: Header=BB55_10 Depth=1
	s_or_b64 exec, exec, s[6:7]
	s_add_i32 s25, s25, 1
	s_cmp_ge_i32 s25, s8
	s_cbranch_scc1 .LBB55_9
	s_branch .LBB55_17
.LBB55_16:                              ;   in Loop: Header=BB55_10 Depth=1
	s_waitcnt lgkmcnt(0)
	v_cndmask_b32_e64 v12, v10, v11, s[2:3]
	v_add_u32_e32 v10, s25, v19
	v_ashrrev_i32_e32 v11, 31, v10
	v_cmp_le_i32_e64 s[2:3], s9, v8
	v_cmp_gt_i32_e64 s[4:5], s10, v8
	v_lshlrev_b64 v[22:23], 2, v[10:11]
	s_and_b64 s[4:5], s[2:3], s[4:5]
	v_mov_b32_e32 v25, s17
	v_add_co_u32_e64 v24, s[2:3], s16, v22
	v_addc_co_u32_e64 v25, s[2:3], v25, v23, s[2:3]
	global_store_dword v[24:25], v12, off
	v_subrev_u32_e32 v24, s9, v8
	v_ashrrev_i32_e32 v25, 31, v24
	s_and_b64 s[2:3], s[18:19], s[4:5]
	v_lshlrev_b64 v[10:11], 3, v[10:11]
	v_cndmask_b32_e64 v25, 0, v25, s[2:3]
	v_cndmask_b32_e64 v24, 32, v24, s[2:3]
	v_mov_b32_e32 v26, s13
	v_add_co_u32_e64 v10, s[2:3], s12, v10
	v_addc_co_u32_e64 v11, s[2:3], v26, v11, s[2:3]
	global_store_dwordx2 v[10:11], v[24:25], off
	v_mov_b32_e32 v11, s15
	v_add_co_u32_e64 v10, s[2:3], s14, v22
	v_addc_co_u32_e64 v11, s[2:3], v11, v23, s[2:3]
	global_store_dword v[10:11], v21, off
	v_add_f32_e32 v10, v18, v12
	v_cndmask_b32_e32 v18, v18, v10, vcc
	s_or_b64 exec, exec, s[6:7]
	s_add_i32 s25, s25, 1
	s_cmp_ge_i32 s25, s8
	s_cbranch_scc1 .LBB55_9
.LBB55_17:                              ;   in Loop: Header=BB55_10 Depth=1
	s_waitcnt lgkmcnt(0)
	v_ashrrev_i32_e32 v11, 31, v8
	v_lshrrev_b32_e32 v10, 30, v11
	v_add_u32_e32 v10, v8, v10
	v_ashrrev_i32_e32 v10, 2, v10
	v_lshrrev_b32_e32 v12, 29, v10
	v_add_u32_e32 v12, v10, v12
	v_and_b32_e32 v12, -8, v12
	v_sub_u32_e32 v12, v10, v12
	v_cmp_eq_u32_e64 s[2:3], v13, v12
	s_and_saveexec_b64 s[4:5], s[2:3]
	s_cbranch_execz .LBB55_8
; %bb.18:                               ;   in Loop: Header=BB55_10 Depth=1
	v_lshrrev_b32_e32 v11, 27, v11
	v_add_u32_e32 v11, v8, v11
	v_lshlrev_b32_e32 v10, 2, v10
	v_ashrrev_i32_e32 v11, 5, v11
	v_sub_u32_e32 v8, v8, v10
	v_lshl_add_u32 v8, v11, 2, v8
	v_cmp_ne_u32_e64 s[2:3], 3, v8
	v_cndmask_b32_e64 v7, v20, v7, s[2:3]
	v_cmp_ne_u32_e64 s[2:3], 2, v8
	v_cndmask_b32_e64 v6, v20, v6, s[2:3]
	;; [unrolled: 2-line block ×4, first 2 shown]
	s_branch .LBB55_8
.LBB55_19:
                                        ; implicit-def: $vgpr4_vgpr5_vgpr6_vgpr7
	s_andn2_b64 vcc, exec, s[6:7]
	s_cbranch_vccz .LBB55_5
	s_branch .LBB55_6
.LBB55_20:
	v_mov_b32_e32 v18, 0
.LBB55_21:
	v_cmp_eq_u32_e64 s[0:1], 0, v13
	s_and_b64 s[0:1], s[0:1], vcc
	s_and_b64 exec, exec, s[0:1]
	s_cbranch_execz .LBB55_30
; %bb.22:
	s_andn2_b64 vcc, exec, s[20:21]
	s_cbranch_vccnz .LBB55_30
; %bb.23:
	v_cmp_lt_f32_e32 vcc, 0, v18
	s_mov_b32 s2, 0
	v_cndmask_b32_e32 v0, 1.0, v18, vcc
	v_mul_lo_u32 v4, v9, s8
	s_cmp_eq_u32 s8, 1
	s_mov_b64 s[0:1], -1
	s_cbranch_scc1 .LBB55_27
; %bb.24:
	s_and_b32 s2, s8, 0x7ffffffe
	v_mov_b32_e32 v1, v0
	v_mov_b32_e32 v5, s17
	s_mov_b32 s3, s2
	v_mov_b32_e32 v2, v4
.LBB55_25:                              ; =>This Inner Loop Header: Depth=1
	v_ashrrev_i32_e32 v3, 31, v2
	v_lshlrev_b64 v[6:7], 2, v[2:3]
	v_add_co_u32_e32 v6, vcc, s16, v6
	v_addc_co_u32_e32 v7, vcc, v5, v7, vcc
	global_load_dwordx2 v[8:9], v[6:7], off
	s_add_i32 s3, s3, -2
	s_cmp_lg_u32 s3, 0
	v_add_u32_e32 v2, 2, v2
	s_waitcnt vmcnt(0)
	v_div_scale_f32 v3, s[0:1], v1, v1, v9
	s_waitcnt lgkmcnt(0)
	v_div_scale_f32 v11, s[0:1], v0, v0, v8
	v_rcp_f32_e32 v12, v3
	v_rcp_f32_e32 v13, v11
	v_div_scale_f32 v10, vcc, v9, v1, v9
	v_fma_f32 v15, -v3, v12, 1.0
	v_fma_f32 v16, -v11, v13, 1.0
	v_fmac_f32_e32 v12, v15, v12
	v_div_scale_f32 v14, s[0:1], v8, v0, v8
	v_fmac_f32_e32 v13, v16, v13
	v_mul_f32_e32 v15, v10, v12
	v_mul_f32_e32 v16, v14, v13
	v_fma_f32 v17, -v3, v15, v10
	v_fma_f32 v18, -v11, v16, v14
	v_fmac_f32_e32 v15, v17, v12
	v_fmac_f32_e32 v16, v18, v13
	v_fma_f32 v3, -v3, v15, v10
	v_fma_f32 v10, -v11, v16, v14
	v_div_fmas_f32 v3, v3, v12, v15
	s_mov_b64 vcc, s[0:1]
	v_div_fixup_f32 v9, v3, v1, v9
	v_div_fmas_f32 v3, v10, v13, v16
	v_div_fixup_f32 v8, v3, v0, v8
	global_store_dwordx2 v[6:7], v[8:9], off
	s_cbranch_scc1 .LBB55_25
; %bb.26:
	s_cmp_lg_u32 s2, s8
	s_cselect_b64 s[0:1], -1, 0
.LBB55_27:
	s_and_b64 vcc, exec, s[0:1]
	s_cbranch_vccz .LBB55_30
; %bb.28:
	v_ashrrev_i32_e32 v1, 31, v4
	v_add_co_u32_e32 v2, vcc, s2, v4
	v_addc_co_u32_e32 v3, vcc, 0, v1, vcc
	v_lshlrev_b64 v[2:3], 2, v[2:3]
	v_mov_b32_e32 v1, s17
	v_add_co_u32_e32 v2, vcc, s16, v2
	s_sub_i32 s0, s8, s2
	v_addc_co_u32_e32 v3, vcc, v1, v3, vcc
.LBB55_29:                              ; =>This Inner Loop Header: Depth=1
	global_load_dword v1, v[2:3], off
	s_add_i32 s0, s0, -1
	s_cmp_lg_u32 s0, 0
	s_waitcnt vmcnt(0)
	v_div_scale_f32 v4, s[2:3], v0, v0, v1
	v_rcp_f32_e32 v5, v4
	v_div_scale_f32 v6, vcc, v1, v0, v1
	v_fma_f32 v7, -v4, v5, 1.0
	v_fmac_f32_e32 v5, v7, v5
	v_mul_f32_e32 v7, v6, v5
	v_fma_f32 v8, -v4, v7, v6
	v_fmac_f32_e32 v7, v8, v5
	v_fma_f32 v4, -v4, v7, v6
	v_div_fmas_f32 v4, v4, v5, v7
	v_div_fixup_f32 v1, v4, v0, v1
	global_store_dword v[2:3], v1, off
	v_add_co_u32_e32 v2, vcc, 4, v2
	v_addc_co_u32_e32 v3, vcc, 0, v3, vcc
	s_cbranch_scc1 .LBB55_29
.LBB55_30:
	s_endpgm
	.section	.rodata,"a",@progbits
	.p2align	6, 0x0
	.amdhsa_kernel _ZN4vllm3moe10topkGatingILi4ELi32ELi4ELi16ELi64ElfLNS0_11ScoringFuncE0EEEvPKT5_PKbPfiPT4_PiiiibPKf
		.amdhsa_group_segment_fixed_size 0
		.amdhsa_private_segment_fixed_size 0
		.amdhsa_kernarg_size 72
		.amdhsa_user_sgpr_count 6
		.amdhsa_user_sgpr_private_segment_buffer 1
		.amdhsa_user_sgpr_dispatch_ptr 0
		.amdhsa_user_sgpr_queue_ptr 0
		.amdhsa_user_sgpr_kernarg_segment_ptr 1
		.amdhsa_user_sgpr_dispatch_id 0
		.amdhsa_user_sgpr_flat_scratch_init 0
		.amdhsa_user_sgpr_kernarg_preload_length 0
		.amdhsa_user_sgpr_kernarg_preload_offset 0
		.amdhsa_user_sgpr_private_segment_size 0
		.amdhsa_uses_dynamic_stack 0
		.amdhsa_system_sgpr_private_segment_wavefront_offset 0
		.amdhsa_system_sgpr_workgroup_id_x 1
		.amdhsa_system_sgpr_workgroup_id_y 0
		.amdhsa_system_sgpr_workgroup_id_z 0
		.amdhsa_system_sgpr_workgroup_info 0
		.amdhsa_system_vgpr_workitem_id 1
		.amdhsa_next_free_vgpr 27
		.amdhsa_next_free_sgpr 26
		.amdhsa_accum_offset 28
		.amdhsa_reserve_vcc 1
		.amdhsa_reserve_flat_scratch 0
		.amdhsa_float_round_mode_32 0
		.amdhsa_float_round_mode_16_64 0
		.amdhsa_float_denorm_mode_32 3
		.amdhsa_float_denorm_mode_16_64 3
		.amdhsa_dx10_clamp 1
		.amdhsa_ieee_mode 1
		.amdhsa_fp16_overflow 0
		.amdhsa_tg_split 0
		.amdhsa_exception_fp_ieee_invalid_op 0
		.amdhsa_exception_fp_denorm_src 0
		.amdhsa_exception_fp_ieee_div_zero 0
		.amdhsa_exception_fp_ieee_overflow 0
		.amdhsa_exception_fp_ieee_underflow 0
		.amdhsa_exception_fp_ieee_inexact 0
		.amdhsa_exception_int_div_zero 0
	.end_amdhsa_kernel
	.section	.text._ZN4vllm3moe10topkGatingILi4ELi32ELi4ELi16ELi64ElfLNS0_11ScoringFuncE0EEEvPKT5_PKbPfiPT4_PiiiibPKf,"axG",@progbits,_ZN4vllm3moe10topkGatingILi4ELi32ELi4ELi16ELi64ElfLNS0_11ScoringFuncE0EEEvPKT5_PKbPfiPT4_PiiiibPKf,comdat
.Lfunc_end55:
	.size	_ZN4vllm3moe10topkGatingILi4ELi32ELi4ELi16ELi64ElfLNS0_11ScoringFuncE0EEEvPKT5_PKbPfiPT4_PiiiibPKf, .Lfunc_end55-_ZN4vllm3moe10topkGatingILi4ELi32ELi4ELi16ELi64ElfLNS0_11ScoringFuncE0EEEvPKT5_PKbPfiPT4_PiiiibPKf
                                        ; -- End function
	.section	.AMDGPU.csdata,"",@progbits
; Kernel info:
; codeLenInByte = 2296
; NumSgprs: 30
; NumVgprs: 27
; NumAgprs: 0
; TotalNumVgprs: 27
; ScratchSize: 0
; MemoryBound: 0
; FloatMode: 240
; IeeeMode: 1
; LDSByteSize: 0 bytes/workgroup (compile time only)
; SGPRBlocks: 3
; VGPRBlocks: 3
; NumSGPRsForWavesPerEU: 30
; NumVGPRsForWavesPerEU: 27
; AccumOffset: 28
; Occupancy: 8
; WaveLimiterHint : 0
; COMPUTE_PGM_RSRC2:SCRATCH_EN: 0
; COMPUTE_PGM_RSRC2:USER_SGPR: 6
; COMPUTE_PGM_RSRC2:TRAP_HANDLER: 0
; COMPUTE_PGM_RSRC2:TGID_X_EN: 1
; COMPUTE_PGM_RSRC2:TGID_Y_EN: 0
; COMPUTE_PGM_RSRC2:TGID_Z_EN: 0
; COMPUTE_PGM_RSRC2:TIDIG_COMP_CNT: 1
; COMPUTE_PGM_RSRC3_GFX90A:ACCUM_OFFSET: 6
; COMPUTE_PGM_RSRC3_GFX90A:TG_SPLIT: 0
	.section	.text._ZN4vllm3moe10topkGatingILi4ELi32ELi4ELi16ELi32ElfLNS0_11ScoringFuncE0EEEvPKT5_PKbPfiPT4_PiiiibPKf,"axG",@progbits,_ZN4vllm3moe10topkGatingILi4ELi32ELi4ELi16ELi32ElfLNS0_11ScoringFuncE0EEEvPKT5_PKbPfiPT4_PiiiibPKf,comdat
	.protected	_ZN4vllm3moe10topkGatingILi4ELi32ELi4ELi16ELi32ElfLNS0_11ScoringFuncE0EEEvPKT5_PKbPfiPT4_PiiiibPKf ; -- Begin function _ZN4vllm3moe10topkGatingILi4ELi32ELi4ELi16ELi32ElfLNS0_11ScoringFuncE0EEEvPKT5_PKbPfiPT4_PiiiibPKf
	.globl	_ZN4vllm3moe10topkGatingILi4ELi32ELi4ELi16ELi32ElfLNS0_11ScoringFuncE0EEEvPKT5_PKbPfiPT4_PiiiibPKf
	.p2align	8
	.type	_ZN4vllm3moe10topkGatingILi4ELi32ELi4ELi16ELi32ElfLNS0_11ScoringFuncE0EEEvPKT5_PKbPfiPT4_PiiiibPKf,@function
_ZN4vllm3moe10topkGatingILi4ELi32ELi4ELi16ELi32ElfLNS0_11ScoringFuncE0EEEvPKT5_PKbPfiPT4_PiiiibPKf: ; @_ZN4vllm3moe10topkGatingILi4ELi32ELi4ELi16ELi32ElfLNS0_11ScoringFuncE0EEEvPKT5_PKbPfiPT4_PiiiibPKf
; %bb.0:
	s_load_dword s24, s[4:5], 0x18
	v_bfe_u32 v1, v0, 10, 10
	v_and_b32_e32 v0, 0x3ff, v0
	s_lshl_b32 s0, s6, 4
	v_lshlrev_b32_e32 v1, 2, v1
	v_lshrrev_b32_e32 v2, 3, v0
	v_add3_u32 v9, s0, v1, v2
	s_waitcnt lgkmcnt(0)
	v_cmp_gt_i32_e32 vcc, s24, v9
	s_and_saveexec_b64 s[0:1], vcc
	s_cbranch_execz .LBB56_30
; %bb.1:
	s_load_dwordx4 s[0:3], s[4:5], 0x0
	s_load_dwordx2 s[16:17], s[4:5], 0x10
	s_mov_b64 s[6:7], -1
	s_mov_b64 s[18:19], -1
	s_waitcnt lgkmcnt(0)
	s_cmp_eq_u64 s[2:3], 0
	s_cbranch_scc1 .LBB56_3
; %bb.2:
	v_ashrrev_i32_e32 v1, 31, v9
	v_mov_b32_e32 v3, s3
	v_add_co_u32_e32 v2, vcc, s2, v9
	v_addc_co_u32_e32 v3, vcc, v3, v1, vcc
	global_load_ubyte v1, v[2:3], off
	s_waitcnt vmcnt(0)
	v_and_b32_e32 v1, 1, v1
	v_cmp_eq_u32_e32 vcc, 1, v1
	s_xor_b64 s[2:3], vcc, -1
	s_orn2_b64 s[18:19], s[2:3], exec
.LBB56_3:
	v_lshlrev_b32_e32 v2, 5, v9
	v_ashrrev_i32_e32 v3, 31, v2
	v_lshlrev_b64 v[2:3], 2, v[2:3]
	v_mov_b32_e32 v1, s1
	v_add_co_u32_e32 v2, vcc, s0, v2
	v_and_b32_e32 v13, 7, v0
	v_addc_co_u32_e32 v1, vcc, v1, v3, vcc
	v_lshlrev_b32_e32 v0, 4, v13
	v_add_co_u32_e32 v0, vcc, v2, v0
	v_addc_co_u32_e32 v1, vcc, 0, v1, vcc
	global_load_dwordx4 v[0:3], v[0:1], off
	v_mbcnt_lo_u32_b32 v4, -1, 0
	v_mbcnt_hi_u32_b32 v4, -1, v4
	v_and_b32_e32 v5, 0x78, v4
	v_xor_b32_e32 v6, 4, v4
	v_add_u32_e32 v5, 8, v5
	v_cmp_lt_i32_e32 vcc, v6, v5
	v_cndmask_b32_e32 v6, v4, v6, vcc
	v_lshlrev_b32_e32 v14, 2, v6
	v_xor_b32_e32 v8, 2, v4
	v_cmp_lt_i32_e32 vcc, v8, v5
	v_cndmask_b32_e32 v8, v4, v8, vcc
	v_lshlrev_b32_e32 v15, 2, v8
	v_xor_b32_e32 v8, 1, v4
	v_cmp_lt_i32_e32 vcc, v8, v5
	v_cndmask_b32_e32 v4, v4, v8, vcc
	v_lshlrev_b32_e32 v16, 2, v4
	s_mov_b32 s0, 0x3fb8aa3b
	s_mov_b32 s1, 0xc2ce8ed0
	;; [unrolled: 1-line block ×3, first 2 shown]
	s_movk_i32 s8, 0x1f8
	s_waitcnt vmcnt(0)
	v_max_f32_e32 v6, v1, v1
	v_max_f32_e32 v7, v0, v0
	;; [unrolled: 1-line block ×3, first 2 shown]
	v_max3_f32 v6, v6, v2, v3
	ds_bpermute_b32 v7, v14, v6
	s_waitcnt lgkmcnt(0)
	v_max_f32_e32 v7, v7, v7
	v_max_f32_e32 v6, v6, v7
	ds_bpermute_b32 v7, v15, v6
	s_waitcnt lgkmcnt(0)
	v_max_f32_e32 v4, v7, v7
	v_max_f32_e32 v4, v6, v4
	ds_bpermute_b32 v5, v16, v4
	v_mov_b32_e32 v6, 0x7f800000
	s_waitcnt lgkmcnt(0)
	v_max_f32_e32 v5, v5, v5
	v_max_f32_e32 v4, v4, v5
	v_pk_add_f32 v[0:1], v[0:1], v[4:5] op_sel_hi:[1,0] neg_lo:[0,1] neg_hi:[0,1]
	v_sub_f32_e32 v2, v2, v4
	v_sub_f32_e32 v3, v3, v4
	v_mul_f32_e32 v4, 0x3fb8aa3b, v1
	v_mul_f32_e32 v5, 0x3fb8aa3b, v0
	v_fma_f32 v10, v1, s0, -v4
	v_rndne_f32_e32 v11, v4
	v_mul_f32_e32 v7, 0x3fb8aa3b, v2
	v_fma_f32 v12, v0, s0, -v5
	v_rndne_f32_e32 v17, v5
	v_fmac_f32_e32 v10, 0x32a5705f, v1
	v_sub_f32_e32 v4, v4, v11
	v_mul_f32_e32 v8, 0x3fb8aa3b, v3
	v_fma_f32 v18, v2, s0, -v7
	v_rndne_f32_e32 v19, v7
	v_fmac_f32_e32 v12, 0x32a5705f, v0
	v_sub_f32_e32 v5, v5, v17
	v_add_f32_e32 v4, v4, v10
	v_fma_f32 v20, v3, s0, -v8
	v_rndne_f32_e32 v21, v8
	v_cvt_i32_f32_e32 v11, v11
	v_fmac_f32_e32 v18, 0x32a5705f, v2
	v_sub_f32_e32 v7, v7, v19
	v_add_f32_e32 v5, v5, v12
	v_exp_f32_e32 v4, v4
	v_cvt_i32_f32_e32 v17, v17
	v_fmac_f32_e32 v20, 0x32a5705f, v3
	v_sub_f32_e32 v8, v8, v21
	v_add_f32_e32 v7, v7, v18
	v_exp_f32_e32 v5, v5
	v_cvt_i32_f32_e32 v19, v19
	v_add_f32_e32 v8, v8, v20
	v_exp_f32_e32 v7, v7
	v_cvt_i32_f32_e32 v21, v21
	v_exp_f32_e32 v8, v8
	v_ldexp_f32 v4, v4, v11
	v_cmp_ngt_f32_e32 vcc, s1, v1
	v_ldexp_f32 v5, v5, v17
	v_cndmask_b32_e32 v4, 0, v4, vcc
	v_cmp_ngt_f32_e32 vcc, s1, v0
	v_ldexp_f32 v7, v7, v19
	v_cndmask_b32_e32 v5, 0, v5, vcc
	;; [unrolled: 3-line block ×3, first 2 shown]
	v_cmp_ngt_f32_e32 vcc, s1, v3
	v_cndmask_b32_e32 v8, 0, v8, vcc
	v_cmp_nlt_f32_e32 vcc, s2, v1
	v_cndmask_b32_e32 v1, v6, v4, vcc
	v_cmp_nlt_f32_e32 vcc, s2, v0
	;; [unrolled: 2-line block ×4, first 2 shown]
	v_add_f32_e32 v4, v0, v1
	v_cndmask_b32_e32 v3, v6, v8, vcc
	v_add_f32_e32 v4, v4, v2
	v_add_f32_e32 v4, v4, v3
	ds_bpermute_b32 v5, v14, v4
	s_load_dwordx2 s[0:1], s[4:5], 0x40
	v_lshlrev_b32_e32 v17, 2, v13
	s_waitcnt lgkmcnt(0)
	v_add_f32_e32 v4, v4, v5
	ds_bpermute_b32 v5, v15, v4
	s_cmp_eq_u64 s[0:1], 0
	s_waitcnt lgkmcnt(0)
	v_add_f32_e32 v4, v4, v5
	ds_bpermute_b32 v5, v16, v4
	s_waitcnt lgkmcnt(0)
	v_add_f32_e32 v4, v4, v5
	v_div_scale_f32 v5, s[2:3], v4, v4, 1.0
	v_rcp_f32_e32 v6, v5
	v_div_scale_f32 v7, vcc, 1.0, v4, 1.0
	v_fma_f32 v8, -v5, v6, 1.0
	v_fmac_f32_e32 v6, v8, v6
	v_mul_f32_e32 v8, v7, v6
	v_fma_f32 v10, -v5, v8, v7
	v_fmac_f32_e32 v8, v10, v6
	v_fma_f32 v5, -v5, v8, v7
	v_div_fmas_f32 v5, v5, v6, v8
	v_div_fixup_f32 v4, v5, v4, 1.0
	v_mul_f32_e32 v0, v4, v0
	v_mul_f32_e32 v1, v4, v1
	v_cmp_class_f32_e64 vcc, v0, s8
	v_mul_f32_e32 v2, v4, v2
	v_cndmask_b32_e32 v0, 0, v0, vcc
	v_cmp_class_f32_e64 vcc, v1, s8
	v_mul_f32_e32 v3, v4, v3
	v_cndmask_b32_e32 v1, 0, v1, vcc
	v_cmp_class_f32_e64 vcc, v2, s8
	v_cndmask_b32_e32 v2, 0, v2, vcc
	v_cmp_class_f32_e64 vcc, v3, s8
	v_cndmask_b32_e32 v3, 0, v3, vcc
	s_cbranch_scc1 .LBB56_19
; %bb.4:
	v_lshlrev_b32_e32 v4, 2, v17
	global_load_dwordx4 v[4:7], v4, s[0:1]
	s_waitcnt vmcnt(0)
	v_pk_add_f32 v[4:5], v[4:5], v[0:1]
	v_pk_add_f32 v[6:7], v[6:7], v[2:3]
	s_cbranch_execnz .LBB56_6
.LBB56_5:
	v_pk_mov_b32 v[6:7], v[2:3], v[2:3] op_sel:[0,1]
	v_pk_mov_b32 v[4:5], v[0:1], v[0:1] op_sel:[0,1]
.LBB56_6:
	s_load_dwordx4 s[8:11], s[4:5], 0x30
	s_mov_b32 s25, 0
	v_cmp_eq_u32_e64 s[0:1], 0, v13
	s_waitcnt lgkmcnt(0)
	s_bitcmp1_b32 s11, 0
	s_cselect_b64 vcc, -1, 0
	s_cmp_gt_i32 s8, 0
	s_cselect_b64 s[20:21], -1, 0
	s_cmp_lt_i32 s8, 1
	s_cbranch_scc1 .LBB56_20
; %bb.7:
	s_load_dwordx4 s[12:15], s[4:5], 0x20
	v_mul_lo_u32 v19, v9, s8
	v_mov_b32_e32 v18, 0
	v_mov_b32_e32 v20, 0xc61c4000
	;; [unrolled: 1-line block ×3, first 2 shown]
	s_branch .LBB56_10
.LBB56_8:                               ;   in Loop: Header=BB56_10 Depth=1
	s_or_b64 exec, exec, s[4:5]
.LBB56_9:                               ;   in Loop: Header=BB56_10 Depth=1
	s_cmp_eq_u32 s8, s25
	v_add_u32_e32 v21, s24, v21
	s_cbranch_scc1 .LBB56_21
.LBB56_10:                              ; =>This Inner Loop Header: Depth=1
	v_cmp_gt_f32_e64 s[2:3], v5, v4
	v_cndmask_b32_e64 v8, v4, v5, s[2:3]
	v_cndmask_b32_e64 v10, v0, v1, s[2:3]
	s_waitcnt lgkmcnt(0)
	v_cndmask_b32_e64 v11, 0, 1, s[2:3]
	v_cmp_gt_f32_e64 s[2:3], v6, v8
	v_cndmask_b32_e64 v8, v8, v6, s[2:3]
	v_cndmask_b32_e64 v10, v10, v2, s[2:3]
	;; [unrolled: 1-line block ×3, first 2 shown]
	v_cmp_gt_f32_e64 s[2:3], v7, v8
	v_cndmask_b32_e64 v11, v11, 3, s[2:3]
	v_cndmask_b32_e64 v8, v8, v7, s[2:3]
	v_or_b32_e32 v11, v17, v11
	ds_bpermute_b32 v12, v14, v8
	ds_bpermute_b32 v22, v14, v11
	v_cndmask_b32_e64 v10, v10, v3, s[2:3]
	ds_bpermute_b32 v24, v14, v10
	s_waitcnt lgkmcnt(0)
	v_cmp_eq_f32_e64 s[4:5], v8, v12
	v_cmp_lt_i32_e64 s[6:7], v22, v11
	v_cmp_lt_f32_e64 s[2:3], v8, v12
	s_and_b64 s[4:5], s[4:5], s[6:7]
	s_or_b64 s[2:3], s[2:3], s[4:5]
	v_cndmask_b32_e64 v23, v8, v12, s[2:3]
	v_cndmask_b32_e64 v22, v11, v22, s[2:3]
	;; [unrolled: 1-line block ×3, first 2 shown]
	ds_bpermute_b32 v25, v15, v23
	ds_bpermute_b32 v12, v15, v8
	;; [unrolled: 1-line block ×3, first 2 shown]
                                        ; implicit-def: $vgpr10_vgpr11
	s_waitcnt lgkmcnt(2)
	v_cmp_lt_f32_e64 s[6:7], v23, v25
	v_cmp_nlt_f32_e64 s[2:3], v23, v25
	s_and_saveexec_b64 s[22:23], s[2:3]
	s_cbranch_execz .LBB56_12
; %bb.11:                               ;   in Loop: Header=BB56_10 Depth=1
	v_cmp_eq_f32_e64 s[2:3], v23, v25
	s_waitcnt lgkmcnt(0)
	v_cmp_lt_i32_e64 s[4:5], v24, v22
	s_and_b64 s[2:3], s[2:3], s[4:5]
	s_andn2_b64 s[4:5], s[6:7], exec
	s_and_b64 s[2:3], s[2:3], exec
	s_or_b64 s[6:7], s[4:5], s[2:3]
	v_pk_mov_b32 v[10:11], v[8:9], v[8:9] op_sel:[0,1]
.LBB56_12:                              ;   in Loop: Header=BB56_10 Depth=1
	s_or_b64 exec, exec, s[22:23]
	s_and_saveexec_b64 s[2:3], s[6:7]
	s_cbranch_execz .LBB56_14
; %bb.13:                               ;   in Loop: Header=BB56_10 Depth=1
	v_mov_b32_e32 v23, v25
	s_waitcnt lgkmcnt(1)
	v_mov_b32_e32 v8, v12
	s_waitcnt lgkmcnt(0)
	v_mov_b32_e32 v22, v24
	v_pk_mov_b32 v[10:11], v[12:13], v[12:13] op_sel:[0,1]
.LBB56_14:                              ;   in Loop: Header=BB56_10 Depth=1
	s_or_b64 exec, exec, s[2:3]
	s_waitcnt lgkmcnt(1)
	ds_bpermute_b32 v12, v16, v23
	s_waitcnt lgkmcnt(1)
	ds_bpermute_b32 v24, v16, v22
	ds_bpermute_b32 v11, v16, v8
	s_waitcnt lgkmcnt(2)
	v_cmp_eq_f32_e64 s[4:5], v23, v12
	s_waitcnt lgkmcnt(1)
	v_cmp_lt_i32_e64 s[6:7], v24, v22
	v_cmp_lt_f32_e64 s[2:3], v23, v12
	s_and_b64 s[4:5], s[4:5], s[6:7]
	s_or_b64 s[2:3], s[2:3], s[4:5]
	v_cndmask_b32_e64 v8, v22, v24, s[2:3]
	s_and_saveexec_b64 s[6:7], s[0:1]
	s_cbranch_execnz .LBB56_16
; %bb.15:                               ;   in Loop: Header=BB56_10 Depth=1
	s_or_b64 exec, exec, s[6:7]
	s_add_i32 s25, s25, 1
	s_cmp_ge_i32 s25, s8
	s_cbranch_scc1 .LBB56_9
	s_branch .LBB56_17
.LBB56_16:                              ;   in Loop: Header=BB56_10 Depth=1
	s_waitcnt lgkmcnt(0)
	v_cndmask_b32_e64 v12, v10, v11, s[2:3]
	v_add_u32_e32 v10, s25, v19
	v_ashrrev_i32_e32 v11, 31, v10
	v_cmp_le_i32_e64 s[2:3], s9, v8
	v_cmp_gt_i32_e64 s[4:5], s10, v8
	v_lshlrev_b64 v[22:23], 2, v[10:11]
	s_and_b64 s[4:5], s[2:3], s[4:5]
	v_mov_b32_e32 v25, s17
	v_add_co_u32_e64 v24, s[2:3], s16, v22
	v_addc_co_u32_e64 v25, s[2:3], v25, v23, s[2:3]
	global_store_dword v[24:25], v12, off
	v_subrev_u32_e32 v24, s9, v8
	v_ashrrev_i32_e32 v25, 31, v24
	s_and_b64 s[2:3], s[18:19], s[4:5]
	v_lshlrev_b64 v[10:11], 3, v[10:11]
	v_cndmask_b32_e64 v25, 0, v25, s[2:3]
	v_cndmask_b32_e64 v24, 32, v24, s[2:3]
	v_mov_b32_e32 v26, s13
	v_add_co_u32_e64 v10, s[2:3], s12, v10
	v_addc_co_u32_e64 v11, s[2:3], v26, v11, s[2:3]
	global_store_dwordx2 v[10:11], v[24:25], off
	v_mov_b32_e32 v11, s15
	v_add_co_u32_e64 v10, s[2:3], s14, v22
	v_addc_co_u32_e64 v11, s[2:3], v11, v23, s[2:3]
	global_store_dword v[10:11], v21, off
	v_add_f32_e32 v10, v18, v12
	v_cndmask_b32_e32 v18, v18, v10, vcc
	s_or_b64 exec, exec, s[6:7]
	s_add_i32 s25, s25, 1
	s_cmp_ge_i32 s25, s8
	s_cbranch_scc1 .LBB56_9
.LBB56_17:                              ;   in Loop: Header=BB56_10 Depth=1
	s_waitcnt lgkmcnt(0)
	v_ashrrev_i32_e32 v11, 31, v8
	v_lshrrev_b32_e32 v10, 30, v11
	v_add_u32_e32 v10, v8, v10
	v_ashrrev_i32_e32 v10, 2, v10
	v_lshrrev_b32_e32 v12, 29, v10
	v_add_u32_e32 v12, v10, v12
	v_and_b32_e32 v12, -8, v12
	v_sub_u32_e32 v12, v10, v12
	v_cmp_eq_u32_e64 s[2:3], v13, v12
	s_and_saveexec_b64 s[4:5], s[2:3]
	s_cbranch_execz .LBB56_8
; %bb.18:                               ;   in Loop: Header=BB56_10 Depth=1
	v_lshrrev_b32_e32 v11, 27, v11
	v_add_u32_e32 v11, v8, v11
	v_lshlrev_b32_e32 v10, 2, v10
	v_ashrrev_i32_e32 v11, 5, v11
	v_sub_u32_e32 v8, v8, v10
	v_lshl_add_u32 v8, v11, 2, v8
	v_cmp_ne_u32_e64 s[2:3], 3, v8
	v_cndmask_b32_e64 v7, v20, v7, s[2:3]
	v_cmp_ne_u32_e64 s[2:3], 2, v8
	v_cndmask_b32_e64 v6, v20, v6, s[2:3]
	;; [unrolled: 2-line block ×4, first 2 shown]
	s_branch .LBB56_8
.LBB56_19:
                                        ; implicit-def: $vgpr4_vgpr5_vgpr6_vgpr7
	s_andn2_b64 vcc, exec, s[6:7]
	s_cbranch_vccz .LBB56_5
	s_branch .LBB56_6
.LBB56_20:
	v_mov_b32_e32 v18, 0
.LBB56_21:
	v_cmp_eq_u32_e64 s[0:1], 0, v13
	s_and_b64 s[0:1], s[0:1], vcc
	s_and_b64 exec, exec, s[0:1]
	s_cbranch_execz .LBB56_30
; %bb.22:
	s_andn2_b64 vcc, exec, s[20:21]
	s_cbranch_vccnz .LBB56_30
; %bb.23:
	v_cmp_lt_f32_e32 vcc, 0, v18
	s_mov_b32 s2, 0
	v_cndmask_b32_e32 v0, 1.0, v18, vcc
	v_mul_lo_u32 v4, v9, s8
	s_cmp_eq_u32 s8, 1
	s_mov_b64 s[0:1], -1
	s_cbranch_scc1 .LBB56_27
; %bb.24:
	s_and_b32 s2, s8, 0x7ffffffe
	v_mov_b32_e32 v1, v0
	v_mov_b32_e32 v5, s17
	s_mov_b32 s3, s2
	v_mov_b32_e32 v2, v4
.LBB56_25:                              ; =>This Inner Loop Header: Depth=1
	v_ashrrev_i32_e32 v3, 31, v2
	v_lshlrev_b64 v[6:7], 2, v[2:3]
	v_add_co_u32_e32 v6, vcc, s16, v6
	v_addc_co_u32_e32 v7, vcc, v5, v7, vcc
	global_load_dwordx2 v[8:9], v[6:7], off
	s_add_i32 s3, s3, -2
	s_cmp_lg_u32 s3, 0
	v_add_u32_e32 v2, 2, v2
	s_waitcnt vmcnt(0)
	v_div_scale_f32 v3, s[0:1], v1, v1, v9
	s_waitcnt lgkmcnt(0)
	v_div_scale_f32 v11, s[0:1], v0, v0, v8
	v_rcp_f32_e32 v12, v3
	v_rcp_f32_e32 v13, v11
	v_div_scale_f32 v10, vcc, v9, v1, v9
	v_fma_f32 v15, -v3, v12, 1.0
	v_fma_f32 v16, -v11, v13, 1.0
	v_fmac_f32_e32 v12, v15, v12
	v_div_scale_f32 v14, s[0:1], v8, v0, v8
	v_fmac_f32_e32 v13, v16, v13
	v_mul_f32_e32 v15, v10, v12
	v_mul_f32_e32 v16, v14, v13
	v_fma_f32 v17, -v3, v15, v10
	v_fma_f32 v18, -v11, v16, v14
	v_fmac_f32_e32 v15, v17, v12
	v_fmac_f32_e32 v16, v18, v13
	v_fma_f32 v3, -v3, v15, v10
	v_fma_f32 v10, -v11, v16, v14
	v_div_fmas_f32 v3, v3, v12, v15
	s_mov_b64 vcc, s[0:1]
	v_div_fixup_f32 v9, v3, v1, v9
	v_div_fmas_f32 v3, v10, v13, v16
	v_div_fixup_f32 v8, v3, v0, v8
	global_store_dwordx2 v[6:7], v[8:9], off
	s_cbranch_scc1 .LBB56_25
; %bb.26:
	s_cmp_lg_u32 s2, s8
	s_cselect_b64 s[0:1], -1, 0
.LBB56_27:
	s_and_b64 vcc, exec, s[0:1]
	s_cbranch_vccz .LBB56_30
; %bb.28:
	v_ashrrev_i32_e32 v1, 31, v4
	v_add_co_u32_e32 v2, vcc, s2, v4
	v_addc_co_u32_e32 v3, vcc, 0, v1, vcc
	v_lshlrev_b64 v[2:3], 2, v[2:3]
	v_mov_b32_e32 v1, s17
	v_add_co_u32_e32 v2, vcc, s16, v2
	s_sub_i32 s0, s8, s2
	v_addc_co_u32_e32 v3, vcc, v1, v3, vcc
.LBB56_29:                              ; =>This Inner Loop Header: Depth=1
	global_load_dword v1, v[2:3], off
	s_add_i32 s0, s0, -1
	s_cmp_lg_u32 s0, 0
	s_waitcnt vmcnt(0)
	v_div_scale_f32 v4, s[2:3], v0, v0, v1
	v_rcp_f32_e32 v5, v4
	v_div_scale_f32 v6, vcc, v1, v0, v1
	v_fma_f32 v7, -v4, v5, 1.0
	v_fmac_f32_e32 v5, v7, v5
	v_mul_f32_e32 v7, v6, v5
	v_fma_f32 v8, -v4, v7, v6
	v_fmac_f32_e32 v7, v8, v5
	v_fma_f32 v4, -v4, v7, v6
	v_div_fmas_f32 v4, v4, v5, v7
	v_div_fixup_f32 v1, v4, v0, v1
	global_store_dword v[2:3], v1, off
	v_add_co_u32_e32 v2, vcc, 4, v2
	v_addc_co_u32_e32 v3, vcc, 0, v3, vcc
	s_cbranch_scc1 .LBB56_29
.LBB56_30:
	s_endpgm
	.section	.rodata,"a",@progbits
	.p2align	6, 0x0
	.amdhsa_kernel _ZN4vllm3moe10topkGatingILi4ELi32ELi4ELi16ELi32ElfLNS0_11ScoringFuncE0EEEvPKT5_PKbPfiPT4_PiiiibPKf
		.amdhsa_group_segment_fixed_size 0
		.amdhsa_private_segment_fixed_size 0
		.amdhsa_kernarg_size 72
		.amdhsa_user_sgpr_count 6
		.amdhsa_user_sgpr_private_segment_buffer 1
		.amdhsa_user_sgpr_dispatch_ptr 0
		.amdhsa_user_sgpr_queue_ptr 0
		.amdhsa_user_sgpr_kernarg_segment_ptr 1
		.amdhsa_user_sgpr_dispatch_id 0
		.amdhsa_user_sgpr_flat_scratch_init 0
		.amdhsa_user_sgpr_kernarg_preload_length 0
		.amdhsa_user_sgpr_kernarg_preload_offset 0
		.amdhsa_user_sgpr_private_segment_size 0
		.amdhsa_uses_dynamic_stack 0
		.amdhsa_system_sgpr_private_segment_wavefront_offset 0
		.amdhsa_system_sgpr_workgroup_id_x 1
		.amdhsa_system_sgpr_workgroup_id_y 0
		.amdhsa_system_sgpr_workgroup_id_z 0
		.amdhsa_system_sgpr_workgroup_info 0
		.amdhsa_system_vgpr_workitem_id 1
		.amdhsa_next_free_vgpr 27
		.amdhsa_next_free_sgpr 26
		.amdhsa_accum_offset 28
		.amdhsa_reserve_vcc 1
		.amdhsa_reserve_flat_scratch 0
		.amdhsa_float_round_mode_32 0
		.amdhsa_float_round_mode_16_64 0
		.amdhsa_float_denorm_mode_32 3
		.amdhsa_float_denorm_mode_16_64 3
		.amdhsa_dx10_clamp 1
		.amdhsa_ieee_mode 1
		.amdhsa_fp16_overflow 0
		.amdhsa_tg_split 0
		.amdhsa_exception_fp_ieee_invalid_op 0
		.amdhsa_exception_fp_denorm_src 0
		.amdhsa_exception_fp_ieee_div_zero 0
		.amdhsa_exception_fp_ieee_overflow 0
		.amdhsa_exception_fp_ieee_underflow 0
		.amdhsa_exception_fp_ieee_inexact 0
		.amdhsa_exception_int_div_zero 0
	.end_amdhsa_kernel
	.section	.text._ZN4vllm3moe10topkGatingILi4ELi32ELi4ELi16ELi32ElfLNS0_11ScoringFuncE0EEEvPKT5_PKbPfiPT4_PiiiibPKf,"axG",@progbits,_ZN4vllm3moe10topkGatingILi4ELi32ELi4ELi16ELi32ElfLNS0_11ScoringFuncE0EEEvPKT5_PKbPfiPT4_PiiiibPKf,comdat
.Lfunc_end56:
	.size	_ZN4vllm3moe10topkGatingILi4ELi32ELi4ELi16ELi32ElfLNS0_11ScoringFuncE0EEEvPKT5_PKbPfiPT4_PiiiibPKf, .Lfunc_end56-_ZN4vllm3moe10topkGatingILi4ELi32ELi4ELi16ELi32ElfLNS0_11ScoringFuncE0EEEvPKT5_PKbPfiPT4_PiiiibPKf
                                        ; -- End function
	.section	.AMDGPU.csdata,"",@progbits
; Kernel info:
; codeLenInByte = 2296
; NumSgprs: 30
; NumVgprs: 27
; NumAgprs: 0
; TotalNumVgprs: 27
; ScratchSize: 0
; MemoryBound: 0
; FloatMode: 240
; IeeeMode: 1
; LDSByteSize: 0 bytes/workgroup (compile time only)
; SGPRBlocks: 3
; VGPRBlocks: 3
; NumSGPRsForWavesPerEU: 30
; NumVGPRsForWavesPerEU: 27
; AccumOffset: 28
; Occupancy: 8
; WaveLimiterHint : 0
; COMPUTE_PGM_RSRC2:SCRATCH_EN: 0
; COMPUTE_PGM_RSRC2:USER_SGPR: 6
; COMPUTE_PGM_RSRC2:TRAP_HANDLER: 0
; COMPUTE_PGM_RSRC2:TGID_X_EN: 1
; COMPUTE_PGM_RSRC2:TGID_Y_EN: 0
; COMPUTE_PGM_RSRC2:TGID_Z_EN: 0
; COMPUTE_PGM_RSRC2:TIDIG_COMP_CNT: 1
; COMPUTE_PGM_RSRC3_GFX90A:ACCUM_OFFSET: 6
; COMPUTE_PGM_RSRC3_GFX90A:TG_SPLIT: 0
	.section	.text._ZN4vllm3moe10topkGatingILi4ELi64ELi4ELi16ELi64ElfLNS0_11ScoringFuncE0EEEvPKT5_PKbPfiPT4_PiiiibPKf,"axG",@progbits,_ZN4vllm3moe10topkGatingILi4ELi64ELi4ELi16ELi64ElfLNS0_11ScoringFuncE0EEEvPKT5_PKbPfiPT4_PiiiibPKf,comdat
	.protected	_ZN4vllm3moe10topkGatingILi4ELi64ELi4ELi16ELi64ElfLNS0_11ScoringFuncE0EEEvPKT5_PKbPfiPT4_PiiiibPKf ; -- Begin function _ZN4vllm3moe10topkGatingILi4ELi64ELi4ELi16ELi64ElfLNS0_11ScoringFuncE0EEEvPKT5_PKbPfiPT4_PiiiibPKf
	.globl	_ZN4vllm3moe10topkGatingILi4ELi64ELi4ELi16ELi64ElfLNS0_11ScoringFuncE0EEEvPKT5_PKbPfiPT4_PiiiibPKf
	.p2align	8
	.type	_ZN4vllm3moe10topkGatingILi4ELi64ELi4ELi16ELi64ElfLNS0_11ScoringFuncE0EEEvPKT5_PKbPfiPT4_PiiiibPKf,@function
_ZN4vllm3moe10topkGatingILi4ELi64ELi4ELi16ELi64ElfLNS0_11ScoringFuncE0EEEvPKT5_PKbPfiPT4_PiiiibPKf: ; @_ZN4vllm3moe10topkGatingILi4ELi64ELi4ELi16ELi64ElfLNS0_11ScoringFuncE0EEEvPKT5_PKbPfiPT4_PiiiibPKf
; %bb.0:
	s_load_dword s24, s[4:5], 0x18
	v_bfe_u32 v1, v0, 10, 10
	v_and_b32_e32 v0, 0x3ff, v0
	s_lshl_b32 s0, s6, 4
	v_lshlrev_b32_e32 v1, 2, v1
	v_lshrrev_b32_e32 v2, 4, v0
	v_add3_u32 v9, s0, v1, v2
	s_waitcnt lgkmcnt(0)
	v_cmp_gt_i32_e32 vcc, s24, v9
	s_and_saveexec_b64 s[0:1], vcc
	s_cbranch_execz .LBB57_34
; %bb.1:
	s_load_dwordx4 s[0:3], s[4:5], 0x0
	s_load_dwordx2 s[16:17], s[4:5], 0x10
	s_mov_b64 s[6:7], -1
	s_mov_b64 s[18:19], -1
	s_waitcnt lgkmcnt(0)
	s_cmp_eq_u64 s[2:3], 0
	s_cbranch_scc1 .LBB57_3
; %bb.2:
	v_ashrrev_i32_e32 v1, 31, v9
	v_mov_b32_e32 v3, s3
	v_add_co_u32_e32 v2, vcc, s2, v9
	v_addc_co_u32_e32 v3, vcc, v3, v1, vcc
	global_load_ubyte v1, v[2:3], off
	s_waitcnt vmcnt(0)
	v_and_b32_e32 v1, 1, v1
	v_cmp_eq_u32_e32 vcc, 1, v1
	s_xor_b64 s[2:3], vcc, -1
	s_orn2_b64 s[18:19], s[2:3], exec
.LBB57_3:
	v_lshlrev_b32_e32 v2, 6, v9
	v_ashrrev_i32_e32 v3, 31, v2
	v_lshlrev_b64 v[2:3], 2, v[2:3]
	v_mov_b32_e32 v1, s1
	v_add_co_u32_e32 v2, vcc, s0, v2
	v_and_b32_e32 v13, 15, v0
	v_addc_co_u32_e32 v1, vcc, v1, v3, vcc
	v_lshlrev_b32_e32 v0, 4, v13
	v_add_co_u32_e32 v0, vcc, v2, v0
	v_addc_co_u32_e32 v1, vcc, 0, v1, vcc
	global_load_dwordx4 v[0:3], v[0:1], off
	v_mbcnt_lo_u32_b32 v4, -1, 0
	v_mbcnt_hi_u32_b32 v4, -1, v4
	v_and_b32_e32 v5, 0x70, v4
	v_xor_b32_e32 v6, 8, v4
	v_add_u32_e32 v5, 16, v5
	v_cmp_lt_i32_e32 vcc, v6, v5
	v_cndmask_b32_e32 v6, v4, v6, vcc
	v_lshlrev_b32_e32 v14, 2, v6
	v_xor_b32_e32 v8, 4, v4
	v_cmp_lt_i32_e32 vcc, v8, v5
	v_cndmask_b32_e32 v8, v4, v8, vcc
	v_lshlrev_b32_e32 v15, 2, v8
	v_xor_b32_e32 v8, 2, v4
	;; [unrolled: 4-line block ×3, first 2 shown]
	v_cmp_lt_i32_e32 vcc, v8, v5
	v_cndmask_b32_e32 v4, v4, v8, vcc
	v_lshlrev_b32_e32 v17, 2, v4
	s_mov_b32 s0, 0x3fb8aa3b
	s_mov_b32 s1, 0xc2ce8ed0
	;; [unrolled: 1-line block ×3, first 2 shown]
	s_movk_i32 s8, 0x1f8
	s_waitcnt vmcnt(0)
	v_max_f32_e32 v6, v1, v1
	v_max_f32_e32 v7, v0, v0
	;; [unrolled: 1-line block ×3, first 2 shown]
	v_max3_f32 v6, v6, v2, v3
	ds_bpermute_b32 v7, v14, v6
	s_waitcnt lgkmcnt(0)
	v_max_f32_e32 v7, v7, v7
	v_max_f32_e32 v6, v6, v7
	ds_bpermute_b32 v7, v15, v6
	s_waitcnt lgkmcnt(0)
	v_max_f32_e32 v7, v7, v7
	v_max_f32_e32 v6, v6, v7
	;; [unrolled: 4-line block ×3, first 2 shown]
	ds_bpermute_b32 v5, v17, v4
	v_mov_b32_e32 v6, 0x7f800000
	s_waitcnt lgkmcnt(0)
	v_max_f32_e32 v5, v5, v5
	v_max_f32_e32 v4, v4, v5
	v_pk_add_f32 v[0:1], v[0:1], v[4:5] op_sel_hi:[1,0] neg_lo:[0,1] neg_hi:[0,1]
	v_sub_f32_e32 v2, v2, v4
	v_sub_f32_e32 v3, v3, v4
	v_mul_f32_e32 v4, 0x3fb8aa3b, v1
	v_mul_f32_e32 v5, 0x3fb8aa3b, v0
	v_fma_f32 v10, v1, s0, -v4
	v_rndne_f32_e32 v11, v4
	v_mul_f32_e32 v7, 0x3fb8aa3b, v2
	v_fma_f32 v12, v0, s0, -v5
	v_rndne_f32_e32 v18, v5
	v_fmac_f32_e32 v10, 0x32a5705f, v1
	v_sub_f32_e32 v4, v4, v11
	v_mul_f32_e32 v8, 0x3fb8aa3b, v3
	v_fma_f32 v19, v2, s0, -v7
	v_rndne_f32_e32 v20, v7
	v_fmac_f32_e32 v12, 0x32a5705f, v0
	v_sub_f32_e32 v5, v5, v18
	v_add_f32_e32 v4, v4, v10
	v_fma_f32 v21, v3, s0, -v8
	v_rndne_f32_e32 v22, v8
	v_cvt_i32_f32_e32 v11, v11
	v_fmac_f32_e32 v19, 0x32a5705f, v2
	v_sub_f32_e32 v7, v7, v20
	v_add_f32_e32 v5, v5, v12
	v_exp_f32_e32 v4, v4
	v_cvt_i32_f32_e32 v18, v18
	v_fmac_f32_e32 v21, 0x32a5705f, v3
	v_sub_f32_e32 v8, v8, v22
	v_add_f32_e32 v7, v7, v19
	v_exp_f32_e32 v5, v5
	v_cvt_i32_f32_e32 v20, v20
	v_add_f32_e32 v8, v8, v21
	v_exp_f32_e32 v7, v7
	v_cvt_i32_f32_e32 v22, v22
	v_exp_f32_e32 v8, v8
	v_ldexp_f32 v4, v4, v11
	v_cmp_ngt_f32_e32 vcc, s1, v1
	v_ldexp_f32 v5, v5, v18
	v_cndmask_b32_e32 v4, 0, v4, vcc
	v_cmp_ngt_f32_e32 vcc, s1, v0
	v_ldexp_f32 v7, v7, v20
	v_cndmask_b32_e32 v5, 0, v5, vcc
	;; [unrolled: 3-line block ×3, first 2 shown]
	v_cmp_ngt_f32_e32 vcc, s1, v3
	v_cndmask_b32_e32 v8, 0, v8, vcc
	v_cmp_nlt_f32_e32 vcc, s2, v1
	v_cndmask_b32_e32 v1, v6, v4, vcc
	v_cmp_nlt_f32_e32 vcc, s2, v0
	;; [unrolled: 2-line block ×4, first 2 shown]
	v_add_f32_e32 v4, v0, v1
	v_cndmask_b32_e32 v3, v6, v8, vcc
	v_add_f32_e32 v4, v4, v2
	v_add_f32_e32 v4, v4, v3
	ds_bpermute_b32 v5, v14, v4
	s_load_dwordx2 s[0:1], s[4:5], 0x40
	v_lshlrev_b32_e32 v18, 2, v13
	s_waitcnt lgkmcnt(0)
	v_add_f32_e32 v4, v4, v5
	ds_bpermute_b32 v5, v15, v4
	s_cmp_eq_u64 s[0:1], 0
	s_waitcnt lgkmcnt(0)
	v_add_f32_e32 v4, v4, v5
	ds_bpermute_b32 v5, v16, v4
	s_waitcnt lgkmcnt(0)
	v_add_f32_e32 v4, v4, v5
	ds_bpermute_b32 v5, v17, v4
	s_waitcnt lgkmcnt(0)
	v_add_f32_e32 v4, v4, v5
	v_div_scale_f32 v5, s[2:3], v4, v4, 1.0
	v_rcp_f32_e32 v6, v5
	v_div_scale_f32 v7, vcc, 1.0, v4, 1.0
	v_fma_f32 v8, -v5, v6, 1.0
	v_fmac_f32_e32 v6, v8, v6
	v_mul_f32_e32 v8, v7, v6
	v_fma_f32 v10, -v5, v8, v7
	v_fmac_f32_e32 v8, v10, v6
	v_fma_f32 v5, -v5, v8, v7
	v_div_fmas_f32 v5, v5, v6, v8
	v_div_fixup_f32 v4, v5, v4, 1.0
	v_mul_f32_e32 v0, v4, v0
	v_mul_f32_e32 v1, v4, v1
	v_cmp_class_f32_e64 vcc, v0, s8
	v_mul_f32_e32 v2, v4, v2
	v_cndmask_b32_e32 v0, 0, v0, vcc
	v_cmp_class_f32_e64 vcc, v1, s8
	v_mul_f32_e32 v3, v4, v3
	v_cndmask_b32_e32 v1, 0, v1, vcc
	v_cmp_class_f32_e64 vcc, v2, s8
	v_cndmask_b32_e32 v2, 0, v2, vcc
	v_cmp_class_f32_e64 vcc, v3, s8
	v_cndmask_b32_e32 v3, 0, v3, vcc
	s_cbranch_scc1 .LBB57_23
; %bb.4:
	v_lshlrev_b32_e32 v4, 2, v18
	global_load_dwordx4 v[4:7], v4, s[0:1]
	s_waitcnt vmcnt(0)
	v_pk_add_f32 v[4:5], v[4:5], v[0:1]
	v_pk_add_f32 v[6:7], v[6:7], v[2:3]
	s_cbranch_execnz .LBB57_6
.LBB57_5:
	v_pk_mov_b32 v[6:7], v[2:3], v[2:3] op_sel:[0,1]
	v_pk_mov_b32 v[4:5], v[0:1], v[0:1] op_sel:[0,1]
.LBB57_6:
	s_load_dwordx4 s[8:11], s[4:5], 0x30
	s_mov_b32 s25, 0
	v_cmp_eq_u32_e64 s[0:1], 0, v13
	s_waitcnt lgkmcnt(0)
	s_bitcmp1_b32 s11, 0
	s_cselect_b64 vcc, -1, 0
	s_cmp_gt_i32 s8, 0
	s_cselect_b64 s[20:21], -1, 0
	s_cmp_lt_i32 s8, 1
	s_cbranch_scc1 .LBB57_24
; %bb.7:
	s_load_dwordx4 s[12:15], s[4:5], 0x20
	v_mul_lo_u32 v20, v9, s8
	v_mov_b32_e32 v19, 0
	v_mov_b32_e32 v21, 0xc61c4000
	;; [unrolled: 1-line block ×3, first 2 shown]
	s_branch .LBB57_10
.LBB57_8:                               ;   in Loop: Header=BB57_10 Depth=1
	s_or_b64 exec, exec, s[4:5]
.LBB57_9:                               ;   in Loop: Header=BB57_10 Depth=1
	s_cmp_eq_u32 s8, s25
	v_add_u32_e32 v22, s24, v22
	s_cbranch_scc1 .LBB57_25
.LBB57_10:                              ; =>This Inner Loop Header: Depth=1
	v_cmp_gt_f32_e64 s[2:3], v5, v4
	v_cndmask_b32_e64 v8, v4, v5, s[2:3]
	v_cndmask_b32_e64 v10, v0, v1, s[2:3]
	s_waitcnt lgkmcnt(0)
	v_cndmask_b32_e64 v11, 0, 1, s[2:3]
	v_cmp_gt_f32_e64 s[2:3], v6, v8
	v_cndmask_b32_e64 v8, v8, v6, s[2:3]
	v_cndmask_b32_e64 v10, v10, v2, s[2:3]
	v_cndmask_b32_e64 v11, v11, 2, s[2:3]
	v_cmp_gt_f32_e64 s[2:3], v7, v8
	v_cndmask_b32_e64 v11, v11, 3, s[2:3]
	v_cndmask_b32_e64 v8, v8, v7, s[2:3]
	v_or_b32_e32 v11, v18, v11
	ds_bpermute_b32 v12, v14, v8
	ds_bpermute_b32 v23, v14, v11
	v_cndmask_b32_e64 v10, v10, v3, s[2:3]
	ds_bpermute_b32 v25, v14, v10
	s_waitcnt lgkmcnt(0)
	v_cmp_eq_f32_e64 s[4:5], v8, v12
	v_cmp_lt_i32_e64 s[6:7], v23, v11
	v_cmp_lt_f32_e64 s[2:3], v8, v12
	s_and_b64 s[4:5], s[4:5], s[6:7]
	s_or_b64 s[2:3], s[2:3], s[4:5]
	v_cndmask_b32_e64 v24, v11, v23, s[2:3]
	v_cndmask_b32_e64 v23, v8, v12, s[2:3]
	;; [unrolled: 1-line block ×3, first 2 shown]
	ds_bpermute_b32 v26, v15, v23
	ds_bpermute_b32 v12, v15, v8
	;; [unrolled: 1-line block ×3, first 2 shown]
                                        ; implicit-def: $vgpr10_vgpr11
	s_waitcnt lgkmcnt(2)
	v_cmp_lt_f32_e64 s[6:7], v23, v26
	v_cmp_nlt_f32_e64 s[2:3], v23, v26
	s_and_saveexec_b64 s[22:23], s[2:3]
	s_cbranch_execz .LBB57_12
; %bb.11:                               ;   in Loop: Header=BB57_10 Depth=1
	v_cmp_eq_f32_e64 s[2:3], v23, v26
	s_waitcnt lgkmcnt(0)
	v_cmp_lt_i32_e64 s[4:5], v25, v24
	s_and_b64 s[2:3], s[2:3], s[4:5]
	s_andn2_b64 s[4:5], s[6:7], exec
	s_and_b64 s[2:3], s[2:3], exec
	s_or_b64 s[6:7], s[4:5], s[2:3]
	v_pk_mov_b32 v[10:11], v[8:9], v[8:9] op_sel:[0,1]
.LBB57_12:                              ;   in Loop: Header=BB57_10 Depth=1
	s_or_b64 exec, exec, s[22:23]
	s_and_saveexec_b64 s[2:3], s[6:7]
	s_cbranch_execz .LBB57_14
; %bb.13:                               ;   in Loop: Header=BB57_10 Depth=1
	v_mov_b32_e32 v23, v26
	s_waitcnt lgkmcnt(1)
	v_mov_b32_e32 v8, v12
	s_waitcnt lgkmcnt(0)
	v_mov_b32_e32 v24, v25
	v_pk_mov_b32 v[10:11], v[12:13], v[12:13] op_sel:[0,1]
.LBB57_14:                              ;   in Loop: Header=BB57_10 Depth=1
	s_or_b64 exec, exec, s[2:3]
	s_waitcnt lgkmcnt(0)
	ds_bpermute_b32 v25, v16, v23
	ds_bpermute_b32 v12, v16, v8
	;; [unrolled: 1-line block ×3, first 2 shown]
	s_waitcnt lgkmcnt(2)
	v_cmp_lt_f32_e64 s[6:7], v23, v25
	v_cmp_nlt_f32_e64 s[2:3], v23, v25
	s_and_saveexec_b64 s[22:23], s[2:3]
	s_cbranch_execz .LBB57_16
; %bb.15:                               ;   in Loop: Header=BB57_10 Depth=1
	v_cmp_eq_f32_e64 s[2:3], v23, v25
	s_waitcnt lgkmcnt(0)
	v_cmp_lt_i32_e64 s[4:5], v11, v24
	s_and_b64 s[2:3], s[2:3], s[4:5]
	s_andn2_b64 s[4:5], s[6:7], exec
	s_and_b64 s[2:3], s[2:3], exec
	s_or_b64 s[6:7], s[4:5], s[2:3]
.LBB57_16:                              ;   in Loop: Header=BB57_10 Depth=1
	s_or_b64 exec, exec, s[22:23]
	s_and_saveexec_b64 s[2:3], s[6:7]
	s_cbranch_execz .LBB57_18
; %bb.17:                               ;   in Loop: Header=BB57_10 Depth=1
	v_mov_b32_e32 v23, v25
	s_waitcnt lgkmcnt(1)
	v_mov_b32_e32 v8, v12
	s_waitcnt lgkmcnt(0)
	v_mov_b32_e32 v24, v11
	v_pk_mov_b32 v[10:11], v[12:13], v[12:13] op_sel:[0,1]
.LBB57_18:                              ;   in Loop: Header=BB57_10 Depth=1
	s_or_b64 exec, exec, s[2:3]
	s_waitcnt lgkmcnt(1)
	ds_bpermute_b32 v12, v17, v23
	ds_bpermute_b32 v25, v17, v24
	s_waitcnt lgkmcnt(2)
	ds_bpermute_b32 v11, v17, v8
	s_waitcnt lgkmcnt(2)
	v_cmp_eq_f32_e64 s[4:5], v23, v12
	s_waitcnt lgkmcnt(1)
	v_cmp_lt_i32_e64 s[6:7], v25, v24
	v_cmp_lt_f32_e64 s[2:3], v23, v12
	s_and_b64 s[4:5], s[4:5], s[6:7]
	s_or_b64 s[2:3], s[2:3], s[4:5]
	v_cndmask_b32_e64 v8, v24, v25, s[2:3]
	s_and_saveexec_b64 s[6:7], s[0:1]
	s_cbranch_execnz .LBB57_20
; %bb.19:                               ;   in Loop: Header=BB57_10 Depth=1
	s_or_b64 exec, exec, s[6:7]
	s_add_i32 s25, s25, 1
	s_cmp_ge_i32 s25, s8
	s_cbranch_scc1 .LBB57_9
	s_branch .LBB57_21
.LBB57_20:                              ;   in Loop: Header=BB57_10 Depth=1
	s_waitcnt lgkmcnt(0)
	v_cndmask_b32_e64 v12, v10, v11, s[2:3]
	v_add_u32_e32 v10, s25, v20
	v_ashrrev_i32_e32 v11, 31, v10
	v_cmp_le_i32_e64 s[2:3], s9, v8
	v_cmp_gt_i32_e64 s[4:5], s10, v8
	v_lshlrev_b64 v[24:25], 2, v[10:11]
	s_and_b64 s[4:5], s[2:3], s[4:5]
	v_mov_b32_e32 v23, s17
	v_add_co_u32_e64 v26, s[2:3], s16, v24
	v_addc_co_u32_e64 v27, s[2:3], v23, v25, s[2:3]
	v_subrev_u32_e32 v23, s9, v8
	global_store_dword v[26:27], v12, off
	v_ashrrev_i32_e32 v26, 31, v23
	s_and_b64 s[2:3], s[18:19], s[4:5]
	v_lshlrev_b64 v[10:11], 3, v[10:11]
	v_cndmask_b32_e64 v27, 0, v26, s[2:3]
	v_cndmask_b32_e64 v26, 64, v23, s[2:3]
	v_mov_b32_e32 v23, s13
	v_add_co_u32_e64 v10, s[2:3], s12, v10
	v_addc_co_u32_e64 v11, s[2:3], v23, v11, s[2:3]
	global_store_dwordx2 v[10:11], v[26:27], off
	v_mov_b32_e32 v11, s15
	v_add_co_u32_e64 v10, s[2:3], s14, v24
	v_addc_co_u32_e64 v11, s[2:3], v11, v25, s[2:3]
	global_store_dword v[10:11], v22, off
	v_add_f32_e32 v10, v19, v12
	v_cndmask_b32_e32 v19, v19, v10, vcc
	s_or_b64 exec, exec, s[6:7]
	s_add_i32 s25, s25, 1
	s_cmp_ge_i32 s25, s8
	s_cbranch_scc1 .LBB57_9
.LBB57_21:                              ;   in Loop: Header=BB57_10 Depth=1
	s_waitcnt lgkmcnt(0)
	v_ashrrev_i32_e32 v11, 31, v8
	v_lshrrev_b32_e32 v10, 30, v11
	v_add_u32_e32 v12, v8, v10
	v_ashrrev_i32_e32 v10, 2, v12
	v_ashrrev_i32_e32 v12, 31, v12
	v_lshrrev_b32_e32 v12, 28, v12
	v_add_u32_e32 v12, v10, v12
	v_and_b32_e32 v12, -16, v12
	v_sub_u32_e32 v12, v10, v12
	v_cmp_eq_u32_e64 s[2:3], v13, v12
	s_and_saveexec_b64 s[4:5], s[2:3]
	s_cbranch_execz .LBB57_8
; %bb.22:                               ;   in Loop: Header=BB57_10 Depth=1
	v_lshrrev_b32_e32 v11, 26, v11
	v_add_u32_e32 v11, v8, v11
	v_lshlrev_b32_e32 v10, 2, v10
	v_ashrrev_i32_e32 v11, 6, v11
	v_sub_u32_e32 v8, v8, v10
	v_lshl_add_u32 v8, v11, 2, v8
	v_cmp_ne_u32_e64 s[2:3], 3, v8
	v_cndmask_b32_e64 v7, v21, v7, s[2:3]
	v_cmp_ne_u32_e64 s[2:3], 2, v8
	v_cndmask_b32_e64 v6, v21, v6, s[2:3]
	;; [unrolled: 2-line block ×4, first 2 shown]
	s_branch .LBB57_8
.LBB57_23:
                                        ; implicit-def: $vgpr4_vgpr5_vgpr6_vgpr7
	s_andn2_b64 vcc, exec, s[6:7]
	s_cbranch_vccz .LBB57_5
	s_branch .LBB57_6
.LBB57_24:
	v_mov_b32_e32 v19, 0
.LBB57_25:
	v_cmp_eq_u32_e64 s[0:1], 0, v13
	s_and_b64 s[0:1], s[0:1], vcc
	s_and_b64 exec, exec, s[0:1]
	s_cbranch_execz .LBB57_34
; %bb.26:
	s_andn2_b64 vcc, exec, s[20:21]
	s_cbranch_vccnz .LBB57_34
; %bb.27:
	v_cmp_lt_f32_e32 vcc, 0, v19
	s_mov_b32 s2, 0
	v_cndmask_b32_e32 v0, 1.0, v19, vcc
	v_mul_lo_u32 v4, v9, s8
	s_cmp_eq_u32 s8, 1
	s_mov_b64 s[0:1], -1
	s_cbranch_scc1 .LBB57_31
; %bb.28:
	s_and_b32 s2, s8, 0x7ffffffe
	v_mov_b32_e32 v1, v0
	v_mov_b32_e32 v5, s17
	s_mov_b32 s3, s2
	v_mov_b32_e32 v2, v4
.LBB57_29:                              ; =>This Inner Loop Header: Depth=1
	v_ashrrev_i32_e32 v3, 31, v2
	v_lshlrev_b64 v[6:7], 2, v[2:3]
	v_add_co_u32_e32 v6, vcc, s16, v6
	v_addc_co_u32_e32 v7, vcc, v5, v7, vcc
	global_load_dwordx2 v[8:9], v[6:7], off
	s_add_i32 s3, s3, -2
	s_cmp_lg_u32 s3, 0
	v_add_u32_e32 v2, 2, v2
	s_waitcnt vmcnt(0)
	v_div_scale_f32 v3, s[0:1], v1, v1, v9
	s_waitcnt lgkmcnt(0)
	v_div_scale_f32 v11, s[0:1], v0, v0, v8
	v_rcp_f32_e32 v12, v3
	v_rcp_f32_e32 v13, v11
	v_div_scale_f32 v10, vcc, v9, v1, v9
	v_fma_f32 v15, -v3, v12, 1.0
	v_fma_f32 v16, -v11, v13, 1.0
	v_fmac_f32_e32 v12, v15, v12
	v_div_scale_f32 v14, s[0:1], v8, v0, v8
	v_fmac_f32_e32 v13, v16, v13
	v_mul_f32_e32 v15, v10, v12
	v_mul_f32_e32 v16, v14, v13
	v_fma_f32 v17, -v3, v15, v10
	v_fma_f32 v18, -v11, v16, v14
	v_fmac_f32_e32 v15, v17, v12
	v_fmac_f32_e32 v16, v18, v13
	v_fma_f32 v3, -v3, v15, v10
	v_fma_f32 v10, -v11, v16, v14
	v_div_fmas_f32 v3, v3, v12, v15
	s_mov_b64 vcc, s[0:1]
	v_div_fixup_f32 v9, v3, v1, v9
	v_div_fmas_f32 v3, v10, v13, v16
	v_div_fixup_f32 v8, v3, v0, v8
	global_store_dwordx2 v[6:7], v[8:9], off
	s_cbranch_scc1 .LBB57_29
; %bb.30:
	s_cmp_lg_u32 s2, s8
	s_cselect_b64 s[0:1], -1, 0
.LBB57_31:
	s_and_b64 vcc, exec, s[0:1]
	s_cbranch_vccz .LBB57_34
; %bb.32:
	v_ashrrev_i32_e32 v1, 31, v4
	v_add_co_u32_e32 v2, vcc, s2, v4
	v_addc_co_u32_e32 v3, vcc, 0, v1, vcc
	v_lshlrev_b64 v[2:3], 2, v[2:3]
	v_mov_b32_e32 v1, s17
	v_add_co_u32_e32 v2, vcc, s16, v2
	s_sub_i32 s0, s8, s2
	v_addc_co_u32_e32 v3, vcc, v1, v3, vcc
.LBB57_33:                              ; =>This Inner Loop Header: Depth=1
	global_load_dword v1, v[2:3], off
	s_add_i32 s0, s0, -1
	s_cmp_lg_u32 s0, 0
	s_waitcnt vmcnt(0)
	v_div_scale_f32 v4, s[2:3], v0, v0, v1
	v_rcp_f32_e32 v5, v4
	v_div_scale_f32 v6, vcc, v1, v0, v1
	v_fma_f32 v7, -v4, v5, 1.0
	v_fmac_f32_e32 v5, v7, v5
	v_mul_f32_e32 v7, v6, v5
	v_fma_f32 v8, -v4, v7, v6
	v_fmac_f32_e32 v7, v8, v5
	v_fma_f32 v4, -v4, v7, v6
	v_div_fmas_f32 v4, v4, v5, v7
	v_div_fixup_f32 v1, v4, v0, v1
	global_store_dword v[2:3], v1, off
	v_add_co_u32_e32 v2, vcc, 4, v2
	v_addc_co_u32_e32 v3, vcc, 0, v3, vcc
	s_cbranch_scc1 .LBB57_33
.LBB57_34:
	s_endpgm
	.section	.rodata,"a",@progbits
	.p2align	6, 0x0
	.amdhsa_kernel _ZN4vllm3moe10topkGatingILi4ELi64ELi4ELi16ELi64ElfLNS0_11ScoringFuncE0EEEvPKT5_PKbPfiPT4_PiiiibPKf
		.amdhsa_group_segment_fixed_size 0
		.amdhsa_private_segment_fixed_size 0
		.amdhsa_kernarg_size 72
		.amdhsa_user_sgpr_count 6
		.amdhsa_user_sgpr_private_segment_buffer 1
		.amdhsa_user_sgpr_dispatch_ptr 0
		.amdhsa_user_sgpr_queue_ptr 0
		.amdhsa_user_sgpr_kernarg_segment_ptr 1
		.amdhsa_user_sgpr_dispatch_id 0
		.amdhsa_user_sgpr_flat_scratch_init 0
		.amdhsa_user_sgpr_kernarg_preload_length 0
		.amdhsa_user_sgpr_kernarg_preload_offset 0
		.amdhsa_user_sgpr_private_segment_size 0
		.amdhsa_uses_dynamic_stack 0
		.amdhsa_system_sgpr_private_segment_wavefront_offset 0
		.amdhsa_system_sgpr_workgroup_id_x 1
		.amdhsa_system_sgpr_workgroup_id_y 0
		.amdhsa_system_sgpr_workgroup_id_z 0
		.amdhsa_system_sgpr_workgroup_info 0
		.amdhsa_system_vgpr_workitem_id 1
		.amdhsa_next_free_vgpr 28
		.amdhsa_next_free_sgpr 26
		.amdhsa_accum_offset 28
		.amdhsa_reserve_vcc 1
		.amdhsa_reserve_flat_scratch 0
		.amdhsa_float_round_mode_32 0
		.amdhsa_float_round_mode_16_64 0
		.amdhsa_float_denorm_mode_32 3
		.amdhsa_float_denorm_mode_16_64 3
		.amdhsa_dx10_clamp 1
		.amdhsa_ieee_mode 1
		.amdhsa_fp16_overflow 0
		.amdhsa_tg_split 0
		.amdhsa_exception_fp_ieee_invalid_op 0
		.amdhsa_exception_fp_denorm_src 0
		.amdhsa_exception_fp_ieee_div_zero 0
		.amdhsa_exception_fp_ieee_overflow 0
		.amdhsa_exception_fp_ieee_underflow 0
		.amdhsa_exception_fp_ieee_inexact 0
		.amdhsa_exception_int_div_zero 0
	.end_amdhsa_kernel
	.section	.text._ZN4vllm3moe10topkGatingILi4ELi64ELi4ELi16ELi64ElfLNS0_11ScoringFuncE0EEEvPKT5_PKbPfiPT4_PiiiibPKf,"axG",@progbits,_ZN4vllm3moe10topkGatingILi4ELi64ELi4ELi16ELi64ElfLNS0_11ScoringFuncE0EEEvPKT5_PKbPfiPT4_PiiiibPKf,comdat
.Lfunc_end57:
	.size	_ZN4vllm3moe10topkGatingILi4ELi64ELi4ELi16ELi64ElfLNS0_11ScoringFuncE0EEEvPKT5_PKbPfiPT4_PiiiibPKf, .Lfunc_end57-_ZN4vllm3moe10topkGatingILi4ELi64ELi4ELi16ELi64ElfLNS0_11ScoringFuncE0EEEvPKT5_PKbPfiPT4_PiiiibPKf
                                        ; -- End function
	.section	.AMDGPU.csdata,"",@progbits
; Kernel info:
; codeLenInByte = 2488
; NumSgprs: 30
; NumVgprs: 28
; NumAgprs: 0
; TotalNumVgprs: 28
; ScratchSize: 0
; MemoryBound: 0
; FloatMode: 240
; IeeeMode: 1
; LDSByteSize: 0 bytes/workgroup (compile time only)
; SGPRBlocks: 3
; VGPRBlocks: 3
; NumSGPRsForWavesPerEU: 30
; NumVGPRsForWavesPerEU: 28
; AccumOffset: 28
; Occupancy: 8
; WaveLimiterHint : 0
; COMPUTE_PGM_RSRC2:SCRATCH_EN: 0
; COMPUTE_PGM_RSRC2:USER_SGPR: 6
; COMPUTE_PGM_RSRC2:TRAP_HANDLER: 0
; COMPUTE_PGM_RSRC2:TGID_X_EN: 1
; COMPUTE_PGM_RSRC2:TGID_Y_EN: 0
; COMPUTE_PGM_RSRC2:TGID_Z_EN: 0
; COMPUTE_PGM_RSRC2:TIDIG_COMP_CNT: 1
; COMPUTE_PGM_RSRC3_GFX90A:ACCUM_OFFSET: 6
; COMPUTE_PGM_RSRC3_GFX90A:TG_SPLIT: 0
	.section	.text._ZN4vllm3moe10topkGatingILi4ELi64ELi4ELi16ELi32ElfLNS0_11ScoringFuncE0EEEvPKT5_PKbPfiPT4_PiiiibPKf,"axG",@progbits,_ZN4vllm3moe10topkGatingILi4ELi64ELi4ELi16ELi32ElfLNS0_11ScoringFuncE0EEEvPKT5_PKbPfiPT4_PiiiibPKf,comdat
	.protected	_ZN4vllm3moe10topkGatingILi4ELi64ELi4ELi16ELi32ElfLNS0_11ScoringFuncE0EEEvPKT5_PKbPfiPT4_PiiiibPKf ; -- Begin function _ZN4vllm3moe10topkGatingILi4ELi64ELi4ELi16ELi32ElfLNS0_11ScoringFuncE0EEEvPKT5_PKbPfiPT4_PiiiibPKf
	.globl	_ZN4vllm3moe10topkGatingILi4ELi64ELi4ELi16ELi32ElfLNS0_11ScoringFuncE0EEEvPKT5_PKbPfiPT4_PiiiibPKf
	.p2align	8
	.type	_ZN4vllm3moe10topkGatingILi4ELi64ELi4ELi16ELi32ElfLNS0_11ScoringFuncE0EEEvPKT5_PKbPfiPT4_PiiiibPKf,@function
_ZN4vllm3moe10topkGatingILi4ELi64ELi4ELi16ELi32ElfLNS0_11ScoringFuncE0EEEvPKT5_PKbPfiPT4_PiiiibPKf: ; @_ZN4vllm3moe10topkGatingILi4ELi64ELi4ELi16ELi32ElfLNS0_11ScoringFuncE0EEEvPKT5_PKbPfiPT4_PiiiibPKf
; %bb.0:
	s_load_dword s24, s[4:5], 0x18
	v_bfe_u32 v1, v0, 10, 10
	v_and_b32_e32 v0, 0x3ff, v0
	s_lshl_b32 s0, s6, 3
	v_lshlrev_b32_e32 v1, 1, v1
	v_lshrrev_b32_e32 v2, 4, v0
	v_add3_u32 v9, s0, v1, v2
	s_waitcnt lgkmcnt(0)
	v_cmp_gt_i32_e32 vcc, s24, v9
	s_and_saveexec_b64 s[0:1], vcc
	s_cbranch_execz .LBB58_34
; %bb.1:
	s_load_dwordx4 s[0:3], s[4:5], 0x0
	s_load_dwordx2 s[16:17], s[4:5], 0x10
	s_mov_b64 s[6:7], -1
	s_mov_b64 s[18:19], -1
	s_waitcnt lgkmcnt(0)
	s_cmp_eq_u64 s[2:3], 0
	s_cbranch_scc1 .LBB58_3
; %bb.2:
	v_ashrrev_i32_e32 v1, 31, v9
	v_mov_b32_e32 v3, s3
	v_add_co_u32_e32 v2, vcc, s2, v9
	v_addc_co_u32_e32 v3, vcc, v3, v1, vcc
	global_load_ubyte v1, v[2:3], off
	s_waitcnt vmcnt(0)
	v_and_b32_e32 v1, 1, v1
	v_cmp_eq_u32_e32 vcc, 1, v1
	s_xor_b64 s[2:3], vcc, -1
	s_orn2_b64 s[18:19], s[2:3], exec
.LBB58_3:
	v_lshlrev_b32_e32 v2, 6, v9
	v_ashrrev_i32_e32 v3, 31, v2
	v_lshlrev_b64 v[2:3], 2, v[2:3]
	v_mov_b32_e32 v1, s1
	v_add_co_u32_e32 v2, vcc, s0, v2
	v_and_b32_e32 v13, 15, v0
	v_addc_co_u32_e32 v1, vcc, v1, v3, vcc
	v_lshlrev_b32_e32 v0, 4, v13
	v_add_co_u32_e32 v0, vcc, v2, v0
	v_addc_co_u32_e32 v1, vcc, 0, v1, vcc
	global_load_dwordx4 v[0:3], v[0:1], off
	v_mbcnt_lo_u32_b32 v4, -1, 0
	v_mbcnt_hi_u32_b32 v4, -1, v4
	v_and_b32_e32 v5, 0x70, v4
	v_xor_b32_e32 v6, 8, v4
	v_add_u32_e32 v5, 16, v5
	v_cmp_lt_i32_e32 vcc, v6, v5
	v_cndmask_b32_e32 v6, v4, v6, vcc
	v_lshlrev_b32_e32 v14, 2, v6
	v_xor_b32_e32 v8, 4, v4
	v_cmp_lt_i32_e32 vcc, v8, v5
	v_cndmask_b32_e32 v8, v4, v8, vcc
	v_lshlrev_b32_e32 v15, 2, v8
	v_xor_b32_e32 v8, 2, v4
	;; [unrolled: 4-line block ×3, first 2 shown]
	v_cmp_lt_i32_e32 vcc, v8, v5
	v_cndmask_b32_e32 v4, v4, v8, vcc
	v_lshlrev_b32_e32 v17, 2, v4
	s_mov_b32 s0, 0x3fb8aa3b
	s_mov_b32 s1, 0xc2ce8ed0
	;; [unrolled: 1-line block ×3, first 2 shown]
	s_movk_i32 s8, 0x1f8
	s_waitcnt vmcnt(0)
	v_max_f32_e32 v6, v1, v1
	v_max_f32_e32 v7, v0, v0
	;; [unrolled: 1-line block ×3, first 2 shown]
	v_max3_f32 v6, v6, v2, v3
	ds_bpermute_b32 v7, v14, v6
	s_waitcnt lgkmcnt(0)
	v_max_f32_e32 v7, v7, v7
	v_max_f32_e32 v6, v6, v7
	ds_bpermute_b32 v7, v15, v6
	s_waitcnt lgkmcnt(0)
	v_max_f32_e32 v7, v7, v7
	v_max_f32_e32 v6, v6, v7
	;; [unrolled: 4-line block ×3, first 2 shown]
	ds_bpermute_b32 v5, v17, v4
	v_mov_b32_e32 v6, 0x7f800000
	s_waitcnt lgkmcnt(0)
	v_max_f32_e32 v5, v5, v5
	v_max_f32_e32 v4, v4, v5
	v_pk_add_f32 v[0:1], v[0:1], v[4:5] op_sel_hi:[1,0] neg_lo:[0,1] neg_hi:[0,1]
	v_sub_f32_e32 v2, v2, v4
	v_sub_f32_e32 v3, v3, v4
	v_mul_f32_e32 v4, 0x3fb8aa3b, v1
	v_mul_f32_e32 v5, 0x3fb8aa3b, v0
	v_fma_f32 v10, v1, s0, -v4
	v_rndne_f32_e32 v11, v4
	v_mul_f32_e32 v7, 0x3fb8aa3b, v2
	v_fma_f32 v12, v0, s0, -v5
	v_rndne_f32_e32 v18, v5
	v_fmac_f32_e32 v10, 0x32a5705f, v1
	v_sub_f32_e32 v4, v4, v11
	v_mul_f32_e32 v8, 0x3fb8aa3b, v3
	v_fma_f32 v19, v2, s0, -v7
	v_rndne_f32_e32 v20, v7
	v_fmac_f32_e32 v12, 0x32a5705f, v0
	v_sub_f32_e32 v5, v5, v18
	v_add_f32_e32 v4, v4, v10
	v_fma_f32 v21, v3, s0, -v8
	v_rndne_f32_e32 v22, v8
	v_cvt_i32_f32_e32 v11, v11
	v_fmac_f32_e32 v19, 0x32a5705f, v2
	v_sub_f32_e32 v7, v7, v20
	v_add_f32_e32 v5, v5, v12
	v_exp_f32_e32 v4, v4
	v_cvt_i32_f32_e32 v18, v18
	v_fmac_f32_e32 v21, 0x32a5705f, v3
	v_sub_f32_e32 v8, v8, v22
	v_add_f32_e32 v7, v7, v19
	v_exp_f32_e32 v5, v5
	v_cvt_i32_f32_e32 v20, v20
	v_add_f32_e32 v8, v8, v21
	v_exp_f32_e32 v7, v7
	v_cvt_i32_f32_e32 v22, v22
	v_exp_f32_e32 v8, v8
	v_ldexp_f32 v4, v4, v11
	v_cmp_ngt_f32_e32 vcc, s1, v1
	v_ldexp_f32 v5, v5, v18
	v_cndmask_b32_e32 v4, 0, v4, vcc
	v_cmp_ngt_f32_e32 vcc, s1, v0
	v_ldexp_f32 v7, v7, v20
	v_cndmask_b32_e32 v5, 0, v5, vcc
	;; [unrolled: 3-line block ×3, first 2 shown]
	v_cmp_ngt_f32_e32 vcc, s1, v3
	v_cndmask_b32_e32 v8, 0, v8, vcc
	v_cmp_nlt_f32_e32 vcc, s2, v1
	v_cndmask_b32_e32 v1, v6, v4, vcc
	v_cmp_nlt_f32_e32 vcc, s2, v0
	;; [unrolled: 2-line block ×4, first 2 shown]
	v_add_f32_e32 v4, v0, v1
	v_cndmask_b32_e32 v3, v6, v8, vcc
	v_add_f32_e32 v4, v4, v2
	v_add_f32_e32 v4, v4, v3
	ds_bpermute_b32 v5, v14, v4
	s_load_dwordx2 s[0:1], s[4:5], 0x40
	v_lshlrev_b32_e32 v18, 2, v13
	s_waitcnt lgkmcnt(0)
	v_add_f32_e32 v4, v4, v5
	ds_bpermute_b32 v5, v15, v4
	s_cmp_eq_u64 s[0:1], 0
	s_waitcnt lgkmcnt(0)
	v_add_f32_e32 v4, v4, v5
	ds_bpermute_b32 v5, v16, v4
	s_waitcnt lgkmcnt(0)
	v_add_f32_e32 v4, v4, v5
	ds_bpermute_b32 v5, v17, v4
	s_waitcnt lgkmcnt(0)
	v_add_f32_e32 v4, v4, v5
	v_div_scale_f32 v5, s[2:3], v4, v4, 1.0
	v_rcp_f32_e32 v6, v5
	v_div_scale_f32 v7, vcc, 1.0, v4, 1.0
	v_fma_f32 v8, -v5, v6, 1.0
	v_fmac_f32_e32 v6, v8, v6
	v_mul_f32_e32 v8, v7, v6
	v_fma_f32 v10, -v5, v8, v7
	v_fmac_f32_e32 v8, v10, v6
	v_fma_f32 v5, -v5, v8, v7
	v_div_fmas_f32 v5, v5, v6, v8
	v_div_fixup_f32 v4, v5, v4, 1.0
	v_mul_f32_e32 v0, v4, v0
	v_mul_f32_e32 v1, v4, v1
	v_cmp_class_f32_e64 vcc, v0, s8
	v_mul_f32_e32 v2, v4, v2
	v_cndmask_b32_e32 v0, 0, v0, vcc
	v_cmp_class_f32_e64 vcc, v1, s8
	v_mul_f32_e32 v3, v4, v3
	v_cndmask_b32_e32 v1, 0, v1, vcc
	v_cmp_class_f32_e64 vcc, v2, s8
	v_cndmask_b32_e32 v2, 0, v2, vcc
	v_cmp_class_f32_e64 vcc, v3, s8
	v_cndmask_b32_e32 v3, 0, v3, vcc
	s_cbranch_scc1 .LBB58_23
; %bb.4:
	v_lshlrev_b32_e32 v4, 2, v18
	global_load_dwordx4 v[4:7], v4, s[0:1]
	s_waitcnt vmcnt(0)
	v_pk_add_f32 v[4:5], v[4:5], v[0:1]
	v_pk_add_f32 v[6:7], v[6:7], v[2:3]
	s_cbranch_execnz .LBB58_6
.LBB58_5:
	v_pk_mov_b32 v[6:7], v[2:3], v[2:3] op_sel:[0,1]
	v_pk_mov_b32 v[4:5], v[0:1], v[0:1] op_sel:[0,1]
.LBB58_6:
	s_load_dwordx4 s[8:11], s[4:5], 0x30
	s_mov_b32 s25, 0
	v_cmp_eq_u32_e64 s[0:1], 0, v13
	s_waitcnt lgkmcnt(0)
	s_bitcmp1_b32 s11, 0
	s_cselect_b64 vcc, -1, 0
	s_cmp_gt_i32 s8, 0
	s_cselect_b64 s[20:21], -1, 0
	s_cmp_lt_i32 s8, 1
	s_cbranch_scc1 .LBB58_24
; %bb.7:
	s_load_dwordx4 s[12:15], s[4:5], 0x20
	v_mul_lo_u32 v20, v9, s8
	v_mov_b32_e32 v19, 0
	v_mov_b32_e32 v21, 0xc61c4000
	;; [unrolled: 1-line block ×3, first 2 shown]
	s_branch .LBB58_10
.LBB58_8:                               ;   in Loop: Header=BB58_10 Depth=1
	s_or_b64 exec, exec, s[4:5]
.LBB58_9:                               ;   in Loop: Header=BB58_10 Depth=1
	s_cmp_eq_u32 s8, s25
	v_add_u32_e32 v22, s24, v22
	s_cbranch_scc1 .LBB58_25
.LBB58_10:                              ; =>This Inner Loop Header: Depth=1
	v_cmp_gt_f32_e64 s[2:3], v5, v4
	v_cndmask_b32_e64 v8, v4, v5, s[2:3]
	v_cndmask_b32_e64 v10, v0, v1, s[2:3]
	s_waitcnt lgkmcnt(0)
	v_cndmask_b32_e64 v11, 0, 1, s[2:3]
	v_cmp_gt_f32_e64 s[2:3], v6, v8
	v_cndmask_b32_e64 v8, v8, v6, s[2:3]
	v_cndmask_b32_e64 v10, v10, v2, s[2:3]
	;; [unrolled: 1-line block ×3, first 2 shown]
	v_cmp_gt_f32_e64 s[2:3], v7, v8
	v_cndmask_b32_e64 v11, v11, 3, s[2:3]
	v_cndmask_b32_e64 v8, v8, v7, s[2:3]
	v_or_b32_e32 v11, v18, v11
	ds_bpermute_b32 v12, v14, v8
	ds_bpermute_b32 v23, v14, v11
	v_cndmask_b32_e64 v10, v10, v3, s[2:3]
	ds_bpermute_b32 v25, v14, v10
	s_waitcnt lgkmcnt(0)
	v_cmp_eq_f32_e64 s[4:5], v8, v12
	v_cmp_lt_i32_e64 s[6:7], v23, v11
	v_cmp_lt_f32_e64 s[2:3], v8, v12
	s_and_b64 s[4:5], s[4:5], s[6:7]
	s_or_b64 s[2:3], s[2:3], s[4:5]
	v_cndmask_b32_e64 v24, v11, v23, s[2:3]
	v_cndmask_b32_e64 v23, v8, v12, s[2:3]
	;; [unrolled: 1-line block ×3, first 2 shown]
	ds_bpermute_b32 v26, v15, v23
	ds_bpermute_b32 v12, v15, v8
	;; [unrolled: 1-line block ×3, first 2 shown]
                                        ; implicit-def: $vgpr10_vgpr11
	s_waitcnt lgkmcnt(2)
	v_cmp_lt_f32_e64 s[6:7], v23, v26
	v_cmp_nlt_f32_e64 s[2:3], v23, v26
	s_and_saveexec_b64 s[22:23], s[2:3]
	s_cbranch_execz .LBB58_12
; %bb.11:                               ;   in Loop: Header=BB58_10 Depth=1
	v_cmp_eq_f32_e64 s[2:3], v23, v26
	s_waitcnt lgkmcnt(0)
	v_cmp_lt_i32_e64 s[4:5], v25, v24
	s_and_b64 s[2:3], s[2:3], s[4:5]
	s_andn2_b64 s[4:5], s[6:7], exec
	s_and_b64 s[2:3], s[2:3], exec
	s_or_b64 s[6:7], s[4:5], s[2:3]
	v_pk_mov_b32 v[10:11], v[8:9], v[8:9] op_sel:[0,1]
.LBB58_12:                              ;   in Loop: Header=BB58_10 Depth=1
	s_or_b64 exec, exec, s[22:23]
	s_and_saveexec_b64 s[2:3], s[6:7]
	s_cbranch_execz .LBB58_14
; %bb.13:                               ;   in Loop: Header=BB58_10 Depth=1
	v_mov_b32_e32 v23, v26
	s_waitcnt lgkmcnt(1)
	v_mov_b32_e32 v8, v12
	s_waitcnt lgkmcnt(0)
	v_mov_b32_e32 v24, v25
	v_pk_mov_b32 v[10:11], v[12:13], v[12:13] op_sel:[0,1]
.LBB58_14:                              ;   in Loop: Header=BB58_10 Depth=1
	s_or_b64 exec, exec, s[2:3]
	s_waitcnt lgkmcnt(0)
	ds_bpermute_b32 v25, v16, v23
	ds_bpermute_b32 v12, v16, v8
	;; [unrolled: 1-line block ×3, first 2 shown]
	s_waitcnt lgkmcnt(2)
	v_cmp_lt_f32_e64 s[6:7], v23, v25
	v_cmp_nlt_f32_e64 s[2:3], v23, v25
	s_and_saveexec_b64 s[22:23], s[2:3]
	s_cbranch_execz .LBB58_16
; %bb.15:                               ;   in Loop: Header=BB58_10 Depth=1
	v_cmp_eq_f32_e64 s[2:3], v23, v25
	s_waitcnt lgkmcnt(0)
	v_cmp_lt_i32_e64 s[4:5], v11, v24
	s_and_b64 s[2:3], s[2:3], s[4:5]
	s_andn2_b64 s[4:5], s[6:7], exec
	s_and_b64 s[2:3], s[2:3], exec
	s_or_b64 s[6:7], s[4:5], s[2:3]
.LBB58_16:                              ;   in Loop: Header=BB58_10 Depth=1
	s_or_b64 exec, exec, s[22:23]
	s_and_saveexec_b64 s[2:3], s[6:7]
	s_cbranch_execz .LBB58_18
; %bb.17:                               ;   in Loop: Header=BB58_10 Depth=1
	v_mov_b32_e32 v23, v25
	s_waitcnt lgkmcnt(1)
	v_mov_b32_e32 v8, v12
	s_waitcnt lgkmcnt(0)
	v_mov_b32_e32 v24, v11
	v_pk_mov_b32 v[10:11], v[12:13], v[12:13] op_sel:[0,1]
.LBB58_18:                              ;   in Loop: Header=BB58_10 Depth=1
	s_or_b64 exec, exec, s[2:3]
	s_waitcnt lgkmcnt(1)
	ds_bpermute_b32 v12, v17, v23
	ds_bpermute_b32 v25, v17, v24
	s_waitcnt lgkmcnt(2)
	ds_bpermute_b32 v11, v17, v8
	s_waitcnt lgkmcnt(2)
	v_cmp_eq_f32_e64 s[4:5], v23, v12
	s_waitcnt lgkmcnt(1)
	v_cmp_lt_i32_e64 s[6:7], v25, v24
	v_cmp_lt_f32_e64 s[2:3], v23, v12
	s_and_b64 s[4:5], s[4:5], s[6:7]
	s_or_b64 s[2:3], s[2:3], s[4:5]
	v_cndmask_b32_e64 v8, v24, v25, s[2:3]
	s_and_saveexec_b64 s[6:7], s[0:1]
	s_cbranch_execnz .LBB58_20
; %bb.19:                               ;   in Loop: Header=BB58_10 Depth=1
	s_or_b64 exec, exec, s[6:7]
	s_add_i32 s25, s25, 1
	s_cmp_ge_i32 s25, s8
	s_cbranch_scc1 .LBB58_9
	s_branch .LBB58_21
.LBB58_20:                              ;   in Loop: Header=BB58_10 Depth=1
	s_waitcnt lgkmcnt(0)
	v_cndmask_b32_e64 v12, v10, v11, s[2:3]
	v_add_u32_e32 v10, s25, v20
	v_ashrrev_i32_e32 v11, 31, v10
	v_cmp_le_i32_e64 s[2:3], s9, v8
	v_cmp_gt_i32_e64 s[4:5], s10, v8
	v_lshlrev_b64 v[24:25], 2, v[10:11]
	s_and_b64 s[4:5], s[2:3], s[4:5]
	v_mov_b32_e32 v23, s17
	v_add_co_u32_e64 v26, s[2:3], s16, v24
	v_addc_co_u32_e64 v27, s[2:3], v23, v25, s[2:3]
	v_subrev_u32_e32 v23, s9, v8
	global_store_dword v[26:27], v12, off
	v_ashrrev_i32_e32 v26, 31, v23
	s_and_b64 s[2:3], s[18:19], s[4:5]
	v_lshlrev_b64 v[10:11], 3, v[10:11]
	v_cndmask_b32_e64 v27, 0, v26, s[2:3]
	v_cndmask_b32_e64 v26, 64, v23, s[2:3]
	v_mov_b32_e32 v23, s13
	v_add_co_u32_e64 v10, s[2:3], s12, v10
	v_addc_co_u32_e64 v11, s[2:3], v23, v11, s[2:3]
	global_store_dwordx2 v[10:11], v[26:27], off
	v_mov_b32_e32 v11, s15
	v_add_co_u32_e64 v10, s[2:3], s14, v24
	v_addc_co_u32_e64 v11, s[2:3], v11, v25, s[2:3]
	global_store_dword v[10:11], v22, off
	v_add_f32_e32 v10, v19, v12
	v_cndmask_b32_e32 v19, v19, v10, vcc
	s_or_b64 exec, exec, s[6:7]
	s_add_i32 s25, s25, 1
	s_cmp_ge_i32 s25, s8
	s_cbranch_scc1 .LBB58_9
.LBB58_21:                              ;   in Loop: Header=BB58_10 Depth=1
	s_waitcnt lgkmcnt(0)
	v_ashrrev_i32_e32 v11, 31, v8
	v_lshrrev_b32_e32 v10, 30, v11
	v_add_u32_e32 v12, v8, v10
	v_ashrrev_i32_e32 v10, 2, v12
	v_ashrrev_i32_e32 v12, 31, v12
	v_lshrrev_b32_e32 v12, 28, v12
	v_add_u32_e32 v12, v10, v12
	v_and_b32_e32 v12, -16, v12
	v_sub_u32_e32 v12, v10, v12
	v_cmp_eq_u32_e64 s[2:3], v13, v12
	s_and_saveexec_b64 s[4:5], s[2:3]
	s_cbranch_execz .LBB58_8
; %bb.22:                               ;   in Loop: Header=BB58_10 Depth=1
	v_lshrrev_b32_e32 v11, 26, v11
	v_add_u32_e32 v11, v8, v11
	v_lshlrev_b32_e32 v10, 2, v10
	v_ashrrev_i32_e32 v11, 6, v11
	v_sub_u32_e32 v8, v8, v10
	v_lshl_add_u32 v8, v11, 2, v8
	v_cmp_ne_u32_e64 s[2:3], 3, v8
	v_cndmask_b32_e64 v7, v21, v7, s[2:3]
	v_cmp_ne_u32_e64 s[2:3], 2, v8
	v_cndmask_b32_e64 v6, v21, v6, s[2:3]
	;; [unrolled: 2-line block ×4, first 2 shown]
	s_branch .LBB58_8
.LBB58_23:
                                        ; implicit-def: $vgpr4_vgpr5_vgpr6_vgpr7
	s_andn2_b64 vcc, exec, s[6:7]
	s_cbranch_vccz .LBB58_5
	s_branch .LBB58_6
.LBB58_24:
	v_mov_b32_e32 v19, 0
.LBB58_25:
	v_cmp_eq_u32_e64 s[0:1], 0, v13
	s_and_b64 s[0:1], s[0:1], vcc
	s_and_b64 exec, exec, s[0:1]
	s_cbranch_execz .LBB58_34
; %bb.26:
	s_andn2_b64 vcc, exec, s[20:21]
	s_cbranch_vccnz .LBB58_34
; %bb.27:
	v_cmp_lt_f32_e32 vcc, 0, v19
	s_mov_b32 s2, 0
	v_cndmask_b32_e32 v0, 1.0, v19, vcc
	v_mul_lo_u32 v4, v9, s8
	s_cmp_eq_u32 s8, 1
	s_mov_b64 s[0:1], -1
	s_cbranch_scc1 .LBB58_31
; %bb.28:
	s_and_b32 s2, s8, 0x7ffffffe
	v_mov_b32_e32 v1, v0
	v_mov_b32_e32 v5, s17
	s_mov_b32 s3, s2
	v_mov_b32_e32 v2, v4
.LBB58_29:                              ; =>This Inner Loop Header: Depth=1
	v_ashrrev_i32_e32 v3, 31, v2
	v_lshlrev_b64 v[6:7], 2, v[2:3]
	v_add_co_u32_e32 v6, vcc, s16, v6
	v_addc_co_u32_e32 v7, vcc, v5, v7, vcc
	global_load_dwordx2 v[8:9], v[6:7], off
	s_add_i32 s3, s3, -2
	s_cmp_lg_u32 s3, 0
	v_add_u32_e32 v2, 2, v2
	s_waitcnt vmcnt(0)
	v_div_scale_f32 v3, s[0:1], v1, v1, v9
	s_waitcnt lgkmcnt(0)
	v_div_scale_f32 v11, s[0:1], v0, v0, v8
	v_rcp_f32_e32 v12, v3
	v_rcp_f32_e32 v13, v11
	v_div_scale_f32 v10, vcc, v9, v1, v9
	v_fma_f32 v15, -v3, v12, 1.0
	v_fma_f32 v16, -v11, v13, 1.0
	v_fmac_f32_e32 v12, v15, v12
	v_div_scale_f32 v14, s[0:1], v8, v0, v8
	v_fmac_f32_e32 v13, v16, v13
	v_mul_f32_e32 v15, v10, v12
	v_mul_f32_e32 v16, v14, v13
	v_fma_f32 v17, -v3, v15, v10
	v_fma_f32 v18, -v11, v16, v14
	v_fmac_f32_e32 v15, v17, v12
	v_fmac_f32_e32 v16, v18, v13
	v_fma_f32 v3, -v3, v15, v10
	v_fma_f32 v10, -v11, v16, v14
	v_div_fmas_f32 v3, v3, v12, v15
	s_mov_b64 vcc, s[0:1]
	v_div_fixup_f32 v9, v3, v1, v9
	v_div_fmas_f32 v3, v10, v13, v16
	v_div_fixup_f32 v8, v3, v0, v8
	global_store_dwordx2 v[6:7], v[8:9], off
	s_cbranch_scc1 .LBB58_29
; %bb.30:
	s_cmp_lg_u32 s2, s8
	s_cselect_b64 s[0:1], -1, 0
.LBB58_31:
	s_and_b64 vcc, exec, s[0:1]
	s_cbranch_vccz .LBB58_34
; %bb.32:
	v_ashrrev_i32_e32 v1, 31, v4
	v_add_co_u32_e32 v2, vcc, s2, v4
	v_addc_co_u32_e32 v3, vcc, 0, v1, vcc
	v_lshlrev_b64 v[2:3], 2, v[2:3]
	v_mov_b32_e32 v1, s17
	v_add_co_u32_e32 v2, vcc, s16, v2
	s_sub_i32 s0, s8, s2
	v_addc_co_u32_e32 v3, vcc, v1, v3, vcc
.LBB58_33:                              ; =>This Inner Loop Header: Depth=1
	global_load_dword v1, v[2:3], off
	s_add_i32 s0, s0, -1
	s_cmp_lg_u32 s0, 0
	s_waitcnt vmcnt(0)
	v_div_scale_f32 v4, s[2:3], v0, v0, v1
	v_rcp_f32_e32 v5, v4
	v_div_scale_f32 v6, vcc, v1, v0, v1
	v_fma_f32 v7, -v4, v5, 1.0
	v_fmac_f32_e32 v5, v7, v5
	v_mul_f32_e32 v7, v6, v5
	v_fma_f32 v8, -v4, v7, v6
	v_fmac_f32_e32 v7, v8, v5
	v_fma_f32 v4, -v4, v7, v6
	v_div_fmas_f32 v4, v4, v5, v7
	v_div_fixup_f32 v1, v4, v0, v1
	global_store_dword v[2:3], v1, off
	v_add_co_u32_e32 v2, vcc, 4, v2
	v_addc_co_u32_e32 v3, vcc, 0, v3, vcc
	s_cbranch_scc1 .LBB58_33
.LBB58_34:
	s_endpgm
	.section	.rodata,"a",@progbits
	.p2align	6, 0x0
	.amdhsa_kernel _ZN4vllm3moe10topkGatingILi4ELi64ELi4ELi16ELi32ElfLNS0_11ScoringFuncE0EEEvPKT5_PKbPfiPT4_PiiiibPKf
		.amdhsa_group_segment_fixed_size 0
		.amdhsa_private_segment_fixed_size 0
		.amdhsa_kernarg_size 72
		.amdhsa_user_sgpr_count 6
		.amdhsa_user_sgpr_private_segment_buffer 1
		.amdhsa_user_sgpr_dispatch_ptr 0
		.amdhsa_user_sgpr_queue_ptr 0
		.amdhsa_user_sgpr_kernarg_segment_ptr 1
		.amdhsa_user_sgpr_dispatch_id 0
		.amdhsa_user_sgpr_flat_scratch_init 0
		.amdhsa_user_sgpr_kernarg_preload_length 0
		.amdhsa_user_sgpr_kernarg_preload_offset 0
		.amdhsa_user_sgpr_private_segment_size 0
		.amdhsa_uses_dynamic_stack 0
		.amdhsa_system_sgpr_private_segment_wavefront_offset 0
		.amdhsa_system_sgpr_workgroup_id_x 1
		.amdhsa_system_sgpr_workgroup_id_y 0
		.amdhsa_system_sgpr_workgroup_id_z 0
		.amdhsa_system_sgpr_workgroup_info 0
		.amdhsa_system_vgpr_workitem_id 1
		.amdhsa_next_free_vgpr 28
		.amdhsa_next_free_sgpr 26
		.amdhsa_accum_offset 28
		.amdhsa_reserve_vcc 1
		.amdhsa_reserve_flat_scratch 0
		.amdhsa_float_round_mode_32 0
		.amdhsa_float_round_mode_16_64 0
		.amdhsa_float_denorm_mode_32 3
		.amdhsa_float_denorm_mode_16_64 3
		.amdhsa_dx10_clamp 1
		.amdhsa_ieee_mode 1
		.amdhsa_fp16_overflow 0
		.amdhsa_tg_split 0
		.amdhsa_exception_fp_ieee_invalid_op 0
		.amdhsa_exception_fp_denorm_src 0
		.amdhsa_exception_fp_ieee_div_zero 0
		.amdhsa_exception_fp_ieee_overflow 0
		.amdhsa_exception_fp_ieee_underflow 0
		.amdhsa_exception_fp_ieee_inexact 0
		.amdhsa_exception_int_div_zero 0
	.end_amdhsa_kernel
	.section	.text._ZN4vllm3moe10topkGatingILi4ELi64ELi4ELi16ELi32ElfLNS0_11ScoringFuncE0EEEvPKT5_PKbPfiPT4_PiiiibPKf,"axG",@progbits,_ZN4vllm3moe10topkGatingILi4ELi64ELi4ELi16ELi32ElfLNS0_11ScoringFuncE0EEEvPKT5_PKbPfiPT4_PiiiibPKf,comdat
.Lfunc_end58:
	.size	_ZN4vllm3moe10topkGatingILi4ELi64ELi4ELi16ELi32ElfLNS0_11ScoringFuncE0EEEvPKT5_PKbPfiPT4_PiiiibPKf, .Lfunc_end58-_ZN4vllm3moe10topkGatingILi4ELi64ELi4ELi16ELi32ElfLNS0_11ScoringFuncE0EEEvPKT5_PKbPfiPT4_PiiiibPKf
                                        ; -- End function
	.section	.AMDGPU.csdata,"",@progbits
; Kernel info:
; codeLenInByte = 2488
; NumSgprs: 30
; NumVgprs: 28
; NumAgprs: 0
; TotalNumVgprs: 28
; ScratchSize: 0
; MemoryBound: 0
; FloatMode: 240
; IeeeMode: 1
; LDSByteSize: 0 bytes/workgroup (compile time only)
; SGPRBlocks: 3
; VGPRBlocks: 3
; NumSGPRsForWavesPerEU: 30
; NumVGPRsForWavesPerEU: 28
; AccumOffset: 28
; Occupancy: 8
; WaveLimiterHint : 0
; COMPUTE_PGM_RSRC2:SCRATCH_EN: 0
; COMPUTE_PGM_RSRC2:USER_SGPR: 6
; COMPUTE_PGM_RSRC2:TRAP_HANDLER: 0
; COMPUTE_PGM_RSRC2:TGID_X_EN: 1
; COMPUTE_PGM_RSRC2:TGID_Y_EN: 0
; COMPUTE_PGM_RSRC2:TGID_Z_EN: 0
; COMPUTE_PGM_RSRC2:TIDIG_COMP_CNT: 1
; COMPUTE_PGM_RSRC3_GFX90A:ACCUM_OFFSET: 6
; COMPUTE_PGM_RSRC3_GFX90A:TG_SPLIT: 0
	.section	.text._ZN4vllm3moe10topkGatingILi4ELi128ELi4ELi16ELi64ElfLNS0_11ScoringFuncE0EEEvPKT5_PKbPfiPT4_PiiiibPKf,"axG",@progbits,_ZN4vllm3moe10topkGatingILi4ELi128ELi4ELi16ELi64ElfLNS0_11ScoringFuncE0EEEvPKT5_PKbPfiPT4_PiiiibPKf,comdat
	.protected	_ZN4vllm3moe10topkGatingILi4ELi128ELi4ELi16ELi64ElfLNS0_11ScoringFuncE0EEEvPKT5_PKbPfiPT4_PiiiibPKf ; -- Begin function _ZN4vllm3moe10topkGatingILi4ELi128ELi4ELi16ELi64ElfLNS0_11ScoringFuncE0EEEvPKT5_PKbPfiPT4_PiiiibPKf
	.globl	_ZN4vllm3moe10topkGatingILi4ELi128ELi4ELi16ELi64ElfLNS0_11ScoringFuncE0EEEvPKT5_PKbPfiPT4_PiiiibPKf
	.p2align	8
	.type	_ZN4vllm3moe10topkGatingILi4ELi128ELi4ELi16ELi64ElfLNS0_11ScoringFuncE0EEEvPKT5_PKbPfiPT4_PiiiibPKf,@function
_ZN4vllm3moe10topkGatingILi4ELi128ELi4ELi16ELi64ElfLNS0_11ScoringFuncE0EEEvPKT5_PKbPfiPT4_PiiiibPKf: ; @_ZN4vllm3moe10topkGatingILi4ELi128ELi4ELi16ELi64ElfLNS0_11ScoringFuncE0EEEvPKT5_PKbPfiPT4_PiiiibPKf
; %bb.0:
	s_load_dword s24, s[4:5], 0x18
	v_bfe_u32 v1, v0, 10, 10
	v_and_b32_e32 v0, 0x3ff, v0
	s_lshl_b32 s0, s6, 3
	v_lshlrev_b32_e32 v1, 1, v1
	v_lshrrev_b32_e32 v2, 5, v0
	v_add3_u32 v9, s0, v1, v2
	s_waitcnt lgkmcnt(0)
	v_cmp_gt_i32_e32 vcc, s24, v9
	s_and_saveexec_b64 s[0:1], vcc
	s_cbranch_execz .LBB59_38
; %bb.1:
	s_load_dwordx4 s[0:3], s[4:5], 0x0
	s_load_dwordx2 s[16:17], s[4:5], 0x10
	s_mov_b64 s[6:7], -1
	s_mov_b64 s[18:19], -1
	s_waitcnt lgkmcnt(0)
	s_cmp_eq_u64 s[2:3], 0
	s_cbranch_scc1 .LBB59_3
; %bb.2:
	v_ashrrev_i32_e32 v1, 31, v9
	v_mov_b32_e32 v3, s3
	v_add_co_u32_e32 v2, vcc, s2, v9
	v_addc_co_u32_e32 v3, vcc, v3, v1, vcc
	global_load_ubyte v1, v[2:3], off
	s_waitcnt vmcnt(0)
	v_and_b32_e32 v1, 1, v1
	v_cmp_eq_u32_e32 vcc, 1, v1
	s_xor_b64 s[2:3], vcc, -1
	s_orn2_b64 s[18:19], s[2:3], exec
.LBB59_3:
	v_lshlrev_b32_e32 v2, 7, v9
	v_ashrrev_i32_e32 v3, 31, v2
	v_lshlrev_b64 v[2:3], 2, v[2:3]
	v_mov_b32_e32 v1, s1
	v_add_co_u32_e32 v2, vcc, s0, v2
	v_and_b32_e32 v13, 31, v0
	v_addc_co_u32_e32 v1, vcc, v1, v3, vcc
	v_lshlrev_b32_e32 v0, 4, v13
	v_add_co_u32_e32 v0, vcc, v2, v0
	v_addc_co_u32_e32 v1, vcc, 0, v1, vcc
	global_load_dwordx4 v[0:3], v[0:1], off
	v_mbcnt_lo_u32_b32 v4, -1, 0
	v_mbcnt_hi_u32_b32 v4, -1, v4
	v_and_b32_e32 v5, 0x60, v4
	v_xor_b32_e32 v6, 16, v4
	v_add_u32_e32 v5, 32, v5
	v_cmp_lt_i32_e32 vcc, v6, v5
	v_cndmask_b32_e32 v6, v4, v6, vcc
	v_lshlrev_b32_e32 v14, 2, v6
	v_xor_b32_e32 v8, 8, v4
	v_cmp_lt_i32_e32 vcc, v8, v5
	v_cndmask_b32_e32 v8, v4, v8, vcc
	v_lshlrev_b32_e32 v15, 2, v8
	v_xor_b32_e32 v8, 4, v4
	;; [unrolled: 4-line block ×4, first 2 shown]
	v_cmp_lt_i32_e32 vcc, v8, v5
	v_cndmask_b32_e32 v4, v4, v8, vcc
	v_lshlrev_b32_e32 v18, 2, v4
	s_mov_b32 s0, 0x3fb8aa3b
	s_mov_b32 s1, 0xc2ce8ed0
	s_mov_b32 s2, 0x42b17218
	s_movk_i32 s8, 0x1f8
	s_waitcnt vmcnt(0)
	v_max_f32_e32 v6, v1, v1
	v_max_f32_e32 v7, v0, v0
	v_max_f32_e32 v6, v7, v6
	v_max3_f32 v6, v6, v2, v3
	ds_bpermute_b32 v7, v14, v6
	s_waitcnt lgkmcnt(0)
	v_max_f32_e32 v7, v7, v7
	v_max_f32_e32 v6, v6, v7
	ds_bpermute_b32 v7, v15, v6
	s_waitcnt lgkmcnt(0)
	v_max_f32_e32 v7, v7, v7
	v_max_f32_e32 v6, v6, v7
	;; [unrolled: 4-line block ×4, first 2 shown]
	ds_bpermute_b32 v5, v18, v4
	v_mov_b32_e32 v6, 0x7f800000
	s_waitcnt lgkmcnt(0)
	v_max_f32_e32 v5, v5, v5
	v_max_f32_e32 v4, v4, v5
	v_pk_add_f32 v[0:1], v[0:1], v[4:5] op_sel_hi:[1,0] neg_lo:[0,1] neg_hi:[0,1]
	v_sub_f32_e32 v2, v2, v4
	v_sub_f32_e32 v3, v3, v4
	v_mul_f32_e32 v4, 0x3fb8aa3b, v1
	v_mul_f32_e32 v5, 0x3fb8aa3b, v0
	v_fma_f32 v10, v1, s0, -v4
	v_rndne_f32_e32 v11, v4
	v_mul_f32_e32 v7, 0x3fb8aa3b, v2
	v_fma_f32 v12, v0, s0, -v5
	v_rndne_f32_e32 v19, v5
	v_fmac_f32_e32 v10, 0x32a5705f, v1
	v_sub_f32_e32 v4, v4, v11
	v_mul_f32_e32 v8, 0x3fb8aa3b, v3
	v_fma_f32 v20, v2, s0, -v7
	v_rndne_f32_e32 v21, v7
	v_fmac_f32_e32 v12, 0x32a5705f, v0
	v_sub_f32_e32 v5, v5, v19
	v_add_f32_e32 v4, v4, v10
	v_fma_f32 v22, v3, s0, -v8
	v_rndne_f32_e32 v23, v8
	v_cvt_i32_f32_e32 v11, v11
	v_fmac_f32_e32 v20, 0x32a5705f, v2
	v_sub_f32_e32 v7, v7, v21
	v_add_f32_e32 v5, v5, v12
	v_exp_f32_e32 v4, v4
	v_cvt_i32_f32_e32 v19, v19
	v_fmac_f32_e32 v22, 0x32a5705f, v3
	v_sub_f32_e32 v8, v8, v23
	v_add_f32_e32 v7, v7, v20
	v_exp_f32_e32 v5, v5
	v_cvt_i32_f32_e32 v21, v21
	v_add_f32_e32 v8, v8, v22
	v_exp_f32_e32 v7, v7
	v_cvt_i32_f32_e32 v23, v23
	v_exp_f32_e32 v8, v8
	v_ldexp_f32 v4, v4, v11
	v_cmp_ngt_f32_e32 vcc, s1, v1
	v_ldexp_f32 v5, v5, v19
	v_cndmask_b32_e32 v4, 0, v4, vcc
	v_cmp_ngt_f32_e32 vcc, s1, v0
	v_ldexp_f32 v7, v7, v21
	v_cndmask_b32_e32 v5, 0, v5, vcc
	;; [unrolled: 3-line block ×3, first 2 shown]
	v_cmp_ngt_f32_e32 vcc, s1, v3
	v_cndmask_b32_e32 v8, 0, v8, vcc
	v_cmp_nlt_f32_e32 vcc, s2, v1
	v_cndmask_b32_e32 v1, v6, v4, vcc
	v_cmp_nlt_f32_e32 vcc, s2, v0
	;; [unrolled: 2-line block ×4, first 2 shown]
	v_add_f32_e32 v4, v0, v1
	v_cndmask_b32_e32 v3, v6, v8, vcc
	v_add_f32_e32 v4, v4, v2
	v_add_f32_e32 v4, v4, v3
	ds_bpermute_b32 v5, v14, v4
	s_load_dwordx2 s[0:1], s[4:5], 0x40
	v_lshlrev_b32_e32 v19, 2, v13
	s_waitcnt lgkmcnt(0)
	v_add_f32_e32 v4, v4, v5
	ds_bpermute_b32 v5, v15, v4
	s_cmp_eq_u64 s[0:1], 0
	s_waitcnt lgkmcnt(0)
	v_add_f32_e32 v4, v4, v5
	ds_bpermute_b32 v5, v16, v4
	s_waitcnt lgkmcnt(0)
	v_add_f32_e32 v4, v4, v5
	ds_bpermute_b32 v5, v17, v4
	;; [unrolled: 3-line block ×3, first 2 shown]
	s_waitcnt lgkmcnt(0)
	v_add_f32_e32 v4, v4, v5
	v_div_scale_f32 v5, s[2:3], v4, v4, 1.0
	v_rcp_f32_e32 v6, v5
	v_div_scale_f32 v7, vcc, 1.0, v4, 1.0
	v_fma_f32 v8, -v5, v6, 1.0
	v_fmac_f32_e32 v6, v8, v6
	v_mul_f32_e32 v8, v7, v6
	v_fma_f32 v10, -v5, v8, v7
	v_fmac_f32_e32 v8, v10, v6
	v_fma_f32 v5, -v5, v8, v7
	v_div_fmas_f32 v5, v5, v6, v8
	v_div_fixup_f32 v4, v5, v4, 1.0
	v_mul_f32_e32 v0, v4, v0
	v_mul_f32_e32 v1, v4, v1
	v_cmp_class_f32_e64 vcc, v0, s8
	v_mul_f32_e32 v2, v4, v2
	v_cndmask_b32_e32 v0, 0, v0, vcc
	v_cmp_class_f32_e64 vcc, v1, s8
	v_mul_f32_e32 v3, v4, v3
	v_cndmask_b32_e32 v1, 0, v1, vcc
	v_cmp_class_f32_e64 vcc, v2, s8
	v_cndmask_b32_e32 v2, 0, v2, vcc
	v_cmp_class_f32_e64 vcc, v3, s8
	v_cndmask_b32_e32 v3, 0, v3, vcc
	s_cbranch_scc1 .LBB59_27
; %bb.4:
	v_lshlrev_b32_e32 v4, 2, v19
	global_load_dwordx4 v[4:7], v4, s[0:1]
	s_waitcnt vmcnt(0)
	v_pk_add_f32 v[4:5], v[4:5], v[0:1]
	v_pk_add_f32 v[6:7], v[6:7], v[2:3]
	s_cbranch_execnz .LBB59_6
.LBB59_5:
	v_pk_mov_b32 v[6:7], v[2:3], v[2:3] op_sel:[0,1]
	v_pk_mov_b32 v[4:5], v[0:1], v[0:1] op_sel:[0,1]
.LBB59_6:
	s_load_dwordx4 s[8:11], s[4:5], 0x30
	s_mov_b32 s25, 0
	v_cmp_eq_u32_e64 s[0:1], 0, v13
	s_waitcnt lgkmcnt(0)
	s_bitcmp1_b32 s11, 0
	s_cselect_b64 vcc, -1, 0
	s_cmp_gt_i32 s8, 0
	s_cselect_b64 s[20:21], -1, 0
	s_cmp_lt_i32 s8, 1
	s_cbranch_scc1 .LBB59_28
; %bb.7:
	s_load_dwordx4 s[12:15], s[4:5], 0x20
	v_mul_lo_u32 v21, v9, s8
	v_mov_b32_e32 v20, 0
	v_mov_b32_e32 v22, 0x80
	;; [unrolled: 1-line block ×4, first 2 shown]
	s_branch .LBB59_10
.LBB59_8:                               ;   in Loop: Header=BB59_10 Depth=1
	s_or_b64 exec, exec, s[4:5]
.LBB59_9:                               ;   in Loop: Header=BB59_10 Depth=1
	s_cmp_eq_u32 s8, s25
	v_add_u32_e32 v24, s24, v24
	s_cbranch_scc1 .LBB59_29
.LBB59_10:                              ; =>This Inner Loop Header: Depth=1
	v_cmp_gt_f32_e64 s[2:3], v5, v4
	v_cndmask_b32_e64 v8, v4, v5, s[2:3]
	v_cndmask_b32_e64 v10, v0, v1, s[2:3]
	s_waitcnt lgkmcnt(0)
	v_cndmask_b32_e64 v11, 0, 1, s[2:3]
	v_cmp_gt_f32_e64 s[2:3], v6, v8
	v_cndmask_b32_e64 v8, v8, v6, s[2:3]
	v_cndmask_b32_e64 v10, v10, v2, s[2:3]
	v_cndmask_b32_e64 v11, v11, 2, s[2:3]
	v_cmp_gt_f32_e64 s[2:3], v7, v8
	v_cndmask_b32_e64 v11, v11, 3, s[2:3]
	v_cndmask_b32_e64 v8, v8, v7, s[2:3]
	v_or_b32_e32 v11, v19, v11
	ds_bpermute_b32 v12, v14, v8
	ds_bpermute_b32 v25, v14, v11
	v_cndmask_b32_e64 v10, v10, v3, s[2:3]
	ds_bpermute_b32 v27, v14, v10
	s_waitcnt lgkmcnt(0)
	v_cmp_eq_f32_e64 s[4:5], v8, v12
	v_cmp_lt_i32_e64 s[6:7], v25, v11
	v_cmp_lt_f32_e64 s[2:3], v8, v12
	s_and_b64 s[4:5], s[4:5], s[6:7]
	s_or_b64 s[2:3], s[2:3], s[4:5]
	v_cndmask_b32_e64 v26, v11, v25, s[2:3]
	v_cndmask_b32_e64 v25, v8, v12, s[2:3]
	;; [unrolled: 1-line block ×3, first 2 shown]
	ds_bpermute_b32 v28, v15, v25
	ds_bpermute_b32 v12, v15, v8
	;; [unrolled: 1-line block ×3, first 2 shown]
                                        ; implicit-def: $vgpr10_vgpr11
	s_waitcnt lgkmcnt(2)
	v_cmp_lt_f32_e64 s[6:7], v25, v28
	v_cmp_nlt_f32_e64 s[2:3], v25, v28
	s_and_saveexec_b64 s[22:23], s[2:3]
	s_cbranch_execz .LBB59_12
; %bb.11:                               ;   in Loop: Header=BB59_10 Depth=1
	v_cmp_eq_f32_e64 s[2:3], v25, v28
	s_waitcnt lgkmcnt(0)
	v_cmp_lt_i32_e64 s[4:5], v27, v26
	s_and_b64 s[2:3], s[2:3], s[4:5]
	s_andn2_b64 s[4:5], s[6:7], exec
	s_and_b64 s[2:3], s[2:3], exec
	s_or_b64 s[6:7], s[4:5], s[2:3]
	v_pk_mov_b32 v[10:11], v[8:9], v[8:9] op_sel:[0,1]
.LBB59_12:                              ;   in Loop: Header=BB59_10 Depth=1
	s_or_b64 exec, exec, s[22:23]
	s_and_saveexec_b64 s[2:3], s[6:7]
	s_cbranch_execz .LBB59_14
; %bb.13:                               ;   in Loop: Header=BB59_10 Depth=1
	v_mov_b32_e32 v25, v28
	s_waitcnt lgkmcnt(1)
	v_mov_b32_e32 v8, v12
	s_waitcnt lgkmcnt(0)
	v_mov_b32_e32 v26, v27
	v_pk_mov_b32 v[10:11], v[12:13], v[12:13] op_sel:[0,1]
.LBB59_14:                              ;   in Loop: Header=BB59_10 Depth=1
	s_or_b64 exec, exec, s[2:3]
	s_waitcnt lgkmcnt(0)
	ds_bpermute_b32 v27, v16, v25
	ds_bpermute_b32 v12, v16, v8
	;; [unrolled: 1-line block ×3, first 2 shown]
	s_waitcnt lgkmcnt(2)
	v_cmp_lt_f32_e64 s[6:7], v25, v27
	v_cmp_nlt_f32_e64 s[2:3], v25, v27
	s_and_saveexec_b64 s[22:23], s[2:3]
	s_cbranch_execz .LBB59_16
; %bb.15:                               ;   in Loop: Header=BB59_10 Depth=1
	v_cmp_eq_f32_e64 s[2:3], v25, v27
	s_waitcnt lgkmcnt(0)
	v_cmp_lt_i32_e64 s[4:5], v11, v26
	s_and_b64 s[2:3], s[2:3], s[4:5]
	s_andn2_b64 s[4:5], s[6:7], exec
	s_and_b64 s[2:3], s[2:3], exec
	s_or_b64 s[6:7], s[4:5], s[2:3]
.LBB59_16:                              ;   in Loop: Header=BB59_10 Depth=1
	s_or_b64 exec, exec, s[22:23]
	s_and_saveexec_b64 s[2:3], s[6:7]
	s_cbranch_execz .LBB59_18
; %bb.17:                               ;   in Loop: Header=BB59_10 Depth=1
	v_mov_b32_e32 v25, v27
	s_waitcnt lgkmcnt(1)
	v_mov_b32_e32 v8, v12
	s_waitcnt lgkmcnt(0)
	v_mov_b32_e32 v26, v11
	v_pk_mov_b32 v[10:11], v[12:13], v[12:13] op_sel:[0,1]
.LBB59_18:                              ;   in Loop: Header=BB59_10 Depth=1
	s_or_b64 exec, exec, s[2:3]
	ds_bpermute_b32 v27, v17, v25
	s_waitcnt lgkmcnt(2)
	ds_bpermute_b32 v12, v17, v8
	s_waitcnt lgkmcnt(2)
	;; [unrolled: 2-line block ×3, first 2 shown]
	v_cmp_lt_f32_e64 s[6:7], v25, v27
	v_cmp_nlt_f32_e64 s[2:3], v25, v27
	s_and_saveexec_b64 s[22:23], s[2:3]
	s_cbranch_execz .LBB59_20
; %bb.19:                               ;   in Loop: Header=BB59_10 Depth=1
	v_cmp_eq_f32_e64 s[2:3], v25, v27
	s_waitcnt lgkmcnt(0)
	v_cmp_lt_i32_e64 s[4:5], v11, v26
	s_and_b64 s[2:3], s[2:3], s[4:5]
	s_andn2_b64 s[4:5], s[6:7], exec
	s_and_b64 s[2:3], s[2:3], exec
	s_or_b64 s[6:7], s[4:5], s[2:3]
.LBB59_20:                              ;   in Loop: Header=BB59_10 Depth=1
	s_or_b64 exec, exec, s[22:23]
	s_and_saveexec_b64 s[2:3], s[6:7]
	s_cbranch_execz .LBB59_22
; %bb.21:                               ;   in Loop: Header=BB59_10 Depth=1
	v_mov_b32_e32 v25, v27
	s_waitcnt lgkmcnt(1)
	v_mov_b32_e32 v8, v12
	s_waitcnt lgkmcnt(0)
	v_mov_b32_e32 v26, v11
	v_pk_mov_b32 v[10:11], v[12:13], v[12:13] op_sel:[0,1]
.LBB59_22:                              ;   in Loop: Header=BB59_10 Depth=1
	s_or_b64 exec, exec, s[2:3]
	s_waitcnt lgkmcnt(1)
	ds_bpermute_b32 v12, v18, v25
	ds_bpermute_b32 v27, v18, v26
	s_waitcnt lgkmcnt(2)
	ds_bpermute_b32 v11, v18, v8
	s_waitcnt lgkmcnt(2)
	v_cmp_eq_f32_e64 s[4:5], v25, v12
	s_waitcnt lgkmcnt(1)
	v_cmp_lt_i32_e64 s[6:7], v27, v26
	v_cmp_lt_f32_e64 s[2:3], v25, v12
	s_and_b64 s[4:5], s[4:5], s[6:7]
	s_or_b64 s[2:3], s[2:3], s[4:5]
	v_cndmask_b32_e64 v8, v26, v27, s[2:3]
	s_and_saveexec_b64 s[6:7], s[0:1]
	s_cbranch_execnz .LBB59_24
; %bb.23:                               ;   in Loop: Header=BB59_10 Depth=1
	s_or_b64 exec, exec, s[6:7]
	s_add_i32 s25, s25, 1
	s_cmp_ge_i32 s25, s8
	s_cbranch_scc1 .LBB59_9
	s_branch .LBB59_25
.LBB59_24:                              ;   in Loop: Header=BB59_10 Depth=1
	s_waitcnt lgkmcnt(0)
	v_cndmask_b32_e64 v12, v10, v11, s[2:3]
	v_add_u32_e32 v10, s25, v21
	v_ashrrev_i32_e32 v11, 31, v10
	v_cmp_le_i32_e64 s[2:3], s9, v8
	v_cmp_gt_i32_e64 s[4:5], s10, v8
	v_lshlrev_b64 v[26:27], 2, v[10:11]
	s_and_b64 s[4:5], s[2:3], s[4:5]
	v_mov_b32_e32 v25, s17
	v_add_co_u32_e64 v28, s[2:3], s16, v26
	v_addc_co_u32_e64 v29, s[2:3], v25, v27, s[2:3]
	v_subrev_u32_e32 v25, s9, v8
	global_store_dword v[28:29], v12, off
	v_ashrrev_i32_e32 v28, 31, v25
	s_and_b64 s[2:3], s[18:19], s[4:5]
	v_lshlrev_b64 v[10:11], 3, v[10:11]
	v_cndmask_b32_e64 v29, 0, v28, s[2:3]
	v_cndmask_b32_e64 v28, v22, v25, s[2:3]
	v_mov_b32_e32 v25, s13
	v_add_co_u32_e64 v10, s[2:3], s12, v10
	v_addc_co_u32_e64 v11, s[2:3], v25, v11, s[2:3]
	global_store_dwordx2 v[10:11], v[28:29], off
	v_mov_b32_e32 v11, s15
	v_add_co_u32_e64 v10, s[2:3], s14, v26
	v_addc_co_u32_e64 v11, s[2:3], v11, v27, s[2:3]
	global_store_dword v[10:11], v24, off
	v_add_f32_e32 v10, v20, v12
	v_cndmask_b32_e32 v20, v20, v10, vcc
	s_or_b64 exec, exec, s[6:7]
	s_add_i32 s25, s25, 1
	s_cmp_ge_i32 s25, s8
	s_cbranch_scc1 .LBB59_9
.LBB59_25:                              ;   in Loop: Header=BB59_10 Depth=1
	s_waitcnt lgkmcnt(0)
	v_ashrrev_i32_e32 v11, 31, v8
	v_lshrrev_b32_e32 v10, 30, v11
	v_add_u32_e32 v12, v8, v10
	v_ashrrev_i32_e32 v10, 2, v12
	v_ashrrev_i32_e32 v12, 31, v12
	v_lshrrev_b32_e32 v12, 27, v12
	v_add_u32_e32 v12, v10, v12
	v_and_b32_e32 v12, 0xffffffe0, v12
	v_sub_u32_e32 v12, v10, v12
	v_cmp_eq_u32_e64 s[2:3], v13, v12
	s_and_saveexec_b64 s[4:5], s[2:3]
	s_cbranch_execz .LBB59_8
; %bb.26:                               ;   in Loop: Header=BB59_10 Depth=1
	v_lshrrev_b32_e32 v11, 25, v11
	v_add_u32_e32 v11, v8, v11
	v_lshlrev_b32_e32 v10, 2, v10
	v_ashrrev_i32_e32 v11, 7, v11
	v_sub_u32_e32 v8, v8, v10
	v_lshl_add_u32 v8, v11, 2, v8
	v_cmp_ne_u32_e64 s[2:3], 3, v8
	v_cndmask_b32_e64 v7, v23, v7, s[2:3]
	v_cmp_ne_u32_e64 s[2:3], 2, v8
	v_cndmask_b32_e64 v6, v23, v6, s[2:3]
	;; [unrolled: 2-line block ×4, first 2 shown]
	s_branch .LBB59_8
.LBB59_27:
                                        ; implicit-def: $vgpr4_vgpr5_vgpr6_vgpr7
	s_andn2_b64 vcc, exec, s[6:7]
	s_cbranch_vccz .LBB59_5
	s_branch .LBB59_6
.LBB59_28:
	v_mov_b32_e32 v20, 0
.LBB59_29:
	v_cmp_eq_u32_e64 s[0:1], 0, v13
	s_and_b64 s[0:1], s[0:1], vcc
	s_and_b64 exec, exec, s[0:1]
	s_cbranch_execz .LBB59_38
; %bb.30:
	s_andn2_b64 vcc, exec, s[20:21]
	s_cbranch_vccnz .LBB59_38
; %bb.31:
	v_cmp_lt_f32_e32 vcc, 0, v20
	s_mov_b32 s2, 0
	v_cndmask_b32_e32 v0, 1.0, v20, vcc
	v_mul_lo_u32 v4, v9, s8
	s_cmp_eq_u32 s8, 1
	s_mov_b64 s[0:1], -1
	s_cbranch_scc1 .LBB59_35
; %bb.32:
	s_and_b32 s2, s8, 0x7ffffffe
	v_mov_b32_e32 v1, v0
	v_mov_b32_e32 v5, s17
	s_mov_b32 s3, s2
	v_mov_b32_e32 v2, v4
.LBB59_33:                              ; =>This Inner Loop Header: Depth=1
	v_ashrrev_i32_e32 v3, 31, v2
	v_lshlrev_b64 v[6:7], 2, v[2:3]
	v_add_co_u32_e32 v6, vcc, s16, v6
	v_addc_co_u32_e32 v7, vcc, v5, v7, vcc
	global_load_dwordx2 v[8:9], v[6:7], off
	s_add_i32 s3, s3, -2
	s_cmp_lg_u32 s3, 0
	v_add_u32_e32 v2, 2, v2
	s_waitcnt vmcnt(0)
	v_div_scale_f32 v3, s[0:1], v1, v1, v9
	s_waitcnt lgkmcnt(0)
	v_div_scale_f32 v11, s[0:1], v0, v0, v8
	v_rcp_f32_e32 v12, v3
	v_rcp_f32_e32 v13, v11
	v_div_scale_f32 v10, vcc, v9, v1, v9
	v_fma_f32 v15, -v3, v12, 1.0
	v_fma_f32 v16, -v11, v13, 1.0
	v_fmac_f32_e32 v12, v15, v12
	v_div_scale_f32 v14, s[0:1], v8, v0, v8
	v_fmac_f32_e32 v13, v16, v13
	v_mul_f32_e32 v15, v10, v12
	v_mul_f32_e32 v16, v14, v13
	v_fma_f32 v17, -v3, v15, v10
	v_fma_f32 v18, -v11, v16, v14
	v_fmac_f32_e32 v15, v17, v12
	v_fmac_f32_e32 v16, v18, v13
	v_fma_f32 v3, -v3, v15, v10
	v_fma_f32 v10, -v11, v16, v14
	v_div_fmas_f32 v3, v3, v12, v15
	s_mov_b64 vcc, s[0:1]
	v_div_fixup_f32 v9, v3, v1, v9
	v_div_fmas_f32 v3, v10, v13, v16
	v_div_fixup_f32 v8, v3, v0, v8
	global_store_dwordx2 v[6:7], v[8:9], off
	s_cbranch_scc1 .LBB59_33
; %bb.34:
	s_cmp_lg_u32 s2, s8
	s_cselect_b64 s[0:1], -1, 0
.LBB59_35:
	s_and_b64 vcc, exec, s[0:1]
	s_cbranch_vccz .LBB59_38
; %bb.36:
	v_ashrrev_i32_e32 v1, 31, v4
	v_add_co_u32_e32 v2, vcc, s2, v4
	v_addc_co_u32_e32 v3, vcc, 0, v1, vcc
	v_lshlrev_b64 v[2:3], 2, v[2:3]
	v_mov_b32_e32 v1, s17
	v_add_co_u32_e32 v2, vcc, s16, v2
	s_sub_i32 s0, s8, s2
	v_addc_co_u32_e32 v3, vcc, v1, v3, vcc
.LBB59_37:                              ; =>This Inner Loop Header: Depth=1
	global_load_dword v1, v[2:3], off
	s_add_i32 s0, s0, -1
	s_cmp_lg_u32 s0, 0
	s_waitcnt vmcnt(0)
	v_div_scale_f32 v4, s[2:3], v0, v0, v1
	v_rcp_f32_e32 v5, v4
	v_div_scale_f32 v6, vcc, v1, v0, v1
	v_fma_f32 v7, -v4, v5, 1.0
	v_fmac_f32_e32 v5, v7, v5
	v_mul_f32_e32 v7, v6, v5
	v_fma_f32 v8, -v4, v7, v6
	v_fmac_f32_e32 v7, v8, v5
	v_fma_f32 v4, -v4, v7, v6
	v_div_fmas_f32 v4, v4, v5, v7
	v_div_fixup_f32 v1, v4, v0, v1
	global_store_dword v[2:3], v1, off
	v_add_co_u32_e32 v2, vcc, 4, v2
	v_addc_co_u32_e32 v3, vcc, 0, v3, vcc
	s_cbranch_scc1 .LBB59_37
.LBB59_38:
	s_endpgm
	.section	.rodata,"a",@progbits
	.p2align	6, 0x0
	.amdhsa_kernel _ZN4vllm3moe10topkGatingILi4ELi128ELi4ELi16ELi64ElfLNS0_11ScoringFuncE0EEEvPKT5_PKbPfiPT4_PiiiibPKf
		.amdhsa_group_segment_fixed_size 0
		.amdhsa_private_segment_fixed_size 0
		.amdhsa_kernarg_size 72
		.amdhsa_user_sgpr_count 6
		.amdhsa_user_sgpr_private_segment_buffer 1
		.amdhsa_user_sgpr_dispatch_ptr 0
		.amdhsa_user_sgpr_queue_ptr 0
		.amdhsa_user_sgpr_kernarg_segment_ptr 1
		.amdhsa_user_sgpr_dispatch_id 0
		.amdhsa_user_sgpr_flat_scratch_init 0
		.amdhsa_user_sgpr_kernarg_preload_length 0
		.amdhsa_user_sgpr_kernarg_preload_offset 0
		.amdhsa_user_sgpr_private_segment_size 0
		.amdhsa_uses_dynamic_stack 0
		.amdhsa_system_sgpr_private_segment_wavefront_offset 0
		.amdhsa_system_sgpr_workgroup_id_x 1
		.amdhsa_system_sgpr_workgroup_id_y 0
		.amdhsa_system_sgpr_workgroup_id_z 0
		.amdhsa_system_sgpr_workgroup_info 0
		.amdhsa_system_vgpr_workitem_id 1
		.amdhsa_next_free_vgpr 30
		.amdhsa_next_free_sgpr 26
		.amdhsa_accum_offset 32
		.amdhsa_reserve_vcc 1
		.amdhsa_reserve_flat_scratch 0
		.amdhsa_float_round_mode_32 0
		.amdhsa_float_round_mode_16_64 0
		.amdhsa_float_denorm_mode_32 3
		.amdhsa_float_denorm_mode_16_64 3
		.amdhsa_dx10_clamp 1
		.amdhsa_ieee_mode 1
		.amdhsa_fp16_overflow 0
		.amdhsa_tg_split 0
		.amdhsa_exception_fp_ieee_invalid_op 0
		.amdhsa_exception_fp_denorm_src 0
		.amdhsa_exception_fp_ieee_div_zero 0
		.amdhsa_exception_fp_ieee_overflow 0
		.amdhsa_exception_fp_ieee_underflow 0
		.amdhsa_exception_fp_ieee_inexact 0
		.amdhsa_exception_int_div_zero 0
	.end_amdhsa_kernel
	.section	.text._ZN4vllm3moe10topkGatingILi4ELi128ELi4ELi16ELi64ElfLNS0_11ScoringFuncE0EEEvPKT5_PKbPfiPT4_PiiiibPKf,"axG",@progbits,_ZN4vllm3moe10topkGatingILi4ELi128ELi4ELi16ELi64ElfLNS0_11ScoringFuncE0EEEvPKT5_PKbPfiPT4_PiiiibPKf,comdat
.Lfunc_end59:
	.size	_ZN4vllm3moe10topkGatingILi4ELi128ELi4ELi16ELi64ElfLNS0_11ScoringFuncE0EEEvPKT5_PKbPfiPT4_PiiiibPKf, .Lfunc_end59-_ZN4vllm3moe10topkGatingILi4ELi128ELi4ELi16ELi64ElfLNS0_11ScoringFuncE0EEEvPKT5_PKbPfiPT4_PiiiibPKf
                                        ; -- End function
	.section	.AMDGPU.csdata,"",@progbits
; Kernel info:
; codeLenInByte = 2692
; NumSgprs: 30
; NumVgprs: 30
; NumAgprs: 0
; TotalNumVgprs: 30
; ScratchSize: 0
; MemoryBound: 0
; FloatMode: 240
; IeeeMode: 1
; LDSByteSize: 0 bytes/workgroup (compile time only)
; SGPRBlocks: 3
; VGPRBlocks: 3
; NumSGPRsForWavesPerEU: 30
; NumVGPRsForWavesPerEU: 30
; AccumOffset: 32
; Occupancy: 8
; WaveLimiterHint : 0
; COMPUTE_PGM_RSRC2:SCRATCH_EN: 0
; COMPUTE_PGM_RSRC2:USER_SGPR: 6
; COMPUTE_PGM_RSRC2:TRAP_HANDLER: 0
; COMPUTE_PGM_RSRC2:TGID_X_EN: 1
; COMPUTE_PGM_RSRC2:TGID_Y_EN: 0
; COMPUTE_PGM_RSRC2:TGID_Z_EN: 0
; COMPUTE_PGM_RSRC2:TIDIG_COMP_CNT: 1
; COMPUTE_PGM_RSRC3_GFX90A:ACCUM_OFFSET: 7
; COMPUTE_PGM_RSRC3_GFX90A:TG_SPLIT: 0
	.section	.text._ZN4vllm3moe10topkGatingILi4ELi128ELi4ELi16ELi32ElfLNS0_11ScoringFuncE0EEEvPKT5_PKbPfiPT4_PiiiibPKf,"axG",@progbits,_ZN4vllm3moe10topkGatingILi4ELi128ELi4ELi16ELi32ElfLNS0_11ScoringFuncE0EEEvPKT5_PKbPfiPT4_PiiiibPKf,comdat
	.protected	_ZN4vllm3moe10topkGatingILi4ELi128ELi4ELi16ELi32ElfLNS0_11ScoringFuncE0EEEvPKT5_PKbPfiPT4_PiiiibPKf ; -- Begin function _ZN4vllm3moe10topkGatingILi4ELi128ELi4ELi16ELi32ElfLNS0_11ScoringFuncE0EEEvPKT5_PKbPfiPT4_PiiiibPKf
	.globl	_ZN4vllm3moe10topkGatingILi4ELi128ELi4ELi16ELi32ElfLNS0_11ScoringFuncE0EEEvPKT5_PKbPfiPT4_PiiiibPKf
	.p2align	8
	.type	_ZN4vllm3moe10topkGatingILi4ELi128ELi4ELi16ELi32ElfLNS0_11ScoringFuncE0EEEvPKT5_PKbPfiPT4_PiiiibPKf,@function
_ZN4vllm3moe10topkGatingILi4ELi128ELi4ELi16ELi32ElfLNS0_11ScoringFuncE0EEEvPKT5_PKbPfiPT4_PiiiibPKf: ; @_ZN4vllm3moe10topkGatingILi4ELi128ELi4ELi16ELi32ElfLNS0_11ScoringFuncE0EEEvPKT5_PKbPfiPT4_PiiiibPKf
; %bb.0:
	s_load_dword s24, s[4:5], 0x18
	v_and_b32_e32 v1, 0x3ff, v0
	s_lshl_b32 s0, s6, 2
	v_lshrrev_b32_e32 v2, 5, v1
	v_bfe_u32 v0, v0, 10, 10
	v_add3_u32 v9, s0, v0, v2
	s_waitcnt lgkmcnt(0)
	v_cmp_gt_i32_e32 vcc, s24, v9
	s_and_saveexec_b64 s[0:1], vcc
	s_cbranch_execz .LBB60_38
; %bb.1:
	s_load_dwordx4 s[0:3], s[4:5], 0x0
	s_load_dwordx2 s[16:17], s[4:5], 0x10
	s_mov_b64 s[6:7], -1
	s_mov_b64 s[18:19], -1
	s_waitcnt lgkmcnt(0)
	s_cmp_eq_u64 s[2:3], 0
	s_cbranch_scc1 .LBB60_3
; %bb.2:
	v_ashrrev_i32_e32 v0, 31, v9
	v_mov_b32_e32 v3, s3
	v_add_co_u32_e32 v2, vcc, s2, v9
	v_addc_co_u32_e32 v3, vcc, v3, v0, vcc
	global_load_ubyte v0, v[2:3], off
	s_waitcnt vmcnt(0)
	v_and_b32_e32 v0, 1, v0
	v_cmp_eq_u32_e32 vcc, 1, v0
	s_xor_b64 s[2:3], vcc, -1
	s_orn2_b64 s[18:19], s[2:3], exec
.LBB60_3:
	v_lshlrev_b32_e32 v2, 7, v9
	v_ashrrev_i32_e32 v3, 31, v2
	v_lshlrev_b64 v[2:3], 2, v[2:3]
	v_mov_b32_e32 v0, s1
	v_add_co_u32_e32 v2, vcc, s0, v2
	v_and_b32_e32 v13, 31, v1
	v_addc_co_u32_e32 v3, vcc, v0, v3, vcc
	v_lshlrev_b32_e32 v0, 4, v13
	v_add_co_u32_e32 v0, vcc, v2, v0
	v_addc_co_u32_e32 v1, vcc, 0, v3, vcc
	global_load_dwordx4 v[0:3], v[0:1], off
	v_mbcnt_lo_u32_b32 v4, -1, 0
	v_mbcnt_hi_u32_b32 v4, -1, v4
	v_and_b32_e32 v5, 0x60, v4
	v_xor_b32_e32 v6, 16, v4
	v_add_u32_e32 v5, 32, v5
	v_cmp_lt_i32_e32 vcc, v6, v5
	v_cndmask_b32_e32 v6, v4, v6, vcc
	v_lshlrev_b32_e32 v14, 2, v6
	v_xor_b32_e32 v8, 8, v4
	v_cmp_lt_i32_e32 vcc, v8, v5
	v_cndmask_b32_e32 v8, v4, v8, vcc
	v_lshlrev_b32_e32 v15, 2, v8
	v_xor_b32_e32 v8, 4, v4
	;; [unrolled: 4-line block ×4, first 2 shown]
	v_cmp_lt_i32_e32 vcc, v8, v5
	v_cndmask_b32_e32 v4, v4, v8, vcc
	v_lshlrev_b32_e32 v18, 2, v4
	s_mov_b32 s0, 0x3fb8aa3b
	s_mov_b32 s1, 0xc2ce8ed0
	;; [unrolled: 1-line block ×3, first 2 shown]
	s_movk_i32 s8, 0x1f8
	s_waitcnt vmcnt(0)
	v_max_f32_e32 v6, v1, v1
	v_max_f32_e32 v7, v0, v0
	v_max_f32_e32 v6, v7, v6
	v_max3_f32 v6, v6, v2, v3
	ds_bpermute_b32 v7, v14, v6
	s_waitcnt lgkmcnt(0)
	v_max_f32_e32 v7, v7, v7
	v_max_f32_e32 v6, v6, v7
	ds_bpermute_b32 v7, v15, v6
	s_waitcnt lgkmcnt(0)
	v_max_f32_e32 v7, v7, v7
	v_max_f32_e32 v6, v6, v7
	;; [unrolled: 4-line block ×4, first 2 shown]
	ds_bpermute_b32 v5, v18, v4
	v_mov_b32_e32 v6, 0x7f800000
	s_waitcnt lgkmcnt(0)
	v_max_f32_e32 v5, v5, v5
	v_max_f32_e32 v4, v4, v5
	v_pk_add_f32 v[0:1], v[0:1], v[4:5] op_sel_hi:[1,0] neg_lo:[0,1] neg_hi:[0,1]
	v_sub_f32_e32 v2, v2, v4
	v_sub_f32_e32 v3, v3, v4
	v_mul_f32_e32 v4, 0x3fb8aa3b, v1
	v_mul_f32_e32 v5, 0x3fb8aa3b, v0
	v_fma_f32 v10, v1, s0, -v4
	v_rndne_f32_e32 v11, v4
	v_mul_f32_e32 v7, 0x3fb8aa3b, v2
	v_fma_f32 v12, v0, s0, -v5
	v_rndne_f32_e32 v19, v5
	v_fmac_f32_e32 v10, 0x32a5705f, v1
	v_sub_f32_e32 v4, v4, v11
	v_mul_f32_e32 v8, 0x3fb8aa3b, v3
	v_fma_f32 v20, v2, s0, -v7
	v_rndne_f32_e32 v21, v7
	v_fmac_f32_e32 v12, 0x32a5705f, v0
	v_sub_f32_e32 v5, v5, v19
	v_add_f32_e32 v4, v4, v10
	v_fma_f32 v22, v3, s0, -v8
	v_rndne_f32_e32 v23, v8
	v_cvt_i32_f32_e32 v11, v11
	v_fmac_f32_e32 v20, 0x32a5705f, v2
	v_sub_f32_e32 v7, v7, v21
	v_add_f32_e32 v5, v5, v12
	v_exp_f32_e32 v4, v4
	v_cvt_i32_f32_e32 v19, v19
	v_fmac_f32_e32 v22, 0x32a5705f, v3
	v_sub_f32_e32 v8, v8, v23
	v_add_f32_e32 v7, v7, v20
	v_exp_f32_e32 v5, v5
	v_cvt_i32_f32_e32 v21, v21
	v_add_f32_e32 v8, v8, v22
	v_exp_f32_e32 v7, v7
	v_cvt_i32_f32_e32 v23, v23
	v_exp_f32_e32 v8, v8
	v_ldexp_f32 v4, v4, v11
	v_cmp_ngt_f32_e32 vcc, s1, v1
	v_ldexp_f32 v5, v5, v19
	v_cndmask_b32_e32 v4, 0, v4, vcc
	v_cmp_ngt_f32_e32 vcc, s1, v0
	v_ldexp_f32 v7, v7, v21
	v_cndmask_b32_e32 v5, 0, v5, vcc
	;; [unrolled: 3-line block ×3, first 2 shown]
	v_cmp_ngt_f32_e32 vcc, s1, v3
	v_cndmask_b32_e32 v8, 0, v8, vcc
	v_cmp_nlt_f32_e32 vcc, s2, v1
	v_cndmask_b32_e32 v1, v6, v4, vcc
	v_cmp_nlt_f32_e32 vcc, s2, v0
	;; [unrolled: 2-line block ×4, first 2 shown]
	v_add_f32_e32 v4, v0, v1
	v_cndmask_b32_e32 v3, v6, v8, vcc
	v_add_f32_e32 v4, v4, v2
	v_add_f32_e32 v4, v4, v3
	ds_bpermute_b32 v5, v14, v4
	s_load_dwordx2 s[0:1], s[4:5], 0x40
	v_lshlrev_b32_e32 v19, 2, v13
	s_waitcnt lgkmcnt(0)
	v_add_f32_e32 v4, v4, v5
	ds_bpermute_b32 v5, v15, v4
	s_cmp_eq_u64 s[0:1], 0
	s_waitcnt lgkmcnt(0)
	v_add_f32_e32 v4, v4, v5
	ds_bpermute_b32 v5, v16, v4
	s_waitcnt lgkmcnt(0)
	v_add_f32_e32 v4, v4, v5
	ds_bpermute_b32 v5, v17, v4
	;; [unrolled: 3-line block ×3, first 2 shown]
	s_waitcnt lgkmcnt(0)
	v_add_f32_e32 v4, v4, v5
	v_div_scale_f32 v5, s[2:3], v4, v4, 1.0
	v_rcp_f32_e32 v6, v5
	v_div_scale_f32 v7, vcc, 1.0, v4, 1.0
	v_fma_f32 v8, -v5, v6, 1.0
	v_fmac_f32_e32 v6, v8, v6
	v_mul_f32_e32 v8, v7, v6
	v_fma_f32 v10, -v5, v8, v7
	v_fmac_f32_e32 v8, v10, v6
	v_fma_f32 v5, -v5, v8, v7
	v_div_fmas_f32 v5, v5, v6, v8
	v_div_fixup_f32 v4, v5, v4, 1.0
	v_mul_f32_e32 v0, v4, v0
	v_mul_f32_e32 v1, v4, v1
	v_cmp_class_f32_e64 vcc, v0, s8
	v_mul_f32_e32 v2, v4, v2
	v_cndmask_b32_e32 v0, 0, v0, vcc
	v_cmp_class_f32_e64 vcc, v1, s8
	v_mul_f32_e32 v3, v4, v3
	v_cndmask_b32_e32 v1, 0, v1, vcc
	v_cmp_class_f32_e64 vcc, v2, s8
	v_cndmask_b32_e32 v2, 0, v2, vcc
	v_cmp_class_f32_e64 vcc, v3, s8
	v_cndmask_b32_e32 v3, 0, v3, vcc
	s_cbranch_scc1 .LBB60_27
; %bb.4:
	v_lshlrev_b32_e32 v4, 2, v19
	global_load_dwordx4 v[4:7], v4, s[0:1]
	s_waitcnt vmcnt(0)
	v_pk_add_f32 v[4:5], v[4:5], v[0:1]
	v_pk_add_f32 v[6:7], v[6:7], v[2:3]
	s_cbranch_execnz .LBB60_6
.LBB60_5:
	v_pk_mov_b32 v[6:7], v[2:3], v[2:3] op_sel:[0,1]
	v_pk_mov_b32 v[4:5], v[0:1], v[0:1] op_sel:[0,1]
.LBB60_6:
	s_load_dwordx4 s[8:11], s[4:5], 0x30
	s_mov_b32 s25, 0
	v_cmp_eq_u32_e64 s[0:1], 0, v13
	s_waitcnt lgkmcnt(0)
	s_bitcmp1_b32 s11, 0
	s_cselect_b64 vcc, -1, 0
	s_cmp_gt_i32 s8, 0
	s_cselect_b64 s[20:21], -1, 0
	s_cmp_lt_i32 s8, 1
	s_cbranch_scc1 .LBB60_28
; %bb.7:
	s_load_dwordx4 s[12:15], s[4:5], 0x20
	v_mul_lo_u32 v21, v9, s8
	v_mov_b32_e32 v20, 0
	v_mov_b32_e32 v22, 0x80
	;; [unrolled: 1-line block ×4, first 2 shown]
	s_branch .LBB60_10
.LBB60_8:                               ;   in Loop: Header=BB60_10 Depth=1
	s_or_b64 exec, exec, s[4:5]
.LBB60_9:                               ;   in Loop: Header=BB60_10 Depth=1
	s_cmp_eq_u32 s8, s25
	v_add_u32_e32 v24, s24, v24
	s_cbranch_scc1 .LBB60_29
.LBB60_10:                              ; =>This Inner Loop Header: Depth=1
	v_cmp_gt_f32_e64 s[2:3], v5, v4
	v_cndmask_b32_e64 v8, v4, v5, s[2:3]
	v_cndmask_b32_e64 v10, v0, v1, s[2:3]
	s_waitcnt lgkmcnt(0)
	v_cndmask_b32_e64 v11, 0, 1, s[2:3]
	v_cmp_gt_f32_e64 s[2:3], v6, v8
	v_cndmask_b32_e64 v8, v8, v6, s[2:3]
	v_cndmask_b32_e64 v10, v10, v2, s[2:3]
	;; [unrolled: 1-line block ×3, first 2 shown]
	v_cmp_gt_f32_e64 s[2:3], v7, v8
	v_cndmask_b32_e64 v11, v11, 3, s[2:3]
	v_cndmask_b32_e64 v8, v8, v7, s[2:3]
	v_or_b32_e32 v11, v19, v11
	ds_bpermute_b32 v12, v14, v8
	ds_bpermute_b32 v25, v14, v11
	v_cndmask_b32_e64 v10, v10, v3, s[2:3]
	ds_bpermute_b32 v27, v14, v10
	s_waitcnt lgkmcnt(0)
	v_cmp_eq_f32_e64 s[4:5], v8, v12
	v_cmp_lt_i32_e64 s[6:7], v25, v11
	v_cmp_lt_f32_e64 s[2:3], v8, v12
	s_and_b64 s[4:5], s[4:5], s[6:7]
	s_or_b64 s[2:3], s[2:3], s[4:5]
	v_cndmask_b32_e64 v26, v11, v25, s[2:3]
	v_cndmask_b32_e64 v25, v8, v12, s[2:3]
	;; [unrolled: 1-line block ×3, first 2 shown]
	ds_bpermute_b32 v28, v15, v25
	ds_bpermute_b32 v12, v15, v8
	;; [unrolled: 1-line block ×3, first 2 shown]
                                        ; implicit-def: $vgpr10_vgpr11
	s_waitcnt lgkmcnt(2)
	v_cmp_lt_f32_e64 s[6:7], v25, v28
	v_cmp_nlt_f32_e64 s[2:3], v25, v28
	s_and_saveexec_b64 s[22:23], s[2:3]
	s_cbranch_execz .LBB60_12
; %bb.11:                               ;   in Loop: Header=BB60_10 Depth=1
	v_cmp_eq_f32_e64 s[2:3], v25, v28
	s_waitcnt lgkmcnt(0)
	v_cmp_lt_i32_e64 s[4:5], v27, v26
	s_and_b64 s[2:3], s[2:3], s[4:5]
	s_andn2_b64 s[4:5], s[6:7], exec
	s_and_b64 s[2:3], s[2:3], exec
	s_or_b64 s[6:7], s[4:5], s[2:3]
	v_pk_mov_b32 v[10:11], v[8:9], v[8:9] op_sel:[0,1]
.LBB60_12:                              ;   in Loop: Header=BB60_10 Depth=1
	s_or_b64 exec, exec, s[22:23]
	s_and_saveexec_b64 s[2:3], s[6:7]
	s_cbranch_execz .LBB60_14
; %bb.13:                               ;   in Loop: Header=BB60_10 Depth=1
	v_mov_b32_e32 v25, v28
	s_waitcnt lgkmcnt(1)
	v_mov_b32_e32 v8, v12
	s_waitcnt lgkmcnt(0)
	v_mov_b32_e32 v26, v27
	v_pk_mov_b32 v[10:11], v[12:13], v[12:13] op_sel:[0,1]
.LBB60_14:                              ;   in Loop: Header=BB60_10 Depth=1
	s_or_b64 exec, exec, s[2:3]
	s_waitcnt lgkmcnt(0)
	ds_bpermute_b32 v27, v16, v25
	ds_bpermute_b32 v12, v16, v8
	;; [unrolled: 1-line block ×3, first 2 shown]
	s_waitcnt lgkmcnt(2)
	v_cmp_lt_f32_e64 s[6:7], v25, v27
	v_cmp_nlt_f32_e64 s[2:3], v25, v27
	s_and_saveexec_b64 s[22:23], s[2:3]
	s_cbranch_execz .LBB60_16
; %bb.15:                               ;   in Loop: Header=BB60_10 Depth=1
	v_cmp_eq_f32_e64 s[2:3], v25, v27
	s_waitcnt lgkmcnt(0)
	v_cmp_lt_i32_e64 s[4:5], v11, v26
	s_and_b64 s[2:3], s[2:3], s[4:5]
	s_andn2_b64 s[4:5], s[6:7], exec
	s_and_b64 s[2:3], s[2:3], exec
	s_or_b64 s[6:7], s[4:5], s[2:3]
.LBB60_16:                              ;   in Loop: Header=BB60_10 Depth=1
	s_or_b64 exec, exec, s[22:23]
	s_and_saveexec_b64 s[2:3], s[6:7]
	s_cbranch_execz .LBB60_18
; %bb.17:                               ;   in Loop: Header=BB60_10 Depth=1
	v_mov_b32_e32 v25, v27
	s_waitcnt lgkmcnt(1)
	v_mov_b32_e32 v8, v12
	s_waitcnt lgkmcnt(0)
	v_mov_b32_e32 v26, v11
	v_pk_mov_b32 v[10:11], v[12:13], v[12:13] op_sel:[0,1]
.LBB60_18:                              ;   in Loop: Header=BB60_10 Depth=1
	s_or_b64 exec, exec, s[2:3]
	ds_bpermute_b32 v27, v17, v25
	s_waitcnt lgkmcnt(2)
	ds_bpermute_b32 v12, v17, v8
	s_waitcnt lgkmcnt(2)
	;; [unrolled: 2-line block ×3, first 2 shown]
	v_cmp_lt_f32_e64 s[6:7], v25, v27
	v_cmp_nlt_f32_e64 s[2:3], v25, v27
	s_and_saveexec_b64 s[22:23], s[2:3]
	s_cbranch_execz .LBB60_20
; %bb.19:                               ;   in Loop: Header=BB60_10 Depth=1
	v_cmp_eq_f32_e64 s[2:3], v25, v27
	s_waitcnt lgkmcnt(0)
	v_cmp_lt_i32_e64 s[4:5], v11, v26
	s_and_b64 s[2:3], s[2:3], s[4:5]
	s_andn2_b64 s[4:5], s[6:7], exec
	s_and_b64 s[2:3], s[2:3], exec
	s_or_b64 s[6:7], s[4:5], s[2:3]
.LBB60_20:                              ;   in Loop: Header=BB60_10 Depth=1
	s_or_b64 exec, exec, s[22:23]
	s_and_saveexec_b64 s[2:3], s[6:7]
	s_cbranch_execz .LBB60_22
; %bb.21:                               ;   in Loop: Header=BB60_10 Depth=1
	v_mov_b32_e32 v25, v27
	s_waitcnt lgkmcnt(1)
	v_mov_b32_e32 v8, v12
	s_waitcnt lgkmcnt(0)
	v_mov_b32_e32 v26, v11
	v_pk_mov_b32 v[10:11], v[12:13], v[12:13] op_sel:[0,1]
.LBB60_22:                              ;   in Loop: Header=BB60_10 Depth=1
	s_or_b64 exec, exec, s[2:3]
	s_waitcnt lgkmcnt(1)
	ds_bpermute_b32 v12, v18, v25
	ds_bpermute_b32 v27, v18, v26
	s_waitcnt lgkmcnt(2)
	ds_bpermute_b32 v11, v18, v8
	s_waitcnt lgkmcnt(2)
	v_cmp_eq_f32_e64 s[4:5], v25, v12
	s_waitcnt lgkmcnt(1)
	v_cmp_lt_i32_e64 s[6:7], v27, v26
	v_cmp_lt_f32_e64 s[2:3], v25, v12
	s_and_b64 s[4:5], s[4:5], s[6:7]
	s_or_b64 s[2:3], s[2:3], s[4:5]
	v_cndmask_b32_e64 v8, v26, v27, s[2:3]
	s_and_saveexec_b64 s[6:7], s[0:1]
	s_cbranch_execnz .LBB60_24
; %bb.23:                               ;   in Loop: Header=BB60_10 Depth=1
	s_or_b64 exec, exec, s[6:7]
	s_add_i32 s25, s25, 1
	s_cmp_ge_i32 s25, s8
	s_cbranch_scc1 .LBB60_9
	s_branch .LBB60_25
.LBB60_24:                              ;   in Loop: Header=BB60_10 Depth=1
	s_waitcnt lgkmcnt(0)
	v_cndmask_b32_e64 v12, v10, v11, s[2:3]
	v_add_u32_e32 v10, s25, v21
	v_ashrrev_i32_e32 v11, 31, v10
	v_cmp_le_i32_e64 s[2:3], s9, v8
	v_cmp_gt_i32_e64 s[4:5], s10, v8
	v_lshlrev_b64 v[26:27], 2, v[10:11]
	s_and_b64 s[4:5], s[2:3], s[4:5]
	v_mov_b32_e32 v25, s17
	v_add_co_u32_e64 v28, s[2:3], s16, v26
	v_addc_co_u32_e64 v29, s[2:3], v25, v27, s[2:3]
	v_subrev_u32_e32 v25, s9, v8
	global_store_dword v[28:29], v12, off
	v_ashrrev_i32_e32 v28, 31, v25
	s_and_b64 s[2:3], s[18:19], s[4:5]
	v_lshlrev_b64 v[10:11], 3, v[10:11]
	v_cndmask_b32_e64 v29, 0, v28, s[2:3]
	v_cndmask_b32_e64 v28, v22, v25, s[2:3]
	v_mov_b32_e32 v25, s13
	v_add_co_u32_e64 v10, s[2:3], s12, v10
	v_addc_co_u32_e64 v11, s[2:3], v25, v11, s[2:3]
	global_store_dwordx2 v[10:11], v[28:29], off
	v_mov_b32_e32 v11, s15
	v_add_co_u32_e64 v10, s[2:3], s14, v26
	v_addc_co_u32_e64 v11, s[2:3], v11, v27, s[2:3]
	global_store_dword v[10:11], v24, off
	v_add_f32_e32 v10, v20, v12
	v_cndmask_b32_e32 v20, v20, v10, vcc
	s_or_b64 exec, exec, s[6:7]
	s_add_i32 s25, s25, 1
	s_cmp_ge_i32 s25, s8
	s_cbranch_scc1 .LBB60_9
.LBB60_25:                              ;   in Loop: Header=BB60_10 Depth=1
	s_waitcnt lgkmcnt(0)
	v_ashrrev_i32_e32 v11, 31, v8
	v_lshrrev_b32_e32 v10, 30, v11
	v_add_u32_e32 v12, v8, v10
	v_ashrrev_i32_e32 v10, 2, v12
	v_ashrrev_i32_e32 v12, 31, v12
	v_lshrrev_b32_e32 v12, 27, v12
	v_add_u32_e32 v12, v10, v12
	v_and_b32_e32 v12, 0xffffffe0, v12
	v_sub_u32_e32 v12, v10, v12
	v_cmp_eq_u32_e64 s[2:3], v13, v12
	s_and_saveexec_b64 s[4:5], s[2:3]
	s_cbranch_execz .LBB60_8
; %bb.26:                               ;   in Loop: Header=BB60_10 Depth=1
	v_lshrrev_b32_e32 v11, 25, v11
	v_add_u32_e32 v11, v8, v11
	v_lshlrev_b32_e32 v10, 2, v10
	v_ashrrev_i32_e32 v11, 7, v11
	v_sub_u32_e32 v8, v8, v10
	v_lshl_add_u32 v8, v11, 2, v8
	v_cmp_ne_u32_e64 s[2:3], 3, v8
	v_cndmask_b32_e64 v7, v23, v7, s[2:3]
	v_cmp_ne_u32_e64 s[2:3], 2, v8
	v_cndmask_b32_e64 v6, v23, v6, s[2:3]
	;; [unrolled: 2-line block ×4, first 2 shown]
	s_branch .LBB60_8
.LBB60_27:
                                        ; implicit-def: $vgpr4_vgpr5_vgpr6_vgpr7
	s_andn2_b64 vcc, exec, s[6:7]
	s_cbranch_vccz .LBB60_5
	s_branch .LBB60_6
.LBB60_28:
	v_mov_b32_e32 v20, 0
.LBB60_29:
	v_cmp_eq_u32_e64 s[0:1], 0, v13
	s_and_b64 s[0:1], s[0:1], vcc
	s_and_b64 exec, exec, s[0:1]
	s_cbranch_execz .LBB60_38
; %bb.30:
	s_andn2_b64 vcc, exec, s[20:21]
	s_cbranch_vccnz .LBB60_38
; %bb.31:
	v_cmp_lt_f32_e32 vcc, 0, v20
	s_mov_b32 s2, 0
	v_cndmask_b32_e32 v0, 1.0, v20, vcc
	v_mul_lo_u32 v4, v9, s8
	s_cmp_eq_u32 s8, 1
	s_mov_b64 s[0:1], -1
	s_cbranch_scc1 .LBB60_35
; %bb.32:
	s_and_b32 s2, s8, 0x7ffffffe
	v_mov_b32_e32 v1, v0
	v_mov_b32_e32 v5, s17
	s_mov_b32 s3, s2
	v_mov_b32_e32 v2, v4
.LBB60_33:                              ; =>This Inner Loop Header: Depth=1
	v_ashrrev_i32_e32 v3, 31, v2
	v_lshlrev_b64 v[6:7], 2, v[2:3]
	v_add_co_u32_e32 v6, vcc, s16, v6
	v_addc_co_u32_e32 v7, vcc, v5, v7, vcc
	global_load_dwordx2 v[8:9], v[6:7], off
	s_add_i32 s3, s3, -2
	s_cmp_lg_u32 s3, 0
	v_add_u32_e32 v2, 2, v2
	s_waitcnt vmcnt(0)
	v_div_scale_f32 v3, s[0:1], v1, v1, v9
	s_waitcnt lgkmcnt(0)
	v_div_scale_f32 v11, s[0:1], v0, v0, v8
	v_rcp_f32_e32 v12, v3
	v_rcp_f32_e32 v13, v11
	v_div_scale_f32 v10, vcc, v9, v1, v9
	v_fma_f32 v15, -v3, v12, 1.0
	v_fma_f32 v16, -v11, v13, 1.0
	v_fmac_f32_e32 v12, v15, v12
	v_div_scale_f32 v14, s[0:1], v8, v0, v8
	v_fmac_f32_e32 v13, v16, v13
	v_mul_f32_e32 v15, v10, v12
	v_mul_f32_e32 v16, v14, v13
	v_fma_f32 v17, -v3, v15, v10
	v_fma_f32 v18, -v11, v16, v14
	v_fmac_f32_e32 v15, v17, v12
	v_fmac_f32_e32 v16, v18, v13
	v_fma_f32 v3, -v3, v15, v10
	v_fma_f32 v10, -v11, v16, v14
	v_div_fmas_f32 v3, v3, v12, v15
	s_mov_b64 vcc, s[0:1]
	v_div_fixup_f32 v9, v3, v1, v9
	v_div_fmas_f32 v3, v10, v13, v16
	v_div_fixup_f32 v8, v3, v0, v8
	global_store_dwordx2 v[6:7], v[8:9], off
	s_cbranch_scc1 .LBB60_33
; %bb.34:
	s_cmp_lg_u32 s2, s8
	s_cselect_b64 s[0:1], -1, 0
.LBB60_35:
	s_and_b64 vcc, exec, s[0:1]
	s_cbranch_vccz .LBB60_38
; %bb.36:
	v_ashrrev_i32_e32 v1, 31, v4
	v_add_co_u32_e32 v2, vcc, s2, v4
	v_addc_co_u32_e32 v3, vcc, 0, v1, vcc
	v_lshlrev_b64 v[2:3], 2, v[2:3]
	v_mov_b32_e32 v1, s17
	v_add_co_u32_e32 v2, vcc, s16, v2
	s_sub_i32 s0, s8, s2
	v_addc_co_u32_e32 v3, vcc, v1, v3, vcc
.LBB60_37:                              ; =>This Inner Loop Header: Depth=1
	global_load_dword v1, v[2:3], off
	s_add_i32 s0, s0, -1
	s_cmp_lg_u32 s0, 0
	s_waitcnt vmcnt(0)
	v_div_scale_f32 v4, s[2:3], v0, v0, v1
	v_rcp_f32_e32 v5, v4
	v_div_scale_f32 v6, vcc, v1, v0, v1
	v_fma_f32 v7, -v4, v5, 1.0
	v_fmac_f32_e32 v5, v7, v5
	v_mul_f32_e32 v7, v6, v5
	v_fma_f32 v8, -v4, v7, v6
	v_fmac_f32_e32 v7, v8, v5
	v_fma_f32 v4, -v4, v7, v6
	v_div_fmas_f32 v4, v4, v5, v7
	v_div_fixup_f32 v1, v4, v0, v1
	global_store_dword v[2:3], v1, off
	v_add_co_u32_e32 v2, vcc, 4, v2
	v_addc_co_u32_e32 v3, vcc, 0, v3, vcc
	s_cbranch_scc1 .LBB60_37
.LBB60_38:
	s_endpgm
	.section	.rodata,"a",@progbits
	.p2align	6, 0x0
	.amdhsa_kernel _ZN4vllm3moe10topkGatingILi4ELi128ELi4ELi16ELi32ElfLNS0_11ScoringFuncE0EEEvPKT5_PKbPfiPT4_PiiiibPKf
		.amdhsa_group_segment_fixed_size 0
		.amdhsa_private_segment_fixed_size 0
		.amdhsa_kernarg_size 72
		.amdhsa_user_sgpr_count 6
		.amdhsa_user_sgpr_private_segment_buffer 1
		.amdhsa_user_sgpr_dispatch_ptr 0
		.amdhsa_user_sgpr_queue_ptr 0
		.amdhsa_user_sgpr_kernarg_segment_ptr 1
		.amdhsa_user_sgpr_dispatch_id 0
		.amdhsa_user_sgpr_flat_scratch_init 0
		.amdhsa_user_sgpr_kernarg_preload_length 0
		.amdhsa_user_sgpr_kernarg_preload_offset 0
		.amdhsa_user_sgpr_private_segment_size 0
		.amdhsa_uses_dynamic_stack 0
		.amdhsa_system_sgpr_private_segment_wavefront_offset 0
		.amdhsa_system_sgpr_workgroup_id_x 1
		.amdhsa_system_sgpr_workgroup_id_y 0
		.amdhsa_system_sgpr_workgroup_id_z 0
		.amdhsa_system_sgpr_workgroup_info 0
		.amdhsa_system_vgpr_workitem_id 1
		.amdhsa_next_free_vgpr 30
		.amdhsa_next_free_sgpr 26
		.amdhsa_accum_offset 32
		.amdhsa_reserve_vcc 1
		.amdhsa_reserve_flat_scratch 0
		.amdhsa_float_round_mode_32 0
		.amdhsa_float_round_mode_16_64 0
		.amdhsa_float_denorm_mode_32 3
		.amdhsa_float_denorm_mode_16_64 3
		.amdhsa_dx10_clamp 1
		.amdhsa_ieee_mode 1
		.amdhsa_fp16_overflow 0
		.amdhsa_tg_split 0
		.amdhsa_exception_fp_ieee_invalid_op 0
		.amdhsa_exception_fp_denorm_src 0
		.amdhsa_exception_fp_ieee_div_zero 0
		.amdhsa_exception_fp_ieee_overflow 0
		.amdhsa_exception_fp_ieee_underflow 0
		.amdhsa_exception_fp_ieee_inexact 0
		.amdhsa_exception_int_div_zero 0
	.end_amdhsa_kernel
	.section	.text._ZN4vllm3moe10topkGatingILi4ELi128ELi4ELi16ELi32ElfLNS0_11ScoringFuncE0EEEvPKT5_PKbPfiPT4_PiiiibPKf,"axG",@progbits,_ZN4vllm3moe10topkGatingILi4ELi128ELi4ELi16ELi32ElfLNS0_11ScoringFuncE0EEEvPKT5_PKbPfiPT4_PiiiibPKf,comdat
.Lfunc_end60:
	.size	_ZN4vllm3moe10topkGatingILi4ELi128ELi4ELi16ELi32ElfLNS0_11ScoringFuncE0EEEvPKT5_PKbPfiPT4_PiiiibPKf, .Lfunc_end60-_ZN4vllm3moe10topkGatingILi4ELi128ELi4ELi16ELi32ElfLNS0_11ScoringFuncE0EEEvPKT5_PKbPfiPT4_PiiiibPKf
                                        ; -- End function
	.section	.AMDGPU.csdata,"",@progbits
; Kernel info:
; codeLenInByte = 2688
; NumSgprs: 30
; NumVgprs: 30
; NumAgprs: 0
; TotalNumVgprs: 30
; ScratchSize: 0
; MemoryBound: 0
; FloatMode: 240
; IeeeMode: 1
; LDSByteSize: 0 bytes/workgroup (compile time only)
; SGPRBlocks: 3
; VGPRBlocks: 3
; NumSGPRsForWavesPerEU: 30
; NumVGPRsForWavesPerEU: 30
; AccumOffset: 32
; Occupancy: 8
; WaveLimiterHint : 0
; COMPUTE_PGM_RSRC2:SCRATCH_EN: 0
; COMPUTE_PGM_RSRC2:USER_SGPR: 6
; COMPUTE_PGM_RSRC2:TRAP_HANDLER: 0
; COMPUTE_PGM_RSRC2:TGID_X_EN: 1
; COMPUTE_PGM_RSRC2:TGID_Y_EN: 0
; COMPUTE_PGM_RSRC2:TGID_Z_EN: 0
; COMPUTE_PGM_RSRC2:TIDIG_COMP_CNT: 1
; COMPUTE_PGM_RSRC3_GFX90A:ACCUM_OFFSET: 7
; COMPUTE_PGM_RSRC3_GFX90A:TG_SPLIT: 0
	.section	.text._ZN4vllm3moe10topkGatingILi4ELi256ELi4ELi16ELi64ElfLNS0_11ScoringFuncE0EEEvPKT5_PKbPfiPT4_PiiiibPKf,"axG",@progbits,_ZN4vllm3moe10topkGatingILi4ELi256ELi4ELi16ELi64ElfLNS0_11ScoringFuncE0EEEvPKT5_PKbPfiPT4_PiiiibPKf,comdat
	.protected	_ZN4vllm3moe10topkGatingILi4ELi256ELi4ELi16ELi64ElfLNS0_11ScoringFuncE0EEEvPKT5_PKbPfiPT4_PiiiibPKf ; -- Begin function _ZN4vllm3moe10topkGatingILi4ELi256ELi4ELi16ELi64ElfLNS0_11ScoringFuncE0EEEvPKT5_PKbPfiPT4_PiiiibPKf
	.globl	_ZN4vllm3moe10topkGatingILi4ELi256ELi4ELi16ELi64ElfLNS0_11ScoringFuncE0EEEvPKT5_PKbPfiPT4_PiiiibPKf
	.p2align	8
	.type	_ZN4vllm3moe10topkGatingILi4ELi256ELi4ELi16ELi64ElfLNS0_11ScoringFuncE0EEEvPKT5_PKbPfiPT4_PiiiibPKf,@function
_ZN4vllm3moe10topkGatingILi4ELi256ELi4ELi16ELi64ElfLNS0_11ScoringFuncE0EEEvPKT5_PKbPfiPT4_PiiiibPKf: ; @_ZN4vllm3moe10topkGatingILi4ELi256ELi4ELi16ELi64ElfLNS0_11ScoringFuncE0EEEvPKT5_PKbPfiPT4_PiiiibPKf
; %bb.0:
	s_load_dword s24, s[4:5], 0x18
	v_and_b32_e32 v1, 0x3ff, v0
	s_lshl_b32 s0, s6, 2
	v_lshrrev_b32_e32 v2, 6, v1
	v_bfe_u32 v0, v0, 10, 10
	v_add3_u32 v9, s0, v0, v2
	s_waitcnt lgkmcnt(0)
	v_cmp_gt_i32_e32 vcc, s24, v9
	s_and_saveexec_b64 s[0:1], vcc
	s_cbranch_execz .LBB61_42
; %bb.1:
	s_load_dwordx4 s[0:3], s[4:5], 0x0
	s_load_dwordx2 s[16:17], s[4:5], 0x10
	s_mov_b64 s[6:7], -1
	s_mov_b64 s[18:19], -1
	s_waitcnt lgkmcnt(0)
	s_cmp_eq_u64 s[2:3], 0
	s_cbranch_scc1 .LBB61_3
; %bb.2:
	v_ashrrev_i32_e32 v0, 31, v9
	v_mov_b32_e32 v3, s3
	v_add_co_u32_e32 v2, vcc, s2, v9
	v_addc_co_u32_e32 v3, vcc, v3, v0, vcc
	global_load_ubyte v0, v[2:3], off
	s_waitcnt vmcnt(0)
	v_and_b32_e32 v0, 1, v0
	v_cmp_eq_u32_e32 vcc, 1, v0
	s_xor_b64 s[2:3], vcc, -1
	s_orn2_b64 s[18:19], s[2:3], exec
.LBB61_3:
	v_lshlrev_b32_e32 v2, 8, v9
	v_ashrrev_i32_e32 v3, 31, v2
	v_lshlrev_b64 v[2:3], 2, v[2:3]
	v_mov_b32_e32 v0, s1
	v_add_co_u32_e32 v2, vcc, s0, v2
	v_and_b32_e32 v13, 63, v1
	v_addc_co_u32_e32 v3, vcc, v0, v3, vcc
	v_lshlrev_b32_e32 v0, 4, v13
	v_add_co_u32_e32 v0, vcc, v2, v0
	v_addc_co_u32_e32 v1, vcc, 0, v3, vcc
	global_load_dwordx4 v[0:3], v[0:1], off
	v_mbcnt_lo_u32_b32 v4, -1, 0
	v_mbcnt_hi_u32_b32 v4, -1, v4
	v_and_b32_e32 v5, 64, v4
	v_xor_b32_e32 v6, 32, v4
	v_add_u32_e32 v5, 64, v5
	v_cmp_lt_i32_e32 vcc, v6, v5
	v_cndmask_b32_e32 v6, v4, v6, vcc
	v_lshlrev_b32_e32 v14, 2, v6
	v_xor_b32_e32 v8, 16, v4
	v_cmp_lt_i32_e32 vcc, v8, v5
	v_cndmask_b32_e32 v8, v4, v8, vcc
	v_lshlrev_b32_e32 v15, 2, v8
	v_xor_b32_e32 v8, 8, v4
	;; [unrolled: 4-line block ×5, first 2 shown]
	v_cmp_lt_i32_e32 vcc, v8, v5
	v_cndmask_b32_e32 v4, v4, v8, vcc
	v_lshlrev_b32_e32 v19, 2, v4
	s_mov_b32 s0, 0x3fb8aa3b
	s_mov_b32 s1, 0xc2ce8ed0
	;; [unrolled: 1-line block ×3, first 2 shown]
	s_movk_i32 s8, 0x1f8
	s_waitcnt vmcnt(0)
	v_max_f32_e32 v6, v1, v1
	v_max_f32_e32 v7, v0, v0
	;; [unrolled: 1-line block ×3, first 2 shown]
	v_max3_f32 v6, v6, v2, v3
	ds_bpermute_b32 v7, v14, v6
	s_waitcnt lgkmcnt(0)
	v_max_f32_e32 v7, v7, v7
	v_max_f32_e32 v6, v6, v7
	ds_bpermute_b32 v7, v15, v6
	s_waitcnt lgkmcnt(0)
	v_max_f32_e32 v7, v7, v7
	v_max_f32_e32 v6, v6, v7
	;; [unrolled: 4-line block ×5, first 2 shown]
	ds_bpermute_b32 v5, v19, v4
	v_mov_b32_e32 v6, 0x7f800000
	s_waitcnt lgkmcnt(0)
	v_max_f32_e32 v5, v5, v5
	v_max_f32_e32 v4, v4, v5
	v_pk_add_f32 v[0:1], v[0:1], v[4:5] op_sel_hi:[1,0] neg_lo:[0,1] neg_hi:[0,1]
	v_sub_f32_e32 v2, v2, v4
	v_sub_f32_e32 v3, v3, v4
	v_mul_f32_e32 v4, 0x3fb8aa3b, v1
	v_mul_f32_e32 v5, 0x3fb8aa3b, v0
	v_fma_f32 v10, v1, s0, -v4
	v_rndne_f32_e32 v11, v4
	v_mul_f32_e32 v7, 0x3fb8aa3b, v2
	v_fma_f32 v12, v0, s0, -v5
	v_rndne_f32_e32 v20, v5
	v_fmac_f32_e32 v10, 0x32a5705f, v1
	v_sub_f32_e32 v4, v4, v11
	v_mul_f32_e32 v8, 0x3fb8aa3b, v3
	v_fma_f32 v21, v2, s0, -v7
	v_rndne_f32_e32 v22, v7
	v_fmac_f32_e32 v12, 0x32a5705f, v0
	v_sub_f32_e32 v5, v5, v20
	v_add_f32_e32 v4, v4, v10
	v_fma_f32 v23, v3, s0, -v8
	v_rndne_f32_e32 v24, v8
	v_cvt_i32_f32_e32 v11, v11
	v_fmac_f32_e32 v21, 0x32a5705f, v2
	v_sub_f32_e32 v7, v7, v22
	v_add_f32_e32 v5, v5, v12
	v_exp_f32_e32 v4, v4
	v_cvt_i32_f32_e32 v20, v20
	v_fmac_f32_e32 v23, 0x32a5705f, v3
	v_sub_f32_e32 v8, v8, v24
	v_add_f32_e32 v7, v7, v21
	v_exp_f32_e32 v5, v5
	v_cvt_i32_f32_e32 v22, v22
	v_add_f32_e32 v8, v8, v23
	v_exp_f32_e32 v7, v7
	v_cvt_i32_f32_e32 v24, v24
	v_exp_f32_e32 v8, v8
	v_ldexp_f32 v4, v4, v11
	v_cmp_ngt_f32_e32 vcc, s1, v1
	v_ldexp_f32 v5, v5, v20
	v_cndmask_b32_e32 v4, 0, v4, vcc
	v_cmp_ngt_f32_e32 vcc, s1, v0
	v_ldexp_f32 v7, v7, v22
	v_cndmask_b32_e32 v5, 0, v5, vcc
	;; [unrolled: 3-line block ×3, first 2 shown]
	v_cmp_ngt_f32_e32 vcc, s1, v3
	v_cndmask_b32_e32 v8, 0, v8, vcc
	v_cmp_nlt_f32_e32 vcc, s2, v1
	v_cndmask_b32_e32 v1, v6, v4, vcc
	v_cmp_nlt_f32_e32 vcc, s2, v0
	;; [unrolled: 2-line block ×4, first 2 shown]
	v_add_f32_e32 v4, v0, v1
	v_cndmask_b32_e32 v3, v6, v8, vcc
	v_add_f32_e32 v4, v4, v2
	v_add_f32_e32 v4, v4, v3
	ds_bpermute_b32 v5, v14, v4
	s_load_dwordx2 s[0:1], s[4:5], 0x40
	v_lshlrev_b32_e32 v20, 2, v13
	s_waitcnt lgkmcnt(0)
	v_add_f32_e32 v4, v4, v5
	ds_bpermute_b32 v5, v15, v4
	s_cmp_eq_u64 s[0:1], 0
	s_waitcnt lgkmcnt(0)
	v_add_f32_e32 v4, v4, v5
	ds_bpermute_b32 v5, v16, v4
	s_waitcnt lgkmcnt(0)
	v_add_f32_e32 v4, v4, v5
	ds_bpermute_b32 v5, v17, v4
	;; [unrolled: 3-line block ×4, first 2 shown]
	s_waitcnt lgkmcnt(0)
	v_add_f32_e32 v4, v4, v5
	v_div_scale_f32 v5, s[2:3], v4, v4, 1.0
	v_rcp_f32_e32 v6, v5
	v_div_scale_f32 v7, vcc, 1.0, v4, 1.0
	v_fma_f32 v8, -v5, v6, 1.0
	v_fmac_f32_e32 v6, v8, v6
	v_mul_f32_e32 v8, v7, v6
	v_fma_f32 v10, -v5, v8, v7
	v_fmac_f32_e32 v8, v10, v6
	v_fma_f32 v5, -v5, v8, v7
	v_div_fmas_f32 v5, v5, v6, v8
	v_div_fixup_f32 v4, v5, v4, 1.0
	v_mul_f32_e32 v0, v4, v0
	v_mul_f32_e32 v1, v4, v1
	v_cmp_class_f32_e64 vcc, v0, s8
	v_mul_f32_e32 v2, v4, v2
	v_cndmask_b32_e32 v0, 0, v0, vcc
	v_cmp_class_f32_e64 vcc, v1, s8
	v_mul_f32_e32 v3, v4, v3
	v_cndmask_b32_e32 v1, 0, v1, vcc
	v_cmp_class_f32_e64 vcc, v2, s8
	v_cndmask_b32_e32 v2, 0, v2, vcc
	v_cmp_class_f32_e64 vcc, v3, s8
	v_cndmask_b32_e32 v3, 0, v3, vcc
	s_cbranch_scc1 .LBB61_31
; %bb.4:
	v_lshlrev_b32_e32 v4, 2, v20
	global_load_dwordx4 v[4:7], v4, s[0:1]
	s_waitcnt vmcnt(0)
	v_pk_add_f32 v[4:5], v[4:5], v[0:1]
	v_pk_add_f32 v[6:7], v[6:7], v[2:3]
	s_cbranch_execnz .LBB61_6
.LBB61_5:
	v_pk_mov_b32 v[6:7], v[2:3], v[2:3] op_sel:[0,1]
	v_pk_mov_b32 v[4:5], v[0:1], v[0:1] op_sel:[0,1]
.LBB61_6:
	s_load_dwordx4 s[8:11], s[4:5], 0x30
	s_mov_b32 s25, 0
	v_cmp_eq_u32_e64 s[0:1], 0, v13
	s_waitcnt lgkmcnt(0)
	s_bitcmp1_b32 s11, 0
	s_cselect_b64 vcc, -1, 0
	s_cmp_gt_i32 s8, 0
	s_cselect_b64 s[20:21], -1, 0
	s_cmp_lt_i32 s8, 1
	s_cbranch_scc1 .LBB61_32
; %bb.7:
	s_load_dwordx4 s[12:15], s[4:5], 0x20
	v_mul_lo_u32 v22, v9, s8
	v_mov_b32_e32 v21, 0
	v_mov_b32_e32 v23, 0x100
	;; [unrolled: 1-line block ×4, first 2 shown]
	s_branch .LBB61_10
.LBB61_8:                               ;   in Loop: Header=BB61_10 Depth=1
	s_or_b64 exec, exec, s[4:5]
.LBB61_9:                               ;   in Loop: Header=BB61_10 Depth=1
	s_cmp_eq_u32 s8, s25
	v_add_u32_e32 v25, s24, v25
	s_cbranch_scc1 .LBB61_33
.LBB61_10:                              ; =>This Inner Loop Header: Depth=1
	v_cmp_gt_f32_e64 s[2:3], v5, v4
	v_cndmask_b32_e64 v8, v4, v5, s[2:3]
	v_cndmask_b32_e64 v10, v0, v1, s[2:3]
	s_waitcnt lgkmcnt(0)
	v_cndmask_b32_e64 v11, 0, 1, s[2:3]
	v_cmp_gt_f32_e64 s[2:3], v6, v8
	v_cndmask_b32_e64 v8, v8, v6, s[2:3]
	v_cndmask_b32_e64 v10, v10, v2, s[2:3]
	;; [unrolled: 1-line block ×3, first 2 shown]
	v_cmp_gt_f32_e64 s[2:3], v7, v8
	v_cndmask_b32_e64 v11, v11, 3, s[2:3]
	v_cndmask_b32_e64 v8, v8, v7, s[2:3]
	v_or_b32_e32 v11, v20, v11
	ds_bpermute_b32 v12, v14, v8
	ds_bpermute_b32 v26, v14, v11
	v_cndmask_b32_e64 v10, v10, v3, s[2:3]
	ds_bpermute_b32 v28, v14, v10
	s_waitcnt lgkmcnt(0)
	v_cmp_eq_f32_e64 s[4:5], v8, v12
	v_cmp_lt_i32_e64 s[6:7], v26, v11
	v_cmp_lt_f32_e64 s[2:3], v8, v12
	s_and_b64 s[4:5], s[4:5], s[6:7]
	s_or_b64 s[2:3], s[2:3], s[4:5]
	v_cndmask_b32_e64 v27, v11, v26, s[2:3]
	v_cndmask_b32_e64 v26, v8, v12, s[2:3]
	;; [unrolled: 1-line block ×3, first 2 shown]
	ds_bpermute_b32 v29, v15, v26
	ds_bpermute_b32 v12, v15, v8
	;; [unrolled: 1-line block ×3, first 2 shown]
                                        ; implicit-def: $vgpr10_vgpr11
	s_waitcnt lgkmcnt(2)
	v_cmp_lt_f32_e64 s[6:7], v26, v29
	v_cmp_nlt_f32_e64 s[2:3], v26, v29
	s_and_saveexec_b64 s[22:23], s[2:3]
	s_cbranch_execz .LBB61_12
; %bb.11:                               ;   in Loop: Header=BB61_10 Depth=1
	v_cmp_eq_f32_e64 s[2:3], v26, v29
	s_waitcnt lgkmcnt(0)
	v_cmp_lt_i32_e64 s[4:5], v28, v27
	s_and_b64 s[2:3], s[2:3], s[4:5]
	s_andn2_b64 s[4:5], s[6:7], exec
	s_and_b64 s[2:3], s[2:3], exec
	s_or_b64 s[6:7], s[4:5], s[2:3]
	v_pk_mov_b32 v[10:11], v[8:9], v[8:9] op_sel:[0,1]
.LBB61_12:                              ;   in Loop: Header=BB61_10 Depth=1
	s_or_b64 exec, exec, s[22:23]
	s_and_saveexec_b64 s[2:3], s[6:7]
	s_cbranch_execz .LBB61_14
; %bb.13:                               ;   in Loop: Header=BB61_10 Depth=1
	v_mov_b32_e32 v26, v29
	s_waitcnt lgkmcnt(1)
	v_mov_b32_e32 v8, v12
	s_waitcnt lgkmcnt(0)
	v_mov_b32_e32 v27, v28
	v_pk_mov_b32 v[10:11], v[12:13], v[12:13] op_sel:[0,1]
.LBB61_14:                              ;   in Loop: Header=BB61_10 Depth=1
	s_or_b64 exec, exec, s[2:3]
	s_waitcnt lgkmcnt(0)
	ds_bpermute_b32 v28, v16, v26
	ds_bpermute_b32 v12, v16, v8
	;; [unrolled: 1-line block ×3, first 2 shown]
	s_waitcnt lgkmcnt(2)
	v_cmp_lt_f32_e64 s[6:7], v26, v28
	v_cmp_nlt_f32_e64 s[2:3], v26, v28
	s_and_saveexec_b64 s[22:23], s[2:3]
	s_cbranch_execz .LBB61_16
; %bb.15:                               ;   in Loop: Header=BB61_10 Depth=1
	v_cmp_eq_f32_e64 s[2:3], v26, v28
	s_waitcnt lgkmcnt(0)
	v_cmp_lt_i32_e64 s[4:5], v11, v27
	s_and_b64 s[2:3], s[2:3], s[4:5]
	s_andn2_b64 s[4:5], s[6:7], exec
	s_and_b64 s[2:3], s[2:3], exec
	s_or_b64 s[6:7], s[4:5], s[2:3]
.LBB61_16:                              ;   in Loop: Header=BB61_10 Depth=1
	s_or_b64 exec, exec, s[22:23]
	s_and_saveexec_b64 s[2:3], s[6:7]
	s_cbranch_execz .LBB61_18
; %bb.17:                               ;   in Loop: Header=BB61_10 Depth=1
	v_mov_b32_e32 v26, v28
	s_waitcnt lgkmcnt(1)
	v_mov_b32_e32 v8, v12
	s_waitcnt lgkmcnt(0)
	v_mov_b32_e32 v27, v11
	v_pk_mov_b32 v[10:11], v[12:13], v[12:13] op_sel:[0,1]
.LBB61_18:                              ;   in Loop: Header=BB61_10 Depth=1
	s_or_b64 exec, exec, s[2:3]
	ds_bpermute_b32 v28, v17, v26
	s_waitcnt lgkmcnt(2)
	ds_bpermute_b32 v12, v17, v8
	s_waitcnt lgkmcnt(2)
	ds_bpermute_b32 v11, v17, v27
	s_waitcnt lgkmcnt(2)
	v_cmp_lt_f32_e64 s[6:7], v26, v28
	v_cmp_nlt_f32_e64 s[2:3], v26, v28
	s_and_saveexec_b64 s[22:23], s[2:3]
	s_cbranch_execz .LBB61_20
; %bb.19:                               ;   in Loop: Header=BB61_10 Depth=1
	v_cmp_eq_f32_e64 s[2:3], v26, v28
	s_waitcnt lgkmcnt(0)
	v_cmp_lt_i32_e64 s[4:5], v11, v27
	s_and_b64 s[2:3], s[2:3], s[4:5]
	s_andn2_b64 s[4:5], s[6:7], exec
	s_and_b64 s[2:3], s[2:3], exec
	s_or_b64 s[6:7], s[4:5], s[2:3]
.LBB61_20:                              ;   in Loop: Header=BB61_10 Depth=1
	s_or_b64 exec, exec, s[22:23]
	s_and_saveexec_b64 s[2:3], s[6:7]
	s_cbranch_execz .LBB61_22
; %bb.21:                               ;   in Loop: Header=BB61_10 Depth=1
	v_mov_b32_e32 v26, v28
	s_waitcnt lgkmcnt(1)
	v_mov_b32_e32 v8, v12
	s_waitcnt lgkmcnt(0)
	v_mov_b32_e32 v27, v11
	v_pk_mov_b32 v[10:11], v[12:13], v[12:13] op_sel:[0,1]
.LBB61_22:                              ;   in Loop: Header=BB61_10 Depth=1
	s_or_b64 exec, exec, s[2:3]
	ds_bpermute_b32 v28, v18, v26
	s_waitcnt lgkmcnt(2)
	ds_bpermute_b32 v12, v18, v8
	s_waitcnt lgkmcnt(2)
	;; [unrolled: 2-line block ×3, first 2 shown]
	v_cmp_lt_f32_e64 s[6:7], v26, v28
	v_cmp_nlt_f32_e64 s[2:3], v26, v28
	s_and_saveexec_b64 s[22:23], s[2:3]
	s_cbranch_execz .LBB61_24
; %bb.23:                               ;   in Loop: Header=BB61_10 Depth=1
	v_cmp_eq_f32_e64 s[2:3], v26, v28
	s_waitcnt lgkmcnt(0)
	v_cmp_lt_i32_e64 s[4:5], v11, v27
	s_and_b64 s[2:3], s[2:3], s[4:5]
	s_andn2_b64 s[4:5], s[6:7], exec
	s_and_b64 s[2:3], s[2:3], exec
	s_or_b64 s[6:7], s[4:5], s[2:3]
.LBB61_24:                              ;   in Loop: Header=BB61_10 Depth=1
	s_or_b64 exec, exec, s[22:23]
	s_and_saveexec_b64 s[2:3], s[6:7]
	s_cbranch_execz .LBB61_26
; %bb.25:                               ;   in Loop: Header=BB61_10 Depth=1
	v_mov_b32_e32 v26, v28
	s_waitcnt lgkmcnt(1)
	v_mov_b32_e32 v8, v12
	s_waitcnt lgkmcnt(0)
	v_mov_b32_e32 v27, v11
	v_pk_mov_b32 v[10:11], v[12:13], v[12:13] op_sel:[0,1]
.LBB61_26:                              ;   in Loop: Header=BB61_10 Depth=1
	s_or_b64 exec, exec, s[2:3]
	s_waitcnt lgkmcnt(1)
	ds_bpermute_b32 v12, v19, v26
	ds_bpermute_b32 v28, v19, v27
	s_waitcnt lgkmcnt(2)
	ds_bpermute_b32 v11, v19, v8
	s_waitcnt lgkmcnt(2)
	v_cmp_eq_f32_e64 s[4:5], v26, v12
	s_waitcnt lgkmcnt(1)
	v_cmp_lt_i32_e64 s[6:7], v28, v27
	v_cmp_lt_f32_e64 s[2:3], v26, v12
	s_and_b64 s[4:5], s[4:5], s[6:7]
	s_or_b64 s[2:3], s[2:3], s[4:5]
	v_cndmask_b32_e64 v8, v27, v28, s[2:3]
	s_and_saveexec_b64 s[6:7], s[0:1]
	s_cbranch_execnz .LBB61_28
; %bb.27:                               ;   in Loop: Header=BB61_10 Depth=1
	s_or_b64 exec, exec, s[6:7]
	s_add_i32 s25, s25, 1
	s_cmp_ge_i32 s25, s8
	s_cbranch_scc1 .LBB61_9
	s_branch .LBB61_29
.LBB61_28:                              ;   in Loop: Header=BB61_10 Depth=1
	s_waitcnt lgkmcnt(0)
	v_cndmask_b32_e64 v12, v10, v11, s[2:3]
	v_add_u32_e32 v10, s25, v22
	v_ashrrev_i32_e32 v11, 31, v10
	v_cmp_le_i32_e64 s[2:3], s9, v8
	v_cmp_gt_i32_e64 s[4:5], s10, v8
	v_lshlrev_b64 v[26:27], 2, v[10:11]
	s_and_b64 s[4:5], s[2:3], s[4:5]
	v_mov_b32_e32 v29, s17
	v_add_co_u32_e64 v28, s[2:3], s16, v26
	v_addc_co_u32_e64 v29, s[2:3], v29, v27, s[2:3]
	global_store_dword v[28:29], v12, off
	v_subrev_u32_e32 v28, s9, v8
	v_ashrrev_i32_e32 v29, 31, v28
	s_and_b64 s[2:3], s[18:19], s[4:5]
	v_lshlrev_b64 v[10:11], 3, v[10:11]
	v_cndmask_b32_e64 v29, 0, v29, s[2:3]
	v_cndmask_b32_e64 v28, v23, v28, s[2:3]
	v_mov_b32_e32 v30, s13
	v_add_co_u32_e64 v10, s[2:3], s12, v10
	v_addc_co_u32_e64 v11, s[2:3], v30, v11, s[2:3]
	global_store_dwordx2 v[10:11], v[28:29], off
	v_mov_b32_e32 v11, s15
	v_add_co_u32_e64 v10, s[2:3], s14, v26
	v_addc_co_u32_e64 v11, s[2:3], v11, v27, s[2:3]
	global_store_dword v[10:11], v25, off
	v_add_f32_e32 v10, v21, v12
	v_cndmask_b32_e32 v21, v21, v10, vcc
	s_or_b64 exec, exec, s[6:7]
	s_add_i32 s25, s25, 1
	s_cmp_ge_i32 s25, s8
	s_cbranch_scc1 .LBB61_9
.LBB61_29:                              ;   in Loop: Header=BB61_10 Depth=1
	v_ashrrev_i32_e32 v10, 31, v8
	s_waitcnt lgkmcnt(0)
	v_lshrrev_b32_e32 v11, 30, v10
	v_add_u32_e32 v12, v8, v11
	v_ashrrev_i32_e32 v11, 2, v12
	v_ashrrev_i32_e32 v12, 31, v12
	v_lshrrev_b32_e32 v12, 26, v12
	v_add_u32_e32 v12, v11, v12
	v_and_b32_e32 v12, 0xffffffc0, v12
	v_sub_u32_e32 v12, v11, v12
	v_cmp_eq_u32_e64 s[2:3], v13, v12
	s_and_saveexec_b64 s[4:5], s[2:3]
	s_cbranch_execz .LBB61_8
; %bb.30:                               ;   in Loop: Header=BB61_10 Depth=1
	v_add_u32_sdwa v10, v8, v10 dst_sel:DWORD dst_unused:UNUSED_PAD src0_sel:DWORD src1_sel:BYTE_3
	v_lshlrev_b32_e32 v11, 2, v11
	v_ashrrev_i32_e32 v10, 8, v10
	v_sub_u32_e32 v8, v8, v11
	v_lshl_add_u32 v8, v10, 2, v8
	v_cmp_ne_u32_e64 s[2:3], 3, v8
	v_cndmask_b32_e64 v7, v24, v7, s[2:3]
	v_cmp_ne_u32_e64 s[2:3], 2, v8
	v_cndmask_b32_e64 v6, v24, v6, s[2:3]
	;; [unrolled: 2-line block ×4, first 2 shown]
	s_branch .LBB61_8
.LBB61_31:
                                        ; implicit-def: $vgpr4_vgpr5_vgpr6_vgpr7
	s_andn2_b64 vcc, exec, s[6:7]
	s_cbranch_vccz .LBB61_5
	s_branch .LBB61_6
.LBB61_32:
	v_mov_b32_e32 v21, 0
.LBB61_33:
	v_cmp_eq_u32_e64 s[0:1], 0, v13
	s_and_b64 s[0:1], s[0:1], vcc
	s_and_b64 exec, exec, s[0:1]
	s_cbranch_execz .LBB61_42
; %bb.34:
	s_andn2_b64 vcc, exec, s[20:21]
	s_cbranch_vccnz .LBB61_42
; %bb.35:
	v_cmp_lt_f32_e32 vcc, 0, v21
	s_mov_b32 s2, 0
	v_cndmask_b32_e32 v0, 1.0, v21, vcc
	v_mul_lo_u32 v4, v9, s8
	s_cmp_eq_u32 s8, 1
	s_mov_b64 s[0:1], -1
	s_cbranch_scc1 .LBB61_39
; %bb.36:
	s_and_b32 s2, s8, 0x7ffffffe
	v_mov_b32_e32 v1, v0
	v_mov_b32_e32 v5, s17
	s_mov_b32 s3, s2
	v_mov_b32_e32 v2, v4
.LBB61_37:                              ; =>This Inner Loop Header: Depth=1
	v_ashrrev_i32_e32 v3, 31, v2
	v_lshlrev_b64 v[6:7], 2, v[2:3]
	v_add_co_u32_e32 v6, vcc, s16, v6
	v_addc_co_u32_e32 v7, vcc, v5, v7, vcc
	global_load_dwordx2 v[8:9], v[6:7], off
	s_add_i32 s3, s3, -2
	s_cmp_lg_u32 s3, 0
	v_add_u32_e32 v2, 2, v2
	s_waitcnt vmcnt(0)
	v_div_scale_f32 v3, s[0:1], v1, v1, v9
	s_waitcnt lgkmcnt(0)
	v_div_scale_f32 v11, s[0:1], v0, v0, v8
	v_rcp_f32_e32 v12, v3
	v_rcp_f32_e32 v13, v11
	v_div_scale_f32 v10, vcc, v9, v1, v9
	v_fma_f32 v15, -v3, v12, 1.0
	v_fma_f32 v16, -v11, v13, 1.0
	v_fmac_f32_e32 v12, v15, v12
	v_div_scale_f32 v14, s[0:1], v8, v0, v8
	v_fmac_f32_e32 v13, v16, v13
	v_mul_f32_e32 v15, v10, v12
	v_mul_f32_e32 v16, v14, v13
	v_fma_f32 v17, -v3, v15, v10
	v_fma_f32 v18, -v11, v16, v14
	v_fmac_f32_e32 v15, v17, v12
	v_fmac_f32_e32 v16, v18, v13
	v_fma_f32 v3, -v3, v15, v10
	v_fma_f32 v10, -v11, v16, v14
	v_div_fmas_f32 v3, v3, v12, v15
	s_mov_b64 vcc, s[0:1]
	v_div_fixup_f32 v9, v3, v1, v9
	v_div_fmas_f32 v3, v10, v13, v16
	v_div_fixup_f32 v8, v3, v0, v8
	global_store_dwordx2 v[6:7], v[8:9], off
	s_cbranch_scc1 .LBB61_37
; %bb.38:
	s_cmp_lg_u32 s2, s8
	s_cselect_b64 s[0:1], -1, 0
.LBB61_39:
	s_and_b64 vcc, exec, s[0:1]
	s_cbranch_vccz .LBB61_42
; %bb.40:
	v_ashrrev_i32_e32 v1, 31, v4
	v_add_co_u32_e32 v2, vcc, s2, v4
	v_addc_co_u32_e32 v3, vcc, 0, v1, vcc
	v_lshlrev_b64 v[2:3], 2, v[2:3]
	v_mov_b32_e32 v1, s17
	v_add_co_u32_e32 v2, vcc, s16, v2
	s_sub_i32 s0, s8, s2
	v_addc_co_u32_e32 v3, vcc, v1, v3, vcc
.LBB61_41:                              ; =>This Inner Loop Header: Depth=1
	global_load_dword v1, v[2:3], off
	s_add_i32 s0, s0, -1
	s_cmp_lg_u32 s0, 0
	s_waitcnt vmcnt(0)
	v_div_scale_f32 v4, s[2:3], v0, v0, v1
	v_rcp_f32_e32 v5, v4
	v_div_scale_f32 v6, vcc, v1, v0, v1
	v_fma_f32 v7, -v4, v5, 1.0
	v_fmac_f32_e32 v5, v7, v5
	v_mul_f32_e32 v7, v6, v5
	v_fma_f32 v8, -v4, v7, v6
	v_fmac_f32_e32 v7, v8, v5
	v_fma_f32 v4, -v4, v7, v6
	v_div_fmas_f32 v4, v4, v5, v7
	v_div_fixup_f32 v1, v4, v0, v1
	global_store_dword v[2:3], v1, off
	v_add_co_u32_e32 v2, vcc, 4, v2
	v_addc_co_u32_e32 v3, vcc, 0, v3, vcc
	s_cbranch_scc1 .LBB61_41
.LBB61_42:
	s_endpgm
	.section	.rodata,"a",@progbits
	.p2align	6, 0x0
	.amdhsa_kernel _ZN4vllm3moe10topkGatingILi4ELi256ELi4ELi16ELi64ElfLNS0_11ScoringFuncE0EEEvPKT5_PKbPfiPT4_PiiiibPKf
		.amdhsa_group_segment_fixed_size 0
		.amdhsa_private_segment_fixed_size 0
		.amdhsa_kernarg_size 72
		.amdhsa_user_sgpr_count 6
		.amdhsa_user_sgpr_private_segment_buffer 1
		.amdhsa_user_sgpr_dispatch_ptr 0
		.amdhsa_user_sgpr_queue_ptr 0
		.amdhsa_user_sgpr_kernarg_segment_ptr 1
		.amdhsa_user_sgpr_dispatch_id 0
		.amdhsa_user_sgpr_flat_scratch_init 0
		.amdhsa_user_sgpr_kernarg_preload_length 0
		.amdhsa_user_sgpr_kernarg_preload_offset 0
		.amdhsa_user_sgpr_private_segment_size 0
		.amdhsa_uses_dynamic_stack 0
		.amdhsa_system_sgpr_private_segment_wavefront_offset 0
		.amdhsa_system_sgpr_workgroup_id_x 1
		.amdhsa_system_sgpr_workgroup_id_y 0
		.amdhsa_system_sgpr_workgroup_id_z 0
		.amdhsa_system_sgpr_workgroup_info 0
		.amdhsa_system_vgpr_workitem_id 1
		.amdhsa_next_free_vgpr 31
		.amdhsa_next_free_sgpr 26
		.amdhsa_accum_offset 32
		.amdhsa_reserve_vcc 1
		.amdhsa_reserve_flat_scratch 0
		.amdhsa_float_round_mode_32 0
		.amdhsa_float_round_mode_16_64 0
		.amdhsa_float_denorm_mode_32 3
		.amdhsa_float_denorm_mode_16_64 3
		.amdhsa_dx10_clamp 1
		.amdhsa_ieee_mode 1
		.amdhsa_fp16_overflow 0
		.amdhsa_tg_split 0
		.amdhsa_exception_fp_ieee_invalid_op 0
		.amdhsa_exception_fp_denorm_src 0
		.amdhsa_exception_fp_ieee_div_zero 0
		.amdhsa_exception_fp_ieee_overflow 0
		.amdhsa_exception_fp_ieee_underflow 0
		.amdhsa_exception_fp_ieee_inexact 0
		.amdhsa_exception_int_div_zero 0
	.end_amdhsa_kernel
	.section	.text._ZN4vllm3moe10topkGatingILi4ELi256ELi4ELi16ELi64ElfLNS0_11ScoringFuncE0EEEvPKT5_PKbPfiPT4_PiiiibPKf,"axG",@progbits,_ZN4vllm3moe10topkGatingILi4ELi256ELi4ELi16ELi64ElfLNS0_11ScoringFuncE0EEEvPKT5_PKbPfiPT4_PiiiibPKf,comdat
.Lfunc_end61:
	.size	_ZN4vllm3moe10topkGatingILi4ELi256ELi4ELi16ELi64ElfLNS0_11ScoringFuncE0EEEvPKT5_PKbPfiPT4_PiiiibPKf, .Lfunc_end61-_ZN4vllm3moe10topkGatingILi4ELi256ELi4ELi16ELi64ElfLNS0_11ScoringFuncE0EEEvPKT5_PKbPfiPT4_PiiiibPKf
                                        ; -- End function
	.section	.AMDGPU.csdata,"",@progbits
; Kernel info:
; codeLenInByte = 2876
; NumSgprs: 30
; NumVgprs: 31
; NumAgprs: 0
; TotalNumVgprs: 31
; ScratchSize: 0
; MemoryBound: 0
; FloatMode: 240
; IeeeMode: 1
; LDSByteSize: 0 bytes/workgroup (compile time only)
; SGPRBlocks: 3
; VGPRBlocks: 3
; NumSGPRsForWavesPerEU: 30
; NumVGPRsForWavesPerEU: 31
; AccumOffset: 32
; Occupancy: 8
; WaveLimiterHint : 0
; COMPUTE_PGM_RSRC2:SCRATCH_EN: 0
; COMPUTE_PGM_RSRC2:USER_SGPR: 6
; COMPUTE_PGM_RSRC2:TRAP_HANDLER: 0
; COMPUTE_PGM_RSRC2:TGID_X_EN: 1
; COMPUTE_PGM_RSRC2:TGID_Y_EN: 0
; COMPUTE_PGM_RSRC2:TGID_Z_EN: 0
; COMPUTE_PGM_RSRC2:TIDIG_COMP_CNT: 1
; COMPUTE_PGM_RSRC3_GFX90A:ACCUM_OFFSET: 7
; COMPUTE_PGM_RSRC3_GFX90A:TG_SPLIT: 0
	.section	.text._ZN4vllm3moe10topkGatingILi8ELi256ELi4ELi16ELi32ElfLNS0_11ScoringFuncE0EEEvPKT5_PKbPfiPT4_PiiiibPKf,"axG",@progbits,_ZN4vllm3moe10topkGatingILi8ELi256ELi4ELi16ELi32ElfLNS0_11ScoringFuncE0EEEvPKT5_PKbPfiPT4_PiiiibPKf,comdat
	.protected	_ZN4vllm3moe10topkGatingILi8ELi256ELi4ELi16ELi32ElfLNS0_11ScoringFuncE0EEEvPKT5_PKbPfiPT4_PiiiibPKf ; -- Begin function _ZN4vllm3moe10topkGatingILi8ELi256ELi4ELi16ELi32ElfLNS0_11ScoringFuncE0EEEvPKT5_PKbPfiPT4_PiiiibPKf
	.globl	_ZN4vllm3moe10topkGatingILi8ELi256ELi4ELi16ELi32ElfLNS0_11ScoringFuncE0EEEvPKT5_PKbPfiPT4_PiiiibPKf
	.p2align	8
	.type	_ZN4vllm3moe10topkGatingILi8ELi256ELi4ELi16ELi32ElfLNS0_11ScoringFuncE0EEEvPKT5_PKbPfiPT4_PiiiibPKf,@function
_ZN4vllm3moe10topkGatingILi8ELi256ELi4ELi16ELi32ElfLNS0_11ScoringFuncE0EEEvPKT5_PKbPfiPT4_PiiiibPKf: ; @_ZN4vllm3moe10topkGatingILi8ELi256ELi4ELi16ELi32ElfLNS0_11ScoringFuncE0EEEvPKT5_PKbPfiPT4_PiiiibPKf
; %bb.0:
	s_load_dword s24, s[4:5], 0x18
	v_and_b32_e32 v1, 0x3ff, v0
	s_lshl_b32 s0, s6, 2
	v_lshrrev_b32_e32 v2, 5, v1
	v_bfe_u32 v0, v0, 10, 10
	v_add3_u32 v17, s0, v0, v2
	s_waitcnt lgkmcnt(0)
	v_cmp_gt_i32_e32 vcc, s24, v17
	s_and_saveexec_b64 s[0:1], vcc
	s_cbranch_execz .LBB62_38
; %bb.1:
	s_load_dwordx4 s[0:3], s[4:5], 0x0
	s_load_dwordx2 s[16:17], s[4:5], 0x10
	s_mov_b64 s[6:7], -1
	s_mov_b64 s[18:19], -1
	s_waitcnt lgkmcnt(0)
	s_cmp_eq_u64 s[2:3], 0
	s_cbranch_scc1 .LBB62_3
; %bb.2:
	v_ashrrev_i32_e32 v0, 31, v17
	v_mov_b32_e32 v3, s3
	v_add_co_u32_e32 v2, vcc, s2, v17
	v_addc_co_u32_e32 v3, vcc, v3, v0, vcc
	global_load_ubyte v0, v[2:3], off
	s_waitcnt vmcnt(0)
	v_and_b32_e32 v0, 1, v0
	v_cmp_eq_u32_e32 vcc, 1, v0
	s_xor_b64 s[2:3], vcc, -1
	s_orn2_b64 s[18:19], s[2:3], exec
.LBB62_3:
	v_lshlrev_b32_e32 v2, 8, v17
	v_ashrrev_i32_e32 v3, 31, v2
	v_lshlrev_b64 v[2:3], 2, v[2:3]
	v_mov_b32_e32 v0, s1
	v_add_co_u32_e32 v2, vcc, s0, v2
	v_and_b32_e32 v21, 31, v1
	v_addc_co_u32_e32 v0, vcc, v0, v3, vcc
	v_lshlrev_b32_e32 v1, 4, v21
	v_add_co_u32_e32 v8, vcc, v2, v1
	v_addc_co_u32_e32 v9, vcc, 0, v0, vcc
	global_load_dwordx4 v[0:3], v[8:9], off
	global_load_dwordx4 v[4:7], v[8:9], off offset:512
	v_mbcnt_lo_u32_b32 v8, -1, 0
	v_mbcnt_hi_u32_b32 v8, -1, v8
	v_and_b32_e32 v9, 0x60, v8
	v_xor_b32_e32 v10, 16, v8
	v_add_u32_e32 v9, 32, v9
	v_cmp_lt_i32_e32 vcc, v10, v9
	v_cndmask_b32_e32 v10, v8, v10, vcc
	v_lshlrev_b32_e32 v22, 2, v10
	v_xor_b32_e32 v13, 8, v8
	v_cmp_lt_i32_e32 vcc, v13, v9
	v_cndmask_b32_e32 v13, v8, v13, vcc
	v_lshlrev_b32_e32 v23, 2, v13
	v_xor_b32_e32 v13, 4, v8
	;; [unrolled: 4-line block ×4, first 2 shown]
	v_cmp_lt_i32_e32 vcc, v13, v9
	v_cndmask_b32_e32 v8, v8, v13, vcc
	v_lshlrev_b32_e32 v26, 2, v8
	s_mov_b32 s2, 0x3fb8aa3b
	s_mov_b32 s0, 0xc2ce8ed0
	;; [unrolled: 1-line block ×3, first 2 shown]
	v_mov_b32_e32 v12, 0x7f800000
	s_waitcnt vmcnt(1)
	v_max_f32_e32 v10, v1, v1
	v_max_f32_e32 v11, v0, v0
	;; [unrolled: 1-line block ×3, first 2 shown]
	v_max3_f32 v10, v10, v2, v3
	s_waitcnt vmcnt(0)
	v_max3_f32 v10, v10, v4, v5
	v_max3_f32 v10, v10, v6, v7
	ds_bpermute_b32 v11, v22, v10
	v_mov_b32_e32 v9, v6
	s_waitcnt lgkmcnt(0)
	v_max_f32_e32 v11, v11, v11
	v_max_f32_e32 v10, v10, v11
	ds_bpermute_b32 v11, v23, v10
	s_waitcnt lgkmcnt(0)
	v_max_f32_e32 v11, v11, v11
	v_max_f32_e32 v10, v10, v11
	ds_bpermute_b32 v11, v24, v10
	;; [unrolled: 4-line block ×4, first 2 shown]
	v_mov_b32_e32 v10, v3
	v_mov_b32_e32 v11, v4
	;; [unrolled: 1-line block ×3, first 2 shown]
	s_waitcnt lgkmcnt(0)
	v_max_f32_e32 v3, v14, v14
	v_max_f32_e32 v4, v13, v3
	v_sub_f32_e32 v3, v0, v4
	v_sub_f32_e32 v5, v1, v4
	;; [unrolled: 1-line block ×3, first 2 shown]
	v_mul_f32_e32 v7, 0x3fb8aa3b, v3
	v_sub_f32_e32 v2, v2, v4
	v_pk_add_f32 v[0:1], v[8:9], v[4:5] op_sel_hi:[1,0] neg_lo:[0,1] neg_hi:[0,1]
	v_mul_f32_e32 v8, 0x3fb8aa3b, v5
	v_fma_f32 v16, v3, s2, -v7
	v_rndne_f32_e32 v18, v7
	v_mul_f32_e32 v9, 0x3fb8aa3b, v2
	v_fma_f32 v19, v5, s2, -v8
	v_rndne_f32_e32 v20, v8
	v_fmac_f32_e32 v16, 0x32a5705f, v3
	v_sub_f32_e32 v7, v7, v18
	v_mul_f32_e32 v13, 0x3fb8aa3b, v1
	v_fma_f32 v27, v2, s2, -v9
	v_rndne_f32_e32 v28, v9
	v_fmac_f32_e32 v19, 0x32a5705f, v5
	v_sub_f32_e32 v8, v8, v20
	v_add_f32_e32 v7, v7, v16
	v_fma_f32 v29, v1, s2, -v13
	v_rndne_f32_e32 v30, v13
	v_cvt_i32_f32_e32 v18, v18
	v_fmac_f32_e32 v27, 0x32a5705f, v2
	v_sub_f32_e32 v9, v9, v28
	v_add_f32_e32 v8, v8, v19
	v_exp_f32_e32 v7, v7
	v_cvt_i32_f32_e32 v20, v20
	v_fmac_f32_e32 v29, 0x32a5705f, v1
	v_sub_f32_e32 v13, v13, v30
	v_add_f32_e32 v9, v9, v27
	v_exp_f32_e32 v8, v8
	v_cvt_i32_f32_e32 v28, v28
	v_add_f32_e32 v13, v13, v29
	v_exp_f32_e32 v9, v9
	v_cvt_i32_f32_e32 v30, v30
	v_exp_f32_e32 v13, v13
	v_ldexp_f32 v7, v7, v18
	v_cmp_ngt_f32_e32 vcc, s0, v3
	v_ldexp_f32 v8, v8, v20
	v_cndmask_b32_e32 v7, 0, v7, vcc
	v_cmp_ngt_f32_e32 vcc, s0, v5
	v_ldexp_f32 v9, v9, v28
	v_cndmask_b32_e32 v8, 0, v8, vcc
	;; [unrolled: 3-line block ×3, first 2 shown]
	v_cmp_ngt_f32_e32 vcc, s0, v1
	v_cndmask_b32_e32 v13, 0, v13, vcc
	v_cmp_nlt_f32_e32 vcc, s1, v3
	v_mul_f32_e32 v14, 0x3fb8aa3b, v0
	v_cndmask_b32_e32 v7, v12, v7, vcc
	v_cmp_nlt_f32_e32 vcc, s1, v5
	v_fma_f32 v31, v0, s2, -v14
	v_rndne_f32_e32 v32, v14
	v_cndmask_b32_e32 v5, v12, v8, vcc
	v_cmp_nlt_f32_e32 vcc, s1, v2
	v_mul_f32_e32 v15, 0x3fb8aa3b, v6
	v_fmac_f32_e32 v31, 0x32a5705f, v0
	v_sub_f32_e32 v14, v14, v32
	v_cndmask_b32_e32 v8, v12, v9, vcc
	v_add_f32_e32 v2, v7, v5
	v_fma_f32 v33, v6, s2, -v15
	v_add_f32_e32 v14, v14, v31
	v_add_f32_e32 v9, v2, v8
	v_rndne_f32_e32 v2, v15
	v_cvt_i32_f32_e32 v32, v32
	v_exp_f32_e32 v14, v14
	v_fmac_f32_e32 v33, 0x32a5705f, v6
	v_sub_f32_e32 v3, v15, v2
	v_add_f32_e32 v3, v3, v33
	v_exp_f32_e32 v3, v3
	v_cvt_i32_f32_e32 v2, v2
	v_cmp_nlt_f32_e32 vcc, s1, v1
	v_ldexp_f32 v14, v14, v32
	v_cndmask_b32_e32 v1, v12, v13, vcc
	v_cmp_ngt_f32_e32 vcc, s0, v0
	v_cndmask_b32_e32 v13, 0, v14, vcc
	v_cmp_nlt_f32_e32 vcc, s1, v0
	v_cndmask_b32_e32 v0, v12, v13, vcc
	v_ldexp_f32 v13, v3, v2
	v_pk_add_f32 v[2:3], v[10:11], v[4:5] op_sel_hi:[1,0] neg_lo:[0,1] neg_hi:[0,1]
	v_mul_f32_e32 v4, 0x3fb8aa3b, v3
	v_fma_f32 v10, v3, s2, -v4
	v_rndne_f32_e32 v11, v4
	v_fmac_f32_e32 v10, 0x32a5705f, v3
	v_sub_f32_e32 v4, v4, v11
	v_add_f32_e32 v4, v4, v10
	v_exp_f32_e32 v4, v4
	v_cvt_i32_f32_e32 v10, v11
	v_cmp_ngt_f32_e32 vcc, s0, v6
	v_cndmask_b32_e32 v11, 0, v13, vcc
	v_cmp_nlt_f32_e32 vcc, s1, v6
	v_mul_f32_e32 v6, 0x3fb8aa3b, v2
	v_ldexp_f32 v4, v4, v10
	v_fma_f32 v10, v2, s2, -v6
	v_rndne_f32_e32 v13, v6
	v_fmac_f32_e32 v10, 0x32a5705f, v2
	v_sub_f32_e32 v6, v6, v13
	v_add_f32_e32 v6, v6, v10
	v_exp_f32_e32 v6, v6
	v_cvt_i32_f32_e32 v10, v13
	v_cndmask_b32_e32 v11, v12, v11, vcc
	v_cmp_ngt_f32_e32 vcc, s0, v3
	v_cndmask_b32_e32 v4, 0, v4, vcc
	v_cmp_nlt_f32_e32 vcc, s1, v3
	v_cndmask_b32_e32 v3, v12, v4, vcc
	v_ldexp_f32 v4, v6, v10
	v_cmp_ngt_f32_e32 vcc, s0, v2
	v_cndmask_b32_e32 v4, 0, v4, vcc
	v_cmp_nlt_f32_e32 vcc, s1, v2
	v_cndmask_b32_e32 v2, v12, v4, vcc
	v_add_f32_e32 v4, v9, v2
	v_add_f32_e32 v4, v4, v3
	;; [unrolled: 1-line block ×5, first 2 shown]
	ds_bpermute_b32 v6, v22, v4
	s_movk_i32 s2, 0x1f8
	v_lshlrev_b32_e32 v27, 2, v21
	s_waitcnt lgkmcnt(0)
	v_add_f32_e32 v4, v4, v6
	ds_bpermute_b32 v6, v23, v4
	s_waitcnt lgkmcnt(0)
	v_add_f32_e32 v4, v4, v6
	ds_bpermute_b32 v6, v24, v4
	;; [unrolled: 3-line block ×4, first 2 shown]
	s_waitcnt lgkmcnt(0)
	v_add_f32_e32 v4, v4, v6
	v_div_scale_f32 v6, s[0:1], v4, v4, 1.0
	v_rcp_f32_e32 v9, v6
	s_load_dwordx2 s[0:1], s[4:5], 0x40
	v_fma_f32 v10, -v6, v9, 1.0
	v_fmac_f32_e32 v9, v10, v9
	v_div_scale_f32 v10, vcc, 1.0, v4, 1.0
	v_mul_f32_e32 v12, v10, v9
	v_fma_f32 v13, -v6, v12, v10
	v_fmac_f32_e32 v12, v13, v9
	v_fma_f32 v6, -v6, v12, v10
	v_div_fmas_f32 v6, v6, v9, v12
	v_div_fixup_f32 v4, v6, v4, 1.0
	v_mul_f32_e32 v10, v4, v7
	v_mul_f32_e32 v5, v4, v5
	v_cmp_class_f32_e64 vcc, v10, s2
	v_mul_f32_e32 v12, v4, v8
	v_pk_mul_f32 v[8:9], v[4:5], v[0:1] op_sel_hi:[0,1]
	v_cndmask_b32_e32 v0, 0, v10, vcc
	v_cmp_class_f32_e64 vcc, v5, s2
	v_pk_mul_f32 v[6:7], v[4:5], v[2:3] op_sel_hi:[0,1]
	v_cndmask_b32_e32 v1, 0, v5, vcc
	v_cmp_class_f32_e64 vcc, v12, s2
	v_mov_b32_e32 v5, 0x207
	v_cndmask_b32_e32 v2, 0, v12, vcc
	v_cmp_class_f32_e32 vcc, v7, v5
	v_mul_f32_e32 v11, v4, v11
	v_cndmask_b32_e64 v4, v7, 0, vcc
	v_cmp_class_f32_e32 vcc, v6, v5
	v_cndmask_b32_e64 v3, v6, 0, vcc
	v_cmp_class_f32_e32 vcc, v9, v5
	;; [unrolled: 2-line block ×3, first 2 shown]
	v_cndmask_b32_e64 v5, v8, 0, vcc
	v_cmp_class_f32_e64 vcc, v11, s2
	s_waitcnt lgkmcnt(0)
	s_cmp_eq_u64 s[0:1], 0
	v_cndmask_b32_e32 v7, 0, v11, vcc
	s_cbranch_scc1 .LBB62_27
; %bb.4:
	v_lshlrev_b32_e32 v16, 2, v27
	global_load_dwordx4 v[8:11], v16, s[0:1]
	global_load_dwordx4 v[12:15], v16, s[0:1] offset:512
	s_waitcnt vmcnt(1)
	v_pk_add_f32 v[8:9], v[8:9], v[0:1]
	v_pk_add_f32 v[10:11], v[10:11], v[2:3]
	s_waitcnt vmcnt(0)
	v_pk_add_f32 v[12:13], v[12:13], v[4:5]
	v_pk_add_f32 v[14:15], v[14:15], v[6:7]
	s_cbranch_execnz .LBB62_6
.LBB62_5:
	v_pk_mov_b32 v[14:15], v[6:7], v[6:7] op_sel:[0,1]
	v_pk_mov_b32 v[12:13], v[4:5], v[4:5] op_sel:[0,1]
	;; [unrolled: 1-line block ×4, first 2 shown]
.LBB62_6:
	s_load_dwordx4 s[8:11], s[4:5], 0x30
	s_mov_b32 s25, 0
	v_cmp_eq_u32_e64 s[0:1], 0, v21
	s_waitcnt lgkmcnt(0)
	s_bitcmp1_b32 s11, 0
	s_cselect_b64 vcc, -1, 0
	s_cmp_gt_i32 s8, 0
	s_cselect_b64 s[20:21], -1, 0
	s_cmp_lt_i32 s8, 1
	s_cbranch_scc1 .LBB62_28
; %bb.7:
	s_load_dwordx4 s[12:15], s[4:5], 0x20
	v_mul_lo_u32 v29, v17, s8
	v_mov_b32_e32 v28, 0
	v_mov_b32_e32 v30, 0x80
	;; [unrolled: 1-line block ×8, first 2 shown]
	s_branch .LBB62_10
.LBB62_8:                               ;   in Loop: Header=BB62_10 Depth=1
	s_or_b64 exec, exec, s[4:5]
.LBB62_9:                               ;   in Loop: Header=BB62_10 Depth=1
	s_cmp_eq_u32 s8, s25
	v_add_u32_e32 v36, s24, v36
	s_cbranch_scc1 .LBB62_29
.LBB62_10:                              ; =>This Inner Loop Header: Depth=1
	v_cmp_gt_f32_e64 s[2:3], v9, v8
	v_cndmask_b32_e64 v16, v8, v9, s[2:3]
	v_cndmask_b32_e64 v18, v0, v1, s[2:3]
	s_waitcnt lgkmcnt(0)
	v_cndmask_b32_e64 v19, 0, 1, s[2:3]
	v_cmp_gt_f32_e64 s[2:3], v10, v16
	v_cndmask_b32_e64 v16, v16, v10, s[2:3]
	v_cndmask_b32_e64 v18, v18, v2, s[2:3]
	v_cndmask_b32_e64 v19, v19, 2, s[2:3]
	v_cmp_gt_f32_e64 s[2:3], v11, v16
	v_cndmask_b32_e64 v16, v16, v11, s[2:3]
	v_cndmask_b32_e64 v18, v18, v3, s[2:3]
	;; [unrolled: 4-line block ×6, first 2 shown]
	v_or_b32_e32 v19, v27, v19
	ds_bpermute_b32 v20, v22, v16
	ds_bpermute_b32 v37, v22, v19
	v_cndmask_b32_e64 v18, v18, v7, s[2:3]
	ds_bpermute_b32 v39, v22, v18
	s_waitcnt lgkmcnt(0)
	v_cmp_eq_f32_e64 s[4:5], v16, v20
	v_cmp_lt_i32_e64 s[6:7], v37, v19
	v_cmp_lt_f32_e64 s[2:3], v16, v20
	s_and_b64 s[4:5], s[4:5], s[6:7]
	s_or_b64 s[2:3], s[2:3], s[4:5]
	v_cndmask_b32_e64 v38, v19, v37, s[2:3]
	v_cndmask_b32_e64 v37, v16, v20, s[2:3]
	;; [unrolled: 1-line block ×3, first 2 shown]
	ds_bpermute_b32 v40, v23, v37
	ds_bpermute_b32 v20, v23, v16
	ds_bpermute_b32 v39, v23, v38
                                        ; implicit-def: $vgpr18_vgpr19
	s_waitcnt lgkmcnt(2)
	v_cmp_lt_f32_e64 s[6:7], v37, v40
	v_cmp_nlt_f32_e64 s[2:3], v37, v40
	s_and_saveexec_b64 s[22:23], s[2:3]
	s_cbranch_execz .LBB62_12
; %bb.11:                               ;   in Loop: Header=BB62_10 Depth=1
	v_cmp_eq_f32_e64 s[2:3], v37, v40
	s_waitcnt lgkmcnt(0)
	v_cmp_lt_i32_e64 s[4:5], v39, v38
	s_and_b64 s[2:3], s[2:3], s[4:5]
	s_andn2_b64 s[4:5], s[6:7], exec
	s_and_b64 s[2:3], s[2:3], exec
	s_or_b64 s[6:7], s[4:5], s[2:3]
	v_pk_mov_b32 v[18:19], v[16:17], v[16:17] op_sel:[0,1]
.LBB62_12:                              ;   in Loop: Header=BB62_10 Depth=1
	s_or_b64 exec, exec, s[22:23]
	s_and_saveexec_b64 s[2:3], s[6:7]
	s_cbranch_execz .LBB62_14
; %bb.13:                               ;   in Loop: Header=BB62_10 Depth=1
	v_mov_b32_e32 v37, v40
	s_waitcnt lgkmcnt(1)
	v_mov_b32_e32 v16, v20
	s_waitcnt lgkmcnt(0)
	v_mov_b32_e32 v38, v39
	v_pk_mov_b32 v[18:19], v[20:21], v[20:21] op_sel:[0,1]
.LBB62_14:                              ;   in Loop: Header=BB62_10 Depth=1
	s_or_b64 exec, exec, s[2:3]
	s_waitcnt lgkmcnt(0)
	ds_bpermute_b32 v39, v24, v37
	ds_bpermute_b32 v20, v24, v16
	;; [unrolled: 1-line block ×3, first 2 shown]
	s_waitcnt lgkmcnt(2)
	v_cmp_lt_f32_e64 s[6:7], v37, v39
	v_cmp_nlt_f32_e64 s[2:3], v37, v39
	s_and_saveexec_b64 s[22:23], s[2:3]
	s_cbranch_execz .LBB62_16
; %bb.15:                               ;   in Loop: Header=BB62_10 Depth=1
	v_cmp_eq_f32_e64 s[2:3], v37, v39
	s_waitcnt lgkmcnt(0)
	v_cmp_lt_i32_e64 s[4:5], v19, v38
	s_and_b64 s[2:3], s[2:3], s[4:5]
	s_andn2_b64 s[4:5], s[6:7], exec
	s_and_b64 s[2:3], s[2:3], exec
	s_or_b64 s[6:7], s[4:5], s[2:3]
.LBB62_16:                              ;   in Loop: Header=BB62_10 Depth=1
	s_or_b64 exec, exec, s[22:23]
	s_and_saveexec_b64 s[2:3], s[6:7]
	s_cbranch_execz .LBB62_18
; %bb.17:                               ;   in Loop: Header=BB62_10 Depth=1
	v_mov_b32_e32 v37, v39
	s_waitcnt lgkmcnt(1)
	v_mov_b32_e32 v16, v20
	s_waitcnt lgkmcnt(0)
	v_mov_b32_e32 v38, v19
	v_pk_mov_b32 v[18:19], v[20:21], v[20:21] op_sel:[0,1]
.LBB62_18:                              ;   in Loop: Header=BB62_10 Depth=1
	s_or_b64 exec, exec, s[2:3]
	ds_bpermute_b32 v39, v25, v37
	s_waitcnt lgkmcnt(2)
	ds_bpermute_b32 v20, v25, v16
	s_waitcnt lgkmcnt(2)
	ds_bpermute_b32 v19, v25, v38
	s_waitcnt lgkmcnt(2)
	v_cmp_lt_f32_e64 s[6:7], v37, v39
	v_cmp_nlt_f32_e64 s[2:3], v37, v39
	s_and_saveexec_b64 s[22:23], s[2:3]
	s_cbranch_execz .LBB62_20
; %bb.19:                               ;   in Loop: Header=BB62_10 Depth=1
	v_cmp_eq_f32_e64 s[2:3], v37, v39
	s_waitcnt lgkmcnt(0)
	v_cmp_lt_i32_e64 s[4:5], v19, v38
	s_and_b64 s[2:3], s[2:3], s[4:5]
	s_andn2_b64 s[4:5], s[6:7], exec
	s_and_b64 s[2:3], s[2:3], exec
	s_or_b64 s[6:7], s[4:5], s[2:3]
.LBB62_20:                              ;   in Loop: Header=BB62_10 Depth=1
	s_or_b64 exec, exec, s[22:23]
	s_and_saveexec_b64 s[2:3], s[6:7]
	s_cbranch_execz .LBB62_22
; %bb.21:                               ;   in Loop: Header=BB62_10 Depth=1
	v_mov_b32_e32 v37, v39
	s_waitcnt lgkmcnt(1)
	v_mov_b32_e32 v16, v20
	s_waitcnt lgkmcnt(0)
	v_mov_b32_e32 v38, v19
	v_pk_mov_b32 v[18:19], v[20:21], v[20:21] op_sel:[0,1]
.LBB62_22:                              ;   in Loop: Header=BB62_10 Depth=1
	s_or_b64 exec, exec, s[2:3]
	s_waitcnt lgkmcnt(1)
	ds_bpermute_b32 v20, v26, v37
	ds_bpermute_b32 v39, v26, v38
	s_waitcnt lgkmcnt(2)
	ds_bpermute_b32 v19, v26, v16
	s_waitcnt lgkmcnt(2)
	v_cmp_eq_f32_e64 s[4:5], v37, v20
	s_waitcnt lgkmcnt(1)
	v_cmp_lt_i32_e64 s[6:7], v39, v38
	v_cmp_lt_f32_e64 s[2:3], v37, v20
	s_and_b64 s[4:5], s[4:5], s[6:7]
	s_or_b64 s[2:3], s[2:3], s[4:5]
	v_cndmask_b32_e64 v16, v38, v39, s[2:3]
	s_and_saveexec_b64 s[6:7], s[0:1]
	s_cbranch_execnz .LBB62_24
; %bb.23:                               ;   in Loop: Header=BB62_10 Depth=1
	s_or_b64 exec, exec, s[6:7]
	s_add_i32 s25, s25, 1
	s_cmp_ge_i32 s25, s8
	s_cbranch_scc1 .LBB62_9
	s_branch .LBB62_25
.LBB62_24:                              ;   in Loop: Header=BB62_10 Depth=1
	s_waitcnt lgkmcnt(0)
	v_cndmask_b32_e64 v20, v18, v19, s[2:3]
	v_add_u32_e32 v18, s25, v29
	v_ashrrev_i32_e32 v19, 31, v18
	v_cmp_le_i32_e64 s[2:3], s9, v16
	v_cmp_gt_i32_e64 s[4:5], s10, v16
	v_lshlrev_b64 v[38:39], 2, v[18:19]
	s_and_b64 s[4:5], s[2:3], s[4:5]
	v_mov_b32_e32 v37, s17
	v_add_co_u32_e64 v40, s[2:3], s16, v38
	v_addc_co_u32_e64 v41, s[2:3], v37, v39, s[2:3]
	v_subrev_u32_e32 v37, s9, v16
	global_store_dword v[40:41], v20, off
	v_ashrrev_i32_e32 v40, 31, v37
	s_and_b64 s[2:3], s[18:19], s[4:5]
	v_lshlrev_b64 v[18:19], 3, v[18:19]
	v_cndmask_b32_e64 v41, 0, v40, s[2:3]
	v_cndmask_b32_e64 v40, v34, v37, s[2:3]
	v_mov_b32_e32 v37, s13
	v_add_co_u32_e64 v18, s[2:3], s12, v18
	v_addc_co_u32_e64 v19, s[2:3], v37, v19, s[2:3]
	global_store_dwordx2 v[18:19], v[40:41], off
	v_mov_b32_e32 v19, s15
	v_add_co_u32_e64 v18, s[2:3], s14, v38
	v_addc_co_u32_e64 v19, s[2:3], v19, v39, s[2:3]
	global_store_dword v[18:19], v36, off
	v_add_f32_e32 v18, v28, v20
	v_cndmask_b32_e32 v28, v28, v18, vcc
	s_or_b64 exec, exec, s[6:7]
	s_add_i32 s25, s25, 1
	s_cmp_ge_i32 s25, s8
	s_cbranch_scc1 .LBB62_9
.LBB62_25:                              ;   in Loop: Header=BB62_10 Depth=1
	s_waitcnt lgkmcnt(0)
	v_ashrrev_i32_e32 v19, 31, v16
	v_lshrrev_b32_e32 v18, 30, v19
	v_add_u32_e32 v20, v16, v18
	v_ashrrev_i32_e32 v18, 2, v20
	v_ashrrev_i32_e32 v20, 31, v20
	v_lshrrev_b32_e32 v20, 27, v20
	v_add_u32_e32 v20, v18, v20
	v_and_b32_e32 v20, 0xffffffe0, v20
	v_sub_u32_e32 v20, v18, v20
	v_cmp_eq_u32_e64 s[2:3], v21, v20
	s_and_saveexec_b64 s[4:5], s[2:3]
	s_cbranch_execz .LBB62_8
; %bb.26:                               ;   in Loop: Header=BB62_10 Depth=1
	v_lshrrev_b32_e32 v19, 25, v19
	v_add_u32_e32 v19, v16, v19
	v_lshlrev_b32_e32 v18, 2, v18
	v_ashrrev_i32_e32 v19, 7, v19
	v_sub_u32_e32 v16, v16, v18
	v_lshl_add_u32 v16, v19, 2, v16
	v_cmp_ne_u32_e64 s[2:3], 7, v16
	v_cndmask_b32_e64 v15, v35, v15, s[2:3]
	v_cmp_ne_u32_e64 s[2:3], 6, v16
	v_cndmask_b32_e64 v14, v35, v14, s[2:3]
	v_cmp_ne_u32_e64 s[2:3], 5, v16
	v_cndmask_b32_e64 v13, v35, v13, s[2:3]
	v_cmp_ne_u32_e64 s[2:3], 4, v16
	v_cndmask_b32_e64 v12, v35, v12, s[2:3]
	v_cmp_ne_u32_e64 s[2:3], 3, v16
	v_cndmask_b32_e64 v11, v35, v11, s[2:3]
	v_cmp_ne_u32_e64 s[2:3], 2, v16
	v_cndmask_b32_e64 v10, v35, v10, s[2:3]
	v_cmp_ne_u32_e64 s[2:3], 1, v16
	v_cndmask_b32_e64 v9, v35, v9, s[2:3]
	v_cmp_ne_u32_e64 s[2:3], 0, v16
	v_cndmask_b32_e64 v8, v35, v8, s[2:3]
	s_branch .LBB62_8
.LBB62_27:
                                        ; implicit-def: $vgpr8_vgpr9_vgpr10_vgpr11_vgpr12_vgpr13_vgpr14_vgpr15
	s_andn2_b64 vcc, exec, s[6:7]
	s_cbranch_vccz .LBB62_5
	s_branch .LBB62_6
.LBB62_28:
	v_mov_b32_e32 v28, 0
.LBB62_29:
	v_cmp_eq_u32_e64 s[0:1], 0, v21
	s_and_b64 s[0:1], s[0:1], vcc
	s_and_b64 exec, exec, s[0:1]
	s_cbranch_execz .LBB62_38
; %bb.30:
	s_andn2_b64 vcc, exec, s[20:21]
	s_cbranch_vccnz .LBB62_38
; %bb.31:
	v_cmp_lt_f32_e32 vcc, 0, v28
	s_mov_b32 s2, 0
	v_cndmask_b32_e32 v0, 1.0, v28, vcc
	v_mul_lo_u32 v4, v17, s8
	s_cmp_eq_u32 s8, 1
	s_mov_b64 s[0:1], -1
	s_cbranch_scc1 .LBB62_35
; %bb.32:
	s_and_b32 s2, s8, 0x7ffffffe
	v_mov_b32_e32 v1, v0
	v_mov_b32_e32 v5, s17
	s_mov_b32 s3, s2
	v_mov_b32_e32 v2, v4
.LBB62_33:                              ; =>This Inner Loop Header: Depth=1
	v_ashrrev_i32_e32 v3, 31, v2
	v_lshlrev_b64 v[6:7], 2, v[2:3]
	v_add_co_u32_e32 v6, vcc, s16, v6
	v_addc_co_u32_e32 v7, vcc, v5, v7, vcc
	global_load_dwordx2 v[8:9], v[6:7], off
	s_add_i32 s3, s3, -2
	s_cmp_lg_u32 s3, 0
	v_add_u32_e32 v2, 2, v2
	s_waitcnt vmcnt(0)
	v_div_scale_f32 v3, s[0:1], v1, v1, v9
	v_div_scale_f32 v11, s[0:1], v0, v0, v8
	v_rcp_f32_e32 v12, v3
	v_rcp_f32_e32 v13, v11
	v_div_scale_f32 v10, vcc, v9, v1, v9
	v_fma_f32 v15, -v3, v12, 1.0
	v_fma_f32 v16, -v11, v13, 1.0
	v_fmac_f32_e32 v12, v15, v12
	v_div_scale_f32 v14, s[0:1], v8, v0, v8
	v_fmac_f32_e32 v13, v16, v13
	v_mul_f32_e32 v15, v10, v12
	v_mul_f32_e32 v16, v14, v13
	v_fma_f32 v17, -v3, v15, v10
	v_fma_f32 v18, -v11, v16, v14
	v_fmac_f32_e32 v15, v17, v12
	v_fmac_f32_e32 v16, v18, v13
	v_fma_f32 v3, -v3, v15, v10
	v_fma_f32 v10, -v11, v16, v14
	v_div_fmas_f32 v3, v3, v12, v15
	s_mov_b64 vcc, s[0:1]
	v_div_fixup_f32 v9, v3, v1, v9
	v_div_fmas_f32 v3, v10, v13, v16
	v_div_fixup_f32 v8, v3, v0, v8
	global_store_dwordx2 v[6:7], v[8:9], off
	s_cbranch_scc1 .LBB62_33
; %bb.34:
	s_cmp_lg_u32 s2, s8
	s_cselect_b64 s[0:1], -1, 0
.LBB62_35:
	s_and_b64 vcc, exec, s[0:1]
	s_cbranch_vccz .LBB62_38
; %bb.36:
	v_ashrrev_i32_e32 v1, 31, v4
	v_add_co_u32_e32 v2, vcc, s2, v4
	v_addc_co_u32_e32 v3, vcc, 0, v1, vcc
	v_lshlrev_b64 v[2:3], 2, v[2:3]
	v_mov_b32_e32 v1, s17
	v_add_co_u32_e32 v2, vcc, s16, v2
	s_sub_i32 s0, s8, s2
	v_addc_co_u32_e32 v3, vcc, v1, v3, vcc
.LBB62_37:                              ; =>This Inner Loop Header: Depth=1
	global_load_dword v1, v[2:3], off
	s_add_i32 s0, s0, -1
	s_cmp_lg_u32 s0, 0
	s_waitcnt vmcnt(0)
	v_div_scale_f32 v4, s[2:3], v0, v0, v1
	v_rcp_f32_e32 v5, v4
	v_div_scale_f32 v6, vcc, v1, v0, v1
	v_fma_f32 v7, -v4, v5, 1.0
	v_fmac_f32_e32 v5, v7, v5
	v_mul_f32_e32 v7, v6, v5
	v_fma_f32 v8, -v4, v7, v6
	v_fmac_f32_e32 v7, v8, v5
	v_fma_f32 v4, -v4, v7, v6
	v_div_fmas_f32 v4, v4, v5, v7
	v_div_fixup_f32 v1, v4, v0, v1
	global_store_dword v[2:3], v1, off
	v_add_co_u32_e32 v2, vcc, 4, v2
	v_addc_co_u32_e32 v3, vcc, 0, v3, vcc
	s_cbranch_scc1 .LBB62_37
.LBB62_38:
	s_endpgm
	.section	.rodata,"a",@progbits
	.p2align	6, 0x0
	.amdhsa_kernel _ZN4vllm3moe10topkGatingILi8ELi256ELi4ELi16ELi32ElfLNS0_11ScoringFuncE0EEEvPKT5_PKbPfiPT4_PiiiibPKf
		.amdhsa_group_segment_fixed_size 0
		.amdhsa_private_segment_fixed_size 0
		.amdhsa_kernarg_size 72
		.amdhsa_user_sgpr_count 6
		.amdhsa_user_sgpr_private_segment_buffer 1
		.amdhsa_user_sgpr_dispatch_ptr 0
		.amdhsa_user_sgpr_queue_ptr 0
		.amdhsa_user_sgpr_kernarg_segment_ptr 1
		.amdhsa_user_sgpr_dispatch_id 0
		.amdhsa_user_sgpr_flat_scratch_init 0
		.amdhsa_user_sgpr_kernarg_preload_length 0
		.amdhsa_user_sgpr_kernarg_preload_offset 0
		.amdhsa_user_sgpr_private_segment_size 0
		.amdhsa_uses_dynamic_stack 0
		.amdhsa_system_sgpr_private_segment_wavefront_offset 0
		.amdhsa_system_sgpr_workgroup_id_x 1
		.amdhsa_system_sgpr_workgroup_id_y 0
		.amdhsa_system_sgpr_workgroup_id_z 0
		.amdhsa_system_sgpr_workgroup_info 0
		.amdhsa_system_vgpr_workitem_id 1
		.amdhsa_next_free_vgpr 42
		.amdhsa_next_free_sgpr 26
		.amdhsa_accum_offset 44
		.amdhsa_reserve_vcc 1
		.amdhsa_reserve_flat_scratch 0
		.amdhsa_float_round_mode_32 0
		.amdhsa_float_round_mode_16_64 0
		.amdhsa_float_denorm_mode_32 3
		.amdhsa_float_denorm_mode_16_64 3
		.amdhsa_dx10_clamp 1
		.amdhsa_ieee_mode 1
		.amdhsa_fp16_overflow 0
		.amdhsa_tg_split 0
		.amdhsa_exception_fp_ieee_invalid_op 0
		.amdhsa_exception_fp_denorm_src 0
		.amdhsa_exception_fp_ieee_div_zero 0
		.amdhsa_exception_fp_ieee_overflow 0
		.amdhsa_exception_fp_ieee_underflow 0
		.amdhsa_exception_fp_ieee_inexact 0
		.amdhsa_exception_int_div_zero 0
	.end_amdhsa_kernel
	.section	.text._ZN4vllm3moe10topkGatingILi8ELi256ELi4ELi16ELi32ElfLNS0_11ScoringFuncE0EEEvPKT5_PKbPfiPT4_PiiiibPKf,"axG",@progbits,_ZN4vllm3moe10topkGatingILi8ELi256ELi4ELi16ELi32ElfLNS0_11ScoringFuncE0EEEvPKT5_PKbPfiPT4_PiiiibPKf,comdat
.Lfunc_end62:
	.size	_ZN4vllm3moe10topkGatingILi8ELi256ELi4ELi16ELi32ElfLNS0_11ScoringFuncE0EEEvPKT5_PKbPfiPT4_PiiiibPKf, .Lfunc_end62-_ZN4vllm3moe10topkGatingILi8ELi256ELi4ELi16ELi32ElfLNS0_11ScoringFuncE0EEEvPKT5_PKbPfiPT4_PiiiibPKf
                                        ; -- End function
	.section	.AMDGPU.csdata,"",@progbits
; Kernel info:
; codeLenInByte = 3376
; NumSgprs: 30
; NumVgprs: 42
; NumAgprs: 0
; TotalNumVgprs: 42
; ScratchSize: 0
; MemoryBound: 0
; FloatMode: 240
; IeeeMode: 1
; LDSByteSize: 0 bytes/workgroup (compile time only)
; SGPRBlocks: 3
; VGPRBlocks: 5
; NumSGPRsForWavesPerEU: 30
; NumVGPRsForWavesPerEU: 42
; AccumOffset: 44
; Occupancy: 8
; WaveLimiterHint : 1
; COMPUTE_PGM_RSRC2:SCRATCH_EN: 0
; COMPUTE_PGM_RSRC2:USER_SGPR: 6
; COMPUTE_PGM_RSRC2:TRAP_HANDLER: 0
; COMPUTE_PGM_RSRC2:TGID_X_EN: 1
; COMPUTE_PGM_RSRC2:TGID_Y_EN: 0
; COMPUTE_PGM_RSRC2:TGID_Z_EN: 0
; COMPUTE_PGM_RSRC2:TIDIG_COMP_CNT: 1
; COMPUTE_PGM_RSRC3_GFX90A:ACCUM_OFFSET: 10
; COMPUTE_PGM_RSRC3_GFX90A:TG_SPLIT: 0
	.section	.text._ZN4vllm3moe10topkGatingILi8ELi512ELi4ELi16ELi64ElfLNS0_11ScoringFuncE0EEEvPKT5_PKbPfiPT4_PiiiibPKf,"axG",@progbits,_ZN4vllm3moe10topkGatingILi8ELi512ELi4ELi16ELi64ElfLNS0_11ScoringFuncE0EEEvPKT5_PKbPfiPT4_PiiiibPKf,comdat
	.protected	_ZN4vllm3moe10topkGatingILi8ELi512ELi4ELi16ELi64ElfLNS0_11ScoringFuncE0EEEvPKT5_PKbPfiPT4_PiiiibPKf ; -- Begin function _ZN4vllm3moe10topkGatingILi8ELi512ELi4ELi16ELi64ElfLNS0_11ScoringFuncE0EEEvPKT5_PKbPfiPT4_PiiiibPKf
	.globl	_ZN4vllm3moe10topkGatingILi8ELi512ELi4ELi16ELi64ElfLNS0_11ScoringFuncE0EEEvPKT5_PKbPfiPT4_PiiiibPKf
	.p2align	8
	.type	_ZN4vllm3moe10topkGatingILi8ELi512ELi4ELi16ELi64ElfLNS0_11ScoringFuncE0EEEvPKT5_PKbPfiPT4_PiiiibPKf,@function
_ZN4vllm3moe10topkGatingILi8ELi512ELi4ELi16ELi64ElfLNS0_11ScoringFuncE0EEEvPKT5_PKbPfiPT4_PiiiibPKf: ; @_ZN4vllm3moe10topkGatingILi8ELi512ELi4ELi16ELi64ElfLNS0_11ScoringFuncE0EEEvPKT5_PKbPfiPT4_PiiiibPKf
; %bb.0:
	s_load_dword s24, s[4:5], 0x18
	v_and_b32_e32 v1, 0x3ff, v0
	s_lshl_b32 s0, s6, 2
	v_lshrrev_b32_e32 v2, 6, v1
	v_bfe_u32 v0, v0, 10, 10
	v_add3_u32 v17, s0, v0, v2
	s_waitcnt lgkmcnt(0)
	v_cmp_gt_i32_e32 vcc, s24, v17
	s_and_saveexec_b64 s[0:1], vcc
	s_cbranch_execz .LBB63_42
; %bb.1:
	s_load_dwordx4 s[0:3], s[4:5], 0x0
	s_load_dwordx2 s[16:17], s[4:5], 0x10
	s_mov_b64 s[6:7], -1
	s_mov_b64 s[18:19], -1
	s_waitcnt lgkmcnt(0)
	s_cmp_eq_u64 s[2:3], 0
	s_cbranch_scc1 .LBB63_3
; %bb.2:
	v_ashrrev_i32_e32 v0, 31, v17
	v_mov_b32_e32 v3, s3
	v_add_co_u32_e32 v2, vcc, s2, v17
	v_addc_co_u32_e32 v3, vcc, v3, v0, vcc
	global_load_ubyte v0, v[2:3], off
	s_waitcnt vmcnt(0)
	v_and_b32_e32 v0, 1, v0
	v_cmp_eq_u32_e32 vcc, 1, v0
	s_xor_b64 s[2:3], vcc, -1
	s_orn2_b64 s[18:19], s[2:3], exec
.LBB63_3:
	v_lshlrev_b32_e32 v2, 9, v17
	v_ashrrev_i32_e32 v3, 31, v2
	v_lshlrev_b64 v[2:3], 2, v[2:3]
	v_mov_b32_e32 v0, s1
	v_add_co_u32_e32 v2, vcc, s0, v2
	v_and_b32_e32 v21, 63, v1
	v_addc_co_u32_e32 v0, vcc, v0, v3, vcc
	v_lshlrev_b32_e32 v1, 4, v21
	v_add_co_u32_e32 v8, vcc, v2, v1
	v_addc_co_u32_e32 v9, vcc, 0, v0, vcc
	global_load_dwordx4 v[0:3], v[8:9], off
	global_load_dwordx4 v[4:7], v[8:9], off offset:1024
	v_mbcnt_lo_u32_b32 v8, -1, 0
	v_mbcnt_hi_u32_b32 v8, -1, v8
	v_and_b32_e32 v9, 64, v8
	v_xor_b32_e32 v10, 32, v8
	v_add_u32_e32 v9, 64, v9
	v_cmp_lt_i32_e32 vcc, v10, v9
	v_cndmask_b32_e32 v10, v8, v10, vcc
	v_lshlrev_b32_e32 v22, 2, v10
	v_xor_b32_e32 v13, 16, v8
	v_cmp_lt_i32_e32 vcc, v13, v9
	v_cndmask_b32_e32 v13, v8, v13, vcc
	v_lshlrev_b32_e32 v23, 2, v13
	v_xor_b32_e32 v13, 8, v8
	;; [unrolled: 4-line block ×5, first 2 shown]
	v_cmp_lt_i32_e32 vcc, v13, v9
	v_cndmask_b32_e32 v8, v8, v13, vcc
	v_lshlrev_b32_e32 v27, 2, v8
	s_mov_b32 s2, 0x3fb8aa3b
	s_mov_b32 s0, 0xc2ce8ed0
	;; [unrolled: 1-line block ×3, first 2 shown]
	v_mov_b32_e32 v12, 0x7f800000
	s_waitcnt vmcnt(1)
	v_max_f32_e32 v10, v1, v1
	v_max_f32_e32 v11, v0, v0
	;; [unrolled: 1-line block ×3, first 2 shown]
	v_max3_f32 v10, v10, v2, v3
	s_waitcnt vmcnt(0)
	v_max3_f32 v10, v10, v4, v5
	v_max3_f32 v10, v10, v6, v7
	ds_bpermute_b32 v11, v22, v10
	v_mov_b32_e32 v9, v6
	s_waitcnt lgkmcnt(0)
	v_max_f32_e32 v11, v11, v11
	v_max_f32_e32 v10, v10, v11
	ds_bpermute_b32 v11, v23, v10
	s_waitcnt lgkmcnt(0)
	v_max_f32_e32 v11, v11, v11
	v_max_f32_e32 v10, v10, v11
	ds_bpermute_b32 v11, v24, v10
	;; [unrolled: 4-line block ×5, first 2 shown]
	v_mov_b32_e32 v10, v3
	v_mov_b32_e32 v11, v4
	;; [unrolled: 1-line block ×3, first 2 shown]
	s_waitcnt lgkmcnt(0)
	v_max_f32_e32 v3, v14, v14
	v_max_f32_e32 v4, v13, v3
	v_sub_f32_e32 v3, v0, v4
	v_sub_f32_e32 v5, v1, v4
	;; [unrolled: 1-line block ×3, first 2 shown]
	v_mul_f32_e32 v7, 0x3fb8aa3b, v3
	v_sub_f32_e32 v2, v2, v4
	v_pk_add_f32 v[0:1], v[8:9], v[4:5] op_sel_hi:[1,0] neg_lo:[0,1] neg_hi:[0,1]
	v_mul_f32_e32 v8, 0x3fb8aa3b, v5
	v_fma_f32 v16, v3, s2, -v7
	v_rndne_f32_e32 v18, v7
	v_mul_f32_e32 v9, 0x3fb8aa3b, v2
	v_fma_f32 v19, v5, s2, -v8
	v_rndne_f32_e32 v20, v8
	v_fmac_f32_e32 v16, 0x32a5705f, v3
	v_sub_f32_e32 v7, v7, v18
	v_mul_f32_e32 v13, 0x3fb8aa3b, v1
	v_fma_f32 v28, v2, s2, -v9
	v_rndne_f32_e32 v29, v9
	v_fmac_f32_e32 v19, 0x32a5705f, v5
	v_sub_f32_e32 v8, v8, v20
	v_add_f32_e32 v7, v7, v16
	v_fma_f32 v30, v1, s2, -v13
	v_rndne_f32_e32 v31, v13
	v_cvt_i32_f32_e32 v18, v18
	v_fmac_f32_e32 v28, 0x32a5705f, v2
	v_sub_f32_e32 v9, v9, v29
	v_add_f32_e32 v8, v8, v19
	v_exp_f32_e32 v7, v7
	v_cvt_i32_f32_e32 v20, v20
	v_fmac_f32_e32 v30, 0x32a5705f, v1
	v_sub_f32_e32 v13, v13, v31
	v_add_f32_e32 v9, v9, v28
	v_exp_f32_e32 v8, v8
	v_cvt_i32_f32_e32 v29, v29
	v_add_f32_e32 v13, v13, v30
	v_exp_f32_e32 v9, v9
	v_cvt_i32_f32_e32 v31, v31
	v_exp_f32_e32 v13, v13
	v_ldexp_f32 v7, v7, v18
	v_cmp_ngt_f32_e32 vcc, s0, v3
	v_ldexp_f32 v8, v8, v20
	v_cndmask_b32_e32 v7, 0, v7, vcc
	v_cmp_ngt_f32_e32 vcc, s0, v5
	v_ldexp_f32 v9, v9, v29
	v_cndmask_b32_e32 v8, 0, v8, vcc
	;; [unrolled: 3-line block ×3, first 2 shown]
	v_cmp_ngt_f32_e32 vcc, s0, v1
	v_cndmask_b32_e32 v13, 0, v13, vcc
	v_cmp_nlt_f32_e32 vcc, s1, v3
	v_mul_f32_e32 v14, 0x3fb8aa3b, v0
	v_cndmask_b32_e32 v7, v12, v7, vcc
	v_cmp_nlt_f32_e32 vcc, s1, v5
	v_fma_f32 v32, v0, s2, -v14
	v_rndne_f32_e32 v33, v14
	v_cndmask_b32_e32 v5, v12, v8, vcc
	v_cmp_nlt_f32_e32 vcc, s1, v2
	v_mul_f32_e32 v15, 0x3fb8aa3b, v6
	v_fmac_f32_e32 v32, 0x32a5705f, v0
	v_sub_f32_e32 v14, v14, v33
	v_cndmask_b32_e32 v8, v12, v9, vcc
	v_add_f32_e32 v2, v7, v5
	v_fma_f32 v34, v6, s2, -v15
	v_add_f32_e32 v14, v14, v32
	v_add_f32_e32 v9, v2, v8
	v_rndne_f32_e32 v2, v15
	v_cvt_i32_f32_e32 v33, v33
	v_exp_f32_e32 v14, v14
	v_fmac_f32_e32 v34, 0x32a5705f, v6
	v_sub_f32_e32 v3, v15, v2
	v_add_f32_e32 v3, v3, v34
	v_exp_f32_e32 v3, v3
	v_cvt_i32_f32_e32 v2, v2
	v_cmp_nlt_f32_e32 vcc, s1, v1
	v_ldexp_f32 v14, v14, v33
	v_cndmask_b32_e32 v1, v12, v13, vcc
	v_cmp_ngt_f32_e32 vcc, s0, v0
	v_cndmask_b32_e32 v13, 0, v14, vcc
	v_cmp_nlt_f32_e32 vcc, s1, v0
	v_cndmask_b32_e32 v0, v12, v13, vcc
	v_ldexp_f32 v13, v3, v2
	v_pk_add_f32 v[2:3], v[10:11], v[4:5] op_sel_hi:[1,0] neg_lo:[0,1] neg_hi:[0,1]
	v_mul_f32_e32 v4, 0x3fb8aa3b, v3
	v_fma_f32 v10, v3, s2, -v4
	v_rndne_f32_e32 v11, v4
	v_fmac_f32_e32 v10, 0x32a5705f, v3
	v_sub_f32_e32 v4, v4, v11
	v_add_f32_e32 v4, v4, v10
	v_exp_f32_e32 v4, v4
	v_cvt_i32_f32_e32 v10, v11
	v_cmp_ngt_f32_e32 vcc, s0, v6
	v_cndmask_b32_e32 v11, 0, v13, vcc
	v_cmp_nlt_f32_e32 vcc, s1, v6
	v_mul_f32_e32 v6, 0x3fb8aa3b, v2
	v_ldexp_f32 v4, v4, v10
	v_fma_f32 v10, v2, s2, -v6
	v_rndne_f32_e32 v13, v6
	v_fmac_f32_e32 v10, 0x32a5705f, v2
	v_sub_f32_e32 v6, v6, v13
	v_add_f32_e32 v6, v6, v10
	v_exp_f32_e32 v6, v6
	v_cvt_i32_f32_e32 v10, v13
	v_cndmask_b32_e32 v11, v12, v11, vcc
	v_cmp_ngt_f32_e32 vcc, s0, v3
	v_cndmask_b32_e32 v4, 0, v4, vcc
	v_cmp_nlt_f32_e32 vcc, s1, v3
	v_cndmask_b32_e32 v3, v12, v4, vcc
	v_ldexp_f32 v4, v6, v10
	v_cmp_ngt_f32_e32 vcc, s0, v2
	v_cndmask_b32_e32 v4, 0, v4, vcc
	v_cmp_nlt_f32_e32 vcc, s1, v2
	v_cndmask_b32_e32 v2, v12, v4, vcc
	v_add_f32_e32 v4, v9, v2
	v_add_f32_e32 v4, v4, v3
	;; [unrolled: 1-line block ×5, first 2 shown]
	ds_bpermute_b32 v6, v22, v4
	s_movk_i32 s2, 0x1f8
	v_lshlrev_b32_e32 v28, 2, v21
	s_waitcnt lgkmcnt(0)
	v_add_f32_e32 v4, v4, v6
	ds_bpermute_b32 v6, v23, v4
	s_waitcnt lgkmcnt(0)
	v_add_f32_e32 v4, v4, v6
	ds_bpermute_b32 v6, v24, v4
	;; [unrolled: 3-line block ×5, first 2 shown]
	s_waitcnt lgkmcnt(0)
	v_add_f32_e32 v4, v4, v6
	v_div_scale_f32 v6, s[0:1], v4, v4, 1.0
	v_rcp_f32_e32 v9, v6
	s_load_dwordx2 s[0:1], s[4:5], 0x40
	v_fma_f32 v10, -v6, v9, 1.0
	v_fmac_f32_e32 v9, v10, v9
	v_div_scale_f32 v10, vcc, 1.0, v4, 1.0
	v_mul_f32_e32 v12, v10, v9
	v_fma_f32 v13, -v6, v12, v10
	v_fmac_f32_e32 v12, v13, v9
	v_fma_f32 v6, -v6, v12, v10
	v_div_fmas_f32 v6, v6, v9, v12
	v_div_fixup_f32 v4, v6, v4, 1.0
	v_mul_f32_e32 v10, v4, v7
	v_mul_f32_e32 v5, v4, v5
	v_cmp_class_f32_e64 vcc, v10, s2
	v_mul_f32_e32 v12, v4, v8
	v_pk_mul_f32 v[8:9], v[4:5], v[0:1] op_sel_hi:[0,1]
	v_cndmask_b32_e32 v0, 0, v10, vcc
	v_cmp_class_f32_e64 vcc, v5, s2
	v_pk_mul_f32 v[6:7], v[4:5], v[2:3] op_sel_hi:[0,1]
	v_cndmask_b32_e32 v1, 0, v5, vcc
	v_cmp_class_f32_e64 vcc, v12, s2
	v_mov_b32_e32 v5, 0x207
	v_cndmask_b32_e32 v2, 0, v12, vcc
	v_cmp_class_f32_e32 vcc, v7, v5
	v_mul_f32_e32 v11, v4, v11
	v_cndmask_b32_e64 v4, v7, 0, vcc
	v_cmp_class_f32_e32 vcc, v6, v5
	v_cndmask_b32_e64 v3, v6, 0, vcc
	v_cmp_class_f32_e32 vcc, v9, v5
	;; [unrolled: 2-line block ×3, first 2 shown]
	v_cndmask_b32_e64 v5, v8, 0, vcc
	v_cmp_class_f32_e64 vcc, v11, s2
	s_waitcnt lgkmcnt(0)
	s_cmp_eq_u64 s[0:1], 0
	v_cndmask_b32_e32 v7, 0, v11, vcc
	s_cbranch_scc1 .LBB63_31
; %bb.4:
	v_lshlrev_b32_e32 v16, 2, v28
	global_load_dwordx4 v[8:11], v16, s[0:1]
	global_load_dwordx4 v[12:15], v16, s[0:1] offset:1024
	s_waitcnt vmcnt(1)
	v_pk_add_f32 v[8:9], v[8:9], v[0:1]
	v_pk_add_f32 v[10:11], v[10:11], v[2:3]
	s_waitcnt vmcnt(0)
	v_pk_add_f32 v[12:13], v[12:13], v[4:5]
	v_pk_add_f32 v[14:15], v[14:15], v[6:7]
	s_cbranch_execnz .LBB63_6
.LBB63_5:
	v_pk_mov_b32 v[14:15], v[6:7], v[6:7] op_sel:[0,1]
	v_pk_mov_b32 v[12:13], v[4:5], v[4:5] op_sel:[0,1]
	;; [unrolled: 1-line block ×4, first 2 shown]
.LBB63_6:
	s_load_dwordx4 s[8:11], s[4:5], 0x30
	s_mov_b32 s25, 0
	v_cmp_eq_u32_e64 s[0:1], 0, v21
	s_waitcnt lgkmcnt(0)
	s_bitcmp1_b32 s11, 0
	s_cselect_b64 vcc, -1, 0
	s_cmp_gt_i32 s8, 0
	s_cselect_b64 s[20:21], -1, 0
	s_cmp_lt_i32 s8, 1
	s_cbranch_scc1 .LBB63_32
; %bb.7:
	s_load_dwordx4 s[12:15], s[4:5], 0x20
	v_mul_lo_u32 v30, v17, s8
	v_mov_b32_e32 v29, 0
	v_mov_b32_e32 v31, 0x100
	;; [unrolled: 1-line block ×3, first 2 shown]
	v_bfrev_b32_e32 v33, 4.0
	v_bfrev_b32_e32 v34, -4.0
	v_mov_b32_e32 v35, 0x200
	v_mov_b32_e32 v36, 0xc61c4000
	v_mov_b32_e32 v37, v17
	s_branch .LBB63_10
.LBB63_8:                               ;   in Loop: Header=BB63_10 Depth=1
	s_or_b64 exec, exec, s[4:5]
.LBB63_9:                               ;   in Loop: Header=BB63_10 Depth=1
	s_cmp_eq_u32 s8, s25
	v_add_u32_e32 v37, s24, v37
	s_cbranch_scc1 .LBB63_33
.LBB63_10:                              ; =>This Inner Loop Header: Depth=1
	v_cmp_gt_f32_e64 s[2:3], v9, v8
	v_cndmask_b32_e64 v16, v8, v9, s[2:3]
	v_cndmask_b32_e64 v18, v0, v1, s[2:3]
	s_waitcnt lgkmcnt(0)
	v_cndmask_b32_e64 v19, 0, 1, s[2:3]
	v_cmp_gt_f32_e64 s[2:3], v10, v16
	v_cndmask_b32_e64 v16, v16, v10, s[2:3]
	v_cndmask_b32_e64 v18, v18, v2, s[2:3]
	v_cndmask_b32_e64 v19, v19, 2, s[2:3]
	v_cmp_gt_f32_e64 s[2:3], v11, v16
	v_cndmask_b32_e64 v16, v16, v11, s[2:3]
	v_cndmask_b32_e64 v18, v18, v3, s[2:3]
	;; [unrolled: 4-line block ×6, first 2 shown]
	v_or_b32_e32 v19, v28, v19
	ds_bpermute_b32 v20, v22, v16
	ds_bpermute_b32 v38, v22, v19
	v_cndmask_b32_e64 v18, v18, v7, s[2:3]
	ds_bpermute_b32 v40, v22, v18
	s_waitcnt lgkmcnt(0)
	v_cmp_eq_f32_e64 s[4:5], v16, v20
	v_cmp_lt_i32_e64 s[6:7], v38, v19
	v_cmp_lt_f32_e64 s[2:3], v16, v20
	s_and_b64 s[4:5], s[4:5], s[6:7]
	s_or_b64 s[2:3], s[2:3], s[4:5]
	v_cndmask_b32_e64 v39, v19, v38, s[2:3]
	v_cndmask_b32_e64 v38, v16, v20, s[2:3]
	;; [unrolled: 1-line block ×3, first 2 shown]
	ds_bpermute_b32 v41, v23, v38
	ds_bpermute_b32 v20, v23, v16
	;; [unrolled: 1-line block ×3, first 2 shown]
                                        ; implicit-def: $vgpr18_vgpr19
	s_waitcnt lgkmcnt(2)
	v_cmp_lt_f32_e64 s[6:7], v38, v41
	v_cmp_nlt_f32_e64 s[2:3], v38, v41
	s_and_saveexec_b64 s[22:23], s[2:3]
	s_cbranch_execz .LBB63_12
; %bb.11:                               ;   in Loop: Header=BB63_10 Depth=1
	v_cmp_eq_f32_e64 s[2:3], v38, v41
	s_waitcnt lgkmcnt(0)
	v_cmp_lt_i32_e64 s[4:5], v40, v39
	s_and_b64 s[2:3], s[2:3], s[4:5]
	s_andn2_b64 s[4:5], s[6:7], exec
	s_and_b64 s[2:3], s[2:3], exec
	s_or_b64 s[6:7], s[4:5], s[2:3]
	v_pk_mov_b32 v[18:19], v[16:17], v[16:17] op_sel:[0,1]
.LBB63_12:                              ;   in Loop: Header=BB63_10 Depth=1
	s_or_b64 exec, exec, s[22:23]
	s_and_saveexec_b64 s[2:3], s[6:7]
	s_cbranch_execz .LBB63_14
; %bb.13:                               ;   in Loop: Header=BB63_10 Depth=1
	v_mov_b32_e32 v38, v41
	s_waitcnt lgkmcnt(1)
	v_mov_b32_e32 v16, v20
	s_waitcnt lgkmcnt(0)
	v_mov_b32_e32 v39, v40
	v_pk_mov_b32 v[18:19], v[20:21], v[20:21] op_sel:[0,1]
.LBB63_14:                              ;   in Loop: Header=BB63_10 Depth=1
	s_or_b64 exec, exec, s[2:3]
	s_waitcnt lgkmcnt(0)
	ds_bpermute_b32 v40, v24, v38
	ds_bpermute_b32 v20, v24, v16
	;; [unrolled: 1-line block ×3, first 2 shown]
	s_waitcnt lgkmcnt(2)
	v_cmp_lt_f32_e64 s[6:7], v38, v40
	v_cmp_nlt_f32_e64 s[2:3], v38, v40
	s_and_saveexec_b64 s[22:23], s[2:3]
	s_cbranch_execz .LBB63_16
; %bb.15:                               ;   in Loop: Header=BB63_10 Depth=1
	v_cmp_eq_f32_e64 s[2:3], v38, v40
	s_waitcnt lgkmcnt(0)
	v_cmp_lt_i32_e64 s[4:5], v19, v39
	s_and_b64 s[2:3], s[2:3], s[4:5]
	s_andn2_b64 s[4:5], s[6:7], exec
	s_and_b64 s[2:3], s[2:3], exec
	s_or_b64 s[6:7], s[4:5], s[2:3]
.LBB63_16:                              ;   in Loop: Header=BB63_10 Depth=1
	s_or_b64 exec, exec, s[22:23]
	s_and_saveexec_b64 s[2:3], s[6:7]
	s_cbranch_execz .LBB63_18
; %bb.17:                               ;   in Loop: Header=BB63_10 Depth=1
	v_mov_b32_e32 v38, v40
	s_waitcnt lgkmcnt(1)
	v_mov_b32_e32 v16, v20
	s_waitcnt lgkmcnt(0)
	v_mov_b32_e32 v39, v19
	v_pk_mov_b32 v[18:19], v[20:21], v[20:21] op_sel:[0,1]
.LBB63_18:                              ;   in Loop: Header=BB63_10 Depth=1
	s_or_b64 exec, exec, s[2:3]
	ds_bpermute_b32 v40, v25, v38
	s_waitcnt lgkmcnt(2)
	ds_bpermute_b32 v20, v25, v16
	s_waitcnt lgkmcnt(2)
	;; [unrolled: 2-line block ×3, first 2 shown]
	v_cmp_lt_f32_e64 s[6:7], v38, v40
	v_cmp_nlt_f32_e64 s[2:3], v38, v40
	s_and_saveexec_b64 s[22:23], s[2:3]
	s_cbranch_execz .LBB63_20
; %bb.19:                               ;   in Loop: Header=BB63_10 Depth=1
	v_cmp_eq_f32_e64 s[2:3], v38, v40
	s_waitcnt lgkmcnt(0)
	v_cmp_lt_i32_e64 s[4:5], v19, v39
	s_and_b64 s[2:3], s[2:3], s[4:5]
	s_andn2_b64 s[4:5], s[6:7], exec
	s_and_b64 s[2:3], s[2:3], exec
	s_or_b64 s[6:7], s[4:5], s[2:3]
.LBB63_20:                              ;   in Loop: Header=BB63_10 Depth=1
	s_or_b64 exec, exec, s[22:23]
	s_and_saveexec_b64 s[2:3], s[6:7]
	s_cbranch_execz .LBB63_22
; %bb.21:                               ;   in Loop: Header=BB63_10 Depth=1
	v_mov_b32_e32 v38, v40
	s_waitcnt lgkmcnt(1)
	v_mov_b32_e32 v16, v20
	s_waitcnt lgkmcnt(0)
	v_mov_b32_e32 v39, v19
	v_pk_mov_b32 v[18:19], v[20:21], v[20:21] op_sel:[0,1]
.LBB63_22:                              ;   in Loop: Header=BB63_10 Depth=1
	s_or_b64 exec, exec, s[2:3]
	ds_bpermute_b32 v40, v26, v38
	s_waitcnt lgkmcnt(2)
	ds_bpermute_b32 v20, v26, v16
	s_waitcnt lgkmcnt(2)
	ds_bpermute_b32 v19, v26, v39
	s_waitcnt lgkmcnt(2)
	v_cmp_lt_f32_e64 s[6:7], v38, v40
	v_cmp_nlt_f32_e64 s[2:3], v38, v40
	s_and_saveexec_b64 s[22:23], s[2:3]
	s_cbranch_execz .LBB63_24
; %bb.23:                               ;   in Loop: Header=BB63_10 Depth=1
	v_cmp_eq_f32_e64 s[2:3], v38, v40
	s_waitcnt lgkmcnt(0)
	v_cmp_lt_i32_e64 s[4:5], v19, v39
	s_and_b64 s[2:3], s[2:3], s[4:5]
	s_andn2_b64 s[4:5], s[6:7], exec
	s_and_b64 s[2:3], s[2:3], exec
	s_or_b64 s[6:7], s[4:5], s[2:3]
.LBB63_24:                              ;   in Loop: Header=BB63_10 Depth=1
	s_or_b64 exec, exec, s[22:23]
	s_and_saveexec_b64 s[2:3], s[6:7]
	s_cbranch_execz .LBB63_26
; %bb.25:                               ;   in Loop: Header=BB63_10 Depth=1
	v_mov_b32_e32 v38, v40
	s_waitcnt lgkmcnt(1)
	v_mov_b32_e32 v16, v20
	s_waitcnt lgkmcnt(0)
	v_mov_b32_e32 v39, v19
	v_pk_mov_b32 v[18:19], v[20:21], v[20:21] op_sel:[0,1]
.LBB63_26:                              ;   in Loop: Header=BB63_10 Depth=1
	s_or_b64 exec, exec, s[2:3]
	s_waitcnt lgkmcnt(1)
	ds_bpermute_b32 v20, v27, v38
	ds_bpermute_b32 v40, v27, v39
	s_waitcnt lgkmcnt(2)
	ds_bpermute_b32 v19, v27, v16
	s_waitcnt lgkmcnt(2)
	v_cmp_eq_f32_e64 s[4:5], v38, v20
	s_waitcnt lgkmcnt(1)
	v_cmp_lt_i32_e64 s[6:7], v40, v39
	v_cmp_lt_f32_e64 s[2:3], v38, v20
	s_and_b64 s[4:5], s[4:5], s[6:7]
	s_or_b64 s[2:3], s[2:3], s[4:5]
	v_cndmask_b32_e64 v16, v39, v40, s[2:3]
	s_and_saveexec_b64 s[6:7], s[0:1]
	s_cbranch_execnz .LBB63_28
; %bb.27:                               ;   in Loop: Header=BB63_10 Depth=1
	s_or_b64 exec, exec, s[6:7]
	s_add_i32 s25, s25, 1
	s_cmp_ge_i32 s25, s8
	s_cbranch_scc1 .LBB63_9
	s_branch .LBB63_29
.LBB63_28:                              ;   in Loop: Header=BB63_10 Depth=1
	s_waitcnt lgkmcnt(0)
	v_cndmask_b32_e64 v20, v18, v19, s[2:3]
	v_add_u32_e32 v18, s25, v30
	v_ashrrev_i32_e32 v19, 31, v18
	v_cmp_le_i32_e64 s[2:3], s9, v16
	v_cmp_gt_i32_e64 s[4:5], s10, v16
	v_lshlrev_b64 v[38:39], 2, v[18:19]
	s_and_b64 s[4:5], s[2:3], s[4:5]
	v_mov_b32_e32 v41, s17
	v_add_co_u32_e64 v40, s[2:3], s16, v38
	v_addc_co_u32_e64 v41, s[2:3], v41, v39, s[2:3]
	global_store_dword v[40:41], v20, off
	v_subrev_u32_e32 v40, s9, v16
	v_ashrrev_i32_e32 v41, 31, v40
	s_and_b64 s[2:3], s[18:19], s[4:5]
	v_lshlrev_b64 v[18:19], 3, v[18:19]
	v_cndmask_b32_e64 v41, 0, v41, s[2:3]
	v_cndmask_b32_e64 v40, v35, v40, s[2:3]
	v_mov_b32_e32 v42, s13
	v_add_co_u32_e64 v18, s[2:3], s12, v18
	v_addc_co_u32_e64 v19, s[2:3], v42, v19, s[2:3]
	global_store_dwordx2 v[18:19], v[40:41], off
	v_mov_b32_e32 v19, s15
	v_add_co_u32_e64 v18, s[2:3], s14, v38
	v_addc_co_u32_e64 v19, s[2:3], v19, v39, s[2:3]
	global_store_dword v[18:19], v37, off
	v_add_f32_e32 v18, v29, v20
	v_cndmask_b32_e32 v29, v29, v18, vcc
	s_or_b64 exec, exec, s[6:7]
	s_add_i32 s25, s25, 1
	s_cmp_ge_i32 s25, s8
	s_cbranch_scc1 .LBB63_9
.LBB63_29:                              ;   in Loop: Header=BB63_10 Depth=1
	v_ashrrev_i32_e32 v18, 31, v16
	s_waitcnt lgkmcnt(0)
	v_lshrrev_b32_e32 v19, 30, v18
	v_add_u32_e32 v20, v16, v19
	v_ashrrev_i32_e32 v19, 2, v20
	v_ashrrev_i32_e32 v20, 31, v20
	v_lshrrev_b32_e32 v20, 26, v20
	v_add_u32_e32 v20, v19, v20
	v_and_b32_e32 v20, 0xffffffc0, v20
	v_sub_u32_e32 v20, v19, v20
	v_cmp_eq_u32_e64 s[2:3], v21, v20
	s_and_saveexec_b64 s[4:5], s[2:3]
	s_cbranch_execz .LBB63_8
; %bb.30:                               ;   in Loop: Header=BB63_10 Depth=1
	v_add_u32_sdwa v18, v16, v18 dst_sel:DWORD dst_unused:UNUSED_PAD src0_sel:DWORD src1_sel:BYTE_3
	v_lshlrev_b32_e32 v19, 2, v19
	v_ashrrev_i32_e32 v18, 8, v18
	v_sub_u32_e32 v16, v16, v19
	v_lshl_add_u32 v16, v18, 2, v16
	v_cmp_ne_u32_e64 s[2:3], 7, v16
	v_cndmask_b32_e64 v15, v36, v15, s[2:3]
	v_cmp_ne_u32_e64 s[2:3], 6, v16
	v_cndmask_b32_e64 v14, v36, v14, s[2:3]
	;; [unrolled: 2-line block ×8, first 2 shown]
	s_branch .LBB63_8
.LBB63_31:
                                        ; implicit-def: $vgpr8_vgpr9_vgpr10_vgpr11_vgpr12_vgpr13_vgpr14_vgpr15
	s_andn2_b64 vcc, exec, s[6:7]
	s_cbranch_vccz .LBB63_5
	s_branch .LBB63_6
.LBB63_32:
	v_mov_b32_e32 v29, 0
.LBB63_33:
	v_cmp_eq_u32_e64 s[0:1], 0, v21
	s_and_b64 s[0:1], s[0:1], vcc
	s_and_b64 exec, exec, s[0:1]
	s_cbranch_execz .LBB63_42
; %bb.34:
	s_andn2_b64 vcc, exec, s[20:21]
	s_cbranch_vccnz .LBB63_42
; %bb.35:
	v_cmp_lt_f32_e32 vcc, 0, v29
	s_mov_b32 s2, 0
	v_cndmask_b32_e32 v0, 1.0, v29, vcc
	v_mul_lo_u32 v4, v17, s8
	s_cmp_eq_u32 s8, 1
	s_mov_b64 s[0:1], -1
	s_cbranch_scc1 .LBB63_39
; %bb.36:
	s_and_b32 s2, s8, 0x7ffffffe
	v_mov_b32_e32 v1, v0
	v_mov_b32_e32 v5, s17
	s_mov_b32 s3, s2
	v_mov_b32_e32 v2, v4
.LBB63_37:                              ; =>This Inner Loop Header: Depth=1
	v_ashrrev_i32_e32 v3, 31, v2
	v_lshlrev_b64 v[6:7], 2, v[2:3]
	v_add_co_u32_e32 v6, vcc, s16, v6
	v_addc_co_u32_e32 v7, vcc, v5, v7, vcc
	global_load_dwordx2 v[8:9], v[6:7], off
	s_add_i32 s3, s3, -2
	s_cmp_lg_u32 s3, 0
	v_add_u32_e32 v2, 2, v2
	s_waitcnt vmcnt(0)
	v_div_scale_f32 v3, s[0:1], v1, v1, v9
	v_div_scale_f32 v11, s[0:1], v0, v0, v8
	v_rcp_f32_e32 v12, v3
	v_rcp_f32_e32 v13, v11
	v_div_scale_f32 v10, vcc, v9, v1, v9
	v_fma_f32 v15, -v3, v12, 1.0
	v_fma_f32 v16, -v11, v13, 1.0
	v_fmac_f32_e32 v12, v15, v12
	v_div_scale_f32 v14, s[0:1], v8, v0, v8
	v_fmac_f32_e32 v13, v16, v13
	v_mul_f32_e32 v15, v10, v12
	v_mul_f32_e32 v16, v14, v13
	v_fma_f32 v17, -v3, v15, v10
	v_fma_f32 v18, -v11, v16, v14
	v_fmac_f32_e32 v15, v17, v12
	v_fmac_f32_e32 v16, v18, v13
	v_fma_f32 v3, -v3, v15, v10
	v_fma_f32 v10, -v11, v16, v14
	v_div_fmas_f32 v3, v3, v12, v15
	s_mov_b64 vcc, s[0:1]
	v_div_fixup_f32 v9, v3, v1, v9
	v_div_fmas_f32 v3, v10, v13, v16
	v_div_fixup_f32 v8, v3, v0, v8
	global_store_dwordx2 v[6:7], v[8:9], off
	s_cbranch_scc1 .LBB63_37
; %bb.38:
	s_cmp_lg_u32 s2, s8
	s_cselect_b64 s[0:1], -1, 0
.LBB63_39:
	s_and_b64 vcc, exec, s[0:1]
	s_cbranch_vccz .LBB63_42
; %bb.40:
	v_ashrrev_i32_e32 v1, 31, v4
	v_add_co_u32_e32 v2, vcc, s2, v4
	v_addc_co_u32_e32 v3, vcc, 0, v1, vcc
	v_lshlrev_b64 v[2:3], 2, v[2:3]
	v_mov_b32_e32 v1, s17
	v_add_co_u32_e32 v2, vcc, s16, v2
	s_sub_i32 s0, s8, s2
	v_addc_co_u32_e32 v3, vcc, v1, v3, vcc
.LBB63_41:                              ; =>This Inner Loop Header: Depth=1
	global_load_dword v1, v[2:3], off
	s_add_i32 s0, s0, -1
	s_cmp_lg_u32 s0, 0
	s_waitcnt vmcnt(0)
	v_div_scale_f32 v4, s[2:3], v0, v0, v1
	v_rcp_f32_e32 v5, v4
	v_div_scale_f32 v6, vcc, v1, v0, v1
	v_fma_f32 v7, -v4, v5, 1.0
	v_fmac_f32_e32 v5, v7, v5
	v_mul_f32_e32 v7, v6, v5
	v_fma_f32 v8, -v4, v7, v6
	v_fmac_f32_e32 v7, v8, v5
	v_fma_f32 v4, -v4, v7, v6
	v_div_fmas_f32 v4, v4, v5, v7
	v_div_fixup_f32 v1, v4, v0, v1
	global_store_dword v[2:3], v1, off
	v_add_co_u32_e32 v2, vcc, 4, v2
	v_addc_co_u32_e32 v3, vcc, 0, v3, vcc
	s_cbranch_scc1 .LBB63_41
.LBB63_42:
	s_endpgm
	.section	.rodata,"a",@progbits
	.p2align	6, 0x0
	.amdhsa_kernel _ZN4vllm3moe10topkGatingILi8ELi512ELi4ELi16ELi64ElfLNS0_11ScoringFuncE0EEEvPKT5_PKbPfiPT4_PiiiibPKf
		.amdhsa_group_segment_fixed_size 0
		.amdhsa_private_segment_fixed_size 0
		.amdhsa_kernarg_size 72
		.amdhsa_user_sgpr_count 6
		.amdhsa_user_sgpr_private_segment_buffer 1
		.amdhsa_user_sgpr_dispatch_ptr 0
		.amdhsa_user_sgpr_queue_ptr 0
		.amdhsa_user_sgpr_kernarg_segment_ptr 1
		.amdhsa_user_sgpr_dispatch_id 0
		.amdhsa_user_sgpr_flat_scratch_init 0
		.amdhsa_user_sgpr_kernarg_preload_length 0
		.amdhsa_user_sgpr_kernarg_preload_offset 0
		.amdhsa_user_sgpr_private_segment_size 0
		.amdhsa_uses_dynamic_stack 0
		.amdhsa_system_sgpr_private_segment_wavefront_offset 0
		.amdhsa_system_sgpr_workgroup_id_x 1
		.amdhsa_system_sgpr_workgroup_id_y 0
		.amdhsa_system_sgpr_workgroup_id_z 0
		.amdhsa_system_sgpr_workgroup_info 0
		.amdhsa_system_vgpr_workitem_id 1
		.amdhsa_next_free_vgpr 43
		.amdhsa_next_free_sgpr 26
		.amdhsa_accum_offset 44
		.amdhsa_reserve_vcc 1
		.amdhsa_reserve_flat_scratch 0
		.amdhsa_float_round_mode_32 0
		.amdhsa_float_round_mode_16_64 0
		.amdhsa_float_denorm_mode_32 3
		.amdhsa_float_denorm_mode_16_64 3
		.amdhsa_dx10_clamp 1
		.amdhsa_ieee_mode 1
		.amdhsa_fp16_overflow 0
		.amdhsa_tg_split 0
		.amdhsa_exception_fp_ieee_invalid_op 0
		.amdhsa_exception_fp_denorm_src 0
		.amdhsa_exception_fp_ieee_div_zero 0
		.amdhsa_exception_fp_ieee_overflow 0
		.amdhsa_exception_fp_ieee_underflow 0
		.amdhsa_exception_fp_ieee_inexact 0
		.amdhsa_exception_int_div_zero 0
	.end_amdhsa_kernel
	.section	.text._ZN4vllm3moe10topkGatingILi8ELi512ELi4ELi16ELi64ElfLNS0_11ScoringFuncE0EEEvPKT5_PKbPfiPT4_PiiiibPKf,"axG",@progbits,_ZN4vllm3moe10topkGatingILi8ELi512ELi4ELi16ELi64ElfLNS0_11ScoringFuncE0EEEvPKT5_PKbPfiPT4_PiiiibPKf,comdat
.Lfunc_end63:
	.size	_ZN4vllm3moe10topkGatingILi8ELi512ELi4ELi16ELi64ElfLNS0_11ScoringFuncE0EEEvPKT5_PKbPfiPT4_PiiiibPKf, .Lfunc_end63-_ZN4vllm3moe10topkGatingILi8ELi512ELi4ELi16ELi64ElfLNS0_11ScoringFuncE0EEEvPKT5_PKbPfiPT4_PiiiibPKf
                                        ; -- End function
	.section	.AMDGPU.csdata,"",@progbits
; Kernel info:
; codeLenInByte = 3556
; NumSgprs: 30
; NumVgprs: 43
; NumAgprs: 0
; TotalNumVgprs: 43
; ScratchSize: 0
; MemoryBound: 0
; FloatMode: 240
; IeeeMode: 1
; LDSByteSize: 0 bytes/workgroup (compile time only)
; SGPRBlocks: 3
; VGPRBlocks: 5
; NumSGPRsForWavesPerEU: 30
; NumVGPRsForWavesPerEU: 43
; AccumOffset: 44
; Occupancy: 8
; WaveLimiterHint : 1
; COMPUTE_PGM_RSRC2:SCRATCH_EN: 0
; COMPUTE_PGM_RSRC2:USER_SGPR: 6
; COMPUTE_PGM_RSRC2:TRAP_HANDLER: 0
; COMPUTE_PGM_RSRC2:TGID_X_EN: 1
; COMPUTE_PGM_RSRC2:TGID_Y_EN: 0
; COMPUTE_PGM_RSRC2:TGID_Z_EN: 0
; COMPUTE_PGM_RSRC2:TIDIG_COMP_CNT: 1
; COMPUTE_PGM_RSRC3_GFX90A:ACCUM_OFFSET: 10
; COMPUTE_PGM_RSRC3_GFX90A:TG_SPLIT: 0
	.section	.text._ZN4vllm3moe10topkGatingILi16ELi512ELi4ELi16ELi32ElfLNS0_11ScoringFuncE0EEEvPKT5_PKbPfiPT4_PiiiibPKf,"axG",@progbits,_ZN4vllm3moe10topkGatingILi16ELi512ELi4ELi16ELi32ElfLNS0_11ScoringFuncE0EEEvPKT5_PKbPfiPT4_PiiiibPKf,comdat
	.protected	_ZN4vllm3moe10topkGatingILi16ELi512ELi4ELi16ELi32ElfLNS0_11ScoringFuncE0EEEvPKT5_PKbPfiPT4_PiiiibPKf ; -- Begin function _ZN4vllm3moe10topkGatingILi16ELi512ELi4ELi16ELi32ElfLNS0_11ScoringFuncE0EEEvPKT5_PKbPfiPT4_PiiiibPKf
	.globl	_ZN4vllm3moe10topkGatingILi16ELi512ELi4ELi16ELi32ElfLNS0_11ScoringFuncE0EEEvPKT5_PKbPfiPT4_PiiiibPKf
	.p2align	8
	.type	_ZN4vllm3moe10topkGatingILi16ELi512ELi4ELi16ELi32ElfLNS0_11ScoringFuncE0EEEvPKT5_PKbPfiPT4_PiiiibPKf,@function
_ZN4vllm3moe10topkGatingILi16ELi512ELi4ELi16ELi32ElfLNS0_11ScoringFuncE0EEEvPKT5_PKbPfiPT4_PiiiibPKf: ; @_ZN4vllm3moe10topkGatingILi16ELi512ELi4ELi16ELi32ElfLNS0_11ScoringFuncE0EEEvPKT5_PKbPfiPT4_PiiiibPKf
; %bb.0:
	s_load_dword s24, s[4:5], 0x18
	v_and_b32_e32 v1, 0x3ff, v0
	s_lshl_b32 s0, s6, 2
	v_lshrrev_b32_e32 v2, 5, v1
	v_bfe_u32 v0, v0, 10, 10
	v_add3_u32 v33, s0, v0, v2
	s_waitcnt lgkmcnt(0)
	v_cmp_gt_i32_e32 vcc, s24, v33
	s_and_saveexec_b64 s[0:1], vcc
	s_cbranch_execz .LBB64_38
; %bb.1:
	s_load_dwordx4 s[0:3], s[4:5], 0x0
	s_load_dwordx2 s[16:17], s[4:5], 0x10
	s_mov_b64 s[6:7], -1
	s_mov_b64 s[18:19], -1
	s_waitcnt lgkmcnt(0)
	s_cmp_eq_u64 s[2:3], 0
	s_cbranch_scc1 .LBB64_3
; %bb.2:
	v_ashrrev_i32_e32 v0, 31, v33
	v_mov_b32_e32 v3, s3
	v_add_co_u32_e32 v2, vcc, s2, v33
	v_addc_co_u32_e32 v3, vcc, v3, v0, vcc
	global_load_ubyte v0, v[2:3], off
	s_waitcnt vmcnt(0)
	v_and_b32_e32 v0, 1, v0
	v_cmp_eq_u32_e32 vcc, 1, v0
	s_xor_b64 s[2:3], vcc, -1
	s_orn2_b64 s[18:19], s[2:3], exec
.LBB64_3:
	v_lshlrev_b32_e32 v2, 9, v33
	v_ashrrev_i32_e32 v3, 31, v2
	v_lshlrev_b64 v[2:3], 2, v[2:3]
	v_mov_b32_e32 v0, s1
	v_add_co_u32_e32 v2, vcc, s0, v2
	v_and_b32_e32 v37, 31, v1
	v_addc_co_u32_e32 v0, vcc, v0, v3, vcc
	v_lshlrev_b32_e32 v1, 4, v37
	v_add_co_u32_e32 v12, vcc, v2, v1
	v_addc_co_u32_e32 v13, vcc, 0, v0, vcc
	global_load_dwordx4 v[14:17], v[12:13], off
	global_load_dwordx4 v[8:11], v[12:13], off offset:512
	global_load_dwordx4 v[4:7], v[12:13], off offset:1024
	;; [unrolled: 1-line block ×3, first 2 shown]
	v_mbcnt_lo_u32_b32 v12, -1, 0
	v_mbcnt_hi_u32_b32 v12, -1, v12
	v_and_b32_e32 v13, 0x60, v12
	v_xor_b32_e32 v18, 16, v12
	v_add_u32_e32 v13, 32, v13
	v_cmp_lt_i32_e32 vcc, v18, v13
	v_cndmask_b32_e32 v18, v12, v18, vcc
	v_lshlrev_b32_e32 v38, 2, v18
	v_xor_b32_e32 v19, 8, v12
	v_cmp_lt_i32_e32 vcc, v19, v13
	v_cndmask_b32_e32 v19, v12, v19, vcc
	v_lshlrev_b32_e32 v39, 2, v19
	v_xor_b32_e32 v22, 4, v12
	;; [unrolled: 4-line block ×3, first 2 shown]
	s_mov_b32 s2, 0x3fb8aa3b
	s_mov_b32 s0, 0xc2ce8ed0
	;; [unrolled: 1-line block ×3, first 2 shown]
	v_mov_b32_e32 v20, 0x7f800000
	v_lshlrev_b32_e32 v43, 2, v37
	s_waitcnt vmcnt(3)
	v_max_f32_e32 v18, v15, v15
	v_max_f32_e32 v21, v14, v14
	;; [unrolled: 1-line block ×3, first 2 shown]
	v_max3_f32 v18, v18, v16, v17
	s_waitcnt vmcnt(2)
	v_max3_f32 v18, v18, v8, v9
	v_max3_f32 v18, v18, v10, v11
	s_waitcnt vmcnt(1)
	v_max3_f32 v18, v18, v4, v5
	;; [unrolled: 3-line block ×3, first 2 shown]
	v_max3_f32 v18, v18, v2, v3
	ds_bpermute_b32 v21, v38, v18
	s_waitcnt lgkmcnt(0)
	v_max_f32_e32 v19, v21, v21
	v_max_f32_e32 v18, v18, v19
	ds_bpermute_b32 v19, v39, v18
	v_xor_b32_e32 v21, 2, v12
	v_cmp_lt_i32_e32 vcc, v21, v13
	v_cndmask_b32_e32 v21, v12, v21, vcc
	v_lshlrev_b32_e32 v41, 2, v21
	s_waitcnt lgkmcnt(0)
	v_max_f32_e32 v19, v19, v19
	v_max_f32_e32 v18, v18, v19
	ds_bpermute_b32 v19, v40, v18
	v_cmp_lt_i32_e32 vcc, v22, v13
	v_cndmask_b32_e32 v12, v12, v22, vcc
	v_lshlrev_b32_e32 v42, 2, v12
	v_mov_b32_e32 v12, v17
	s_waitcnt lgkmcnt(0)
	v_max_f32_e32 v19, v19, v19
	v_max_f32_e32 v21, v18, v19
	ds_bpermute_b32 v23, v41, v21
	v_mov_b32_e32 v18, v9
	v_mov_b32_e32 v19, v10
	;; [unrolled: 1-line block ×4, first 2 shown]
	s_waitcnt lgkmcnt(0)
	v_max_f32_e32 v9, v23, v23
	v_max_f32_e32 v10, v21, v9
	ds_bpermute_b32 v21, v42, v10
	v_mov_b32_e32 v9, v4
	s_waitcnt lgkmcnt(0)
	v_max_f32_e32 v4, v21, v21
	v_max_f32_e32 v4, v10, v4
	v_sub_f32_e32 v14, v14, v4
	v_sub_f32_e32 v15, v15, v4
	v_mul_f32_e32 v17, 0x3fb8aa3b, v14
	v_sub_f32_e32 v16, v16, v4
	v_pk_add_f32 v[10:11], v[18:19], v[4:5] op_sel_hi:[1,0] neg_lo:[0,1] neg_hi:[0,1]
	v_mul_f32_e32 v18, 0x3fb8aa3b, v15
	v_fma_f32 v23, v14, s2, -v17
	v_rndne_f32_e32 v24, v17
	v_mul_f32_e32 v19, 0x3fb8aa3b, v16
	v_fma_f32 v25, v15, s2, -v18
	v_rndne_f32_e32 v26, v18
	v_fmac_f32_e32 v23, 0x32a5705f, v14
	v_sub_f32_e32 v17, v17, v24
	v_mul_f32_e32 v21, 0x3fb8aa3b, v11
	v_fma_f32 v27, v16, s2, -v19
	v_rndne_f32_e32 v28, v19
	v_fmac_f32_e32 v25, 0x32a5705f, v15
	v_sub_f32_e32 v18, v18, v26
	v_add_f32_e32 v17, v17, v23
	v_fma_f32 v29, v11, s2, -v21
	v_rndne_f32_e32 v30, v21
	v_cvt_i32_f32_e32 v24, v24
	v_fmac_f32_e32 v27, 0x32a5705f, v16
	v_sub_f32_e32 v19, v19, v28
	v_add_f32_e32 v18, v18, v25
	v_exp_f32_e32 v17, v17
	v_cvt_i32_f32_e32 v26, v26
	v_fmac_f32_e32 v29, 0x32a5705f, v11
	v_sub_f32_e32 v21, v21, v30
	v_add_f32_e32 v19, v19, v27
	v_exp_f32_e32 v18, v18
	v_cvt_i32_f32_e32 v28, v28
	v_add_f32_e32 v21, v21, v29
	v_exp_f32_e32 v19, v19
	v_cvt_i32_f32_e32 v30, v30
	v_exp_f32_e32 v21, v21
	v_mul_f32_e32 v22, 0x3fb8aa3b, v10
	v_ldexp_f32 v17, v17, v24
	v_cmp_ngt_f32_e32 vcc, s0, v14
	v_fma_f32 v31, v10, s2, -v22
	v_rndne_f32_e32 v32, v22
	v_ldexp_f32 v18, v18, v26
	v_cndmask_b32_e32 v17, 0, v17, vcc
	v_cmp_ngt_f32_e32 vcc, s0, v15
	v_fmac_f32_e32 v31, 0x32a5705f, v10
	v_sub_f32_e32 v22, v22, v32
	v_ldexp_f32 v19, v19, v28
	v_cndmask_b32_e32 v18, 0, v18, vcc
	v_cmp_ngt_f32_e32 vcc, s0, v16
	v_add_f32_e32 v22, v22, v31
	v_ldexp_f32 v21, v21, v30
	v_cndmask_b32_e32 v19, 0, v19, vcc
	v_cmp_ngt_f32_e32 vcc, s0, v11
	v_cvt_i32_f32_e32 v32, v32
	v_exp_f32_e32 v22, v22
	v_cndmask_b32_e32 v21, 0, v21, vcc
	v_cmp_nlt_f32_e32 vcc, s1, v14
	v_cndmask_b32_e32 v14, v20, v17, vcc
	v_cmp_nlt_f32_e32 vcc, s1, v15
	;; [unrolled: 2-line block ×3, first 2 shown]
	v_sub_f32_e32 v5, v5, v4
	v_cndmask_b32_e32 v16, v20, v19, vcc
	v_cmp_nlt_f32_e32 vcc, s1, v11
	v_mul_f32_e32 v19, 0x3fb8aa3b, v5
	v_cndmask_b32_e32 v11, v20, v21, vcc
	v_ldexp_f32 v18, v22, v32
	v_fma_f32 v21, v5, s2, -v19
	v_rndne_f32_e32 v22, v19
	v_fmac_f32_e32 v21, 0x32a5705f, v5
	v_sub_f32_e32 v19, v19, v22
	v_add_f32_e32 v19, v19, v21
	v_exp_f32_e32 v19, v19
	v_cvt_i32_f32_e32 v21, v22
	v_cmp_ngt_f32_e32 vcc, s0, v10
	v_cndmask_b32_e32 v18, 0, v18, vcc
	v_cmp_nlt_f32_e32 vcc, s1, v10
	v_sub_f32_e32 v6, v6, v4
	v_cndmask_b32_e32 v10, v20, v18, vcc
	v_ldexp_f32 v18, v19, v21
	v_mul_f32_e32 v19, 0x3fb8aa3b, v6
	v_fma_f32 v21, v6, s2, -v19
	v_rndne_f32_e32 v22, v19
	v_fmac_f32_e32 v21, 0x32a5705f, v6
	v_sub_f32_e32 v19, v19, v22
	v_add_f32_e32 v19, v19, v21
	v_exp_f32_e32 v19, v19
	v_cvt_i32_f32_e32 v21, v22
	v_cmp_ngt_f32_e32 vcc, s0, v5
	v_sub_f32_e32 v7, v7, v4
	v_cndmask_b32_e32 v18, 0, v18, vcc
	v_cmp_nlt_f32_e32 vcc, s1, v5
	v_ldexp_f32 v5, v19, v21
	v_mul_f32_e32 v19, 0x3fb8aa3b, v7
	v_fma_f32 v21, v7, s2, -v19
	v_rndne_f32_e32 v22, v19
	v_fmac_f32_e32 v21, 0x32a5705f, v7
	v_sub_f32_e32 v19, v19, v22
	v_add_f32_e32 v19, v19, v21
	v_exp_f32_e32 v19, v19
	v_cvt_i32_f32_e32 v21, v22
	v_cndmask_b32_e32 v18, v20, v18, vcc
	v_cmp_ngt_f32_e32 vcc, s0, v6
	v_cndmask_b32_e32 v5, 0, v5, vcc
	v_cmp_nlt_f32_e32 vcc, s1, v6
	v_cndmask_b32_e32 v22, v20, v5, vcc
	v_ldexp_f32 v5, v19, v21
	v_pk_add_f32 v[0:1], v[0:1], v[4:5] op_sel_hi:[1,0] neg_lo:[0,1] neg_hi:[0,1]
	v_mul_f32_e32 v6, 0x3fb8aa3b, v1
	v_fma_f32 v19, v1, s2, -v6
	v_rndne_f32_e32 v21, v6
	v_fmac_f32_e32 v19, 0x32a5705f, v1
	v_sub_f32_e32 v6, v6, v21
	v_add_f32_e32 v6, v6, v19
	v_exp_f32_e32 v6, v6
	v_cvt_i32_f32_e32 v19, v21
	v_cmp_ngt_f32_e32 vcc, s0, v7
	v_cndmask_b32_e32 v5, 0, v5, vcc
	v_cmp_nlt_f32_e32 vcc, s1, v7
	v_cndmask_b32_e32 v21, v20, v5, vcc
	v_ldexp_f32 v5, v6, v19
	v_mul_f32_e32 v6, 0x3fb8aa3b, v0
	v_fma_f32 v7, v0, s2, -v6
	v_rndne_f32_e32 v19, v6
	v_fmac_f32_e32 v7, 0x32a5705f, v0
	v_sub_f32_e32 v6, v6, v19
	v_add_f32_e32 v6, v6, v7
	v_exp_f32_e32 v6, v6
	v_cvt_i32_f32_e32 v7, v19
	v_cmp_ngt_f32_e32 vcc, s0, v1
	v_cndmask_b32_e32 v5, 0, v5, vcc
	v_cmp_nlt_f32_e32 vcc, s1, v1
	v_cndmask_b32_e32 v1, v20, v5, vcc
	v_ldexp_f32 v5, v6, v7
	v_pk_add_f32 v[2:3], v[2:3], v[4:5] op_sel_hi:[1,0] neg_lo:[0,1] neg_hi:[0,1]
	v_mul_f32_e32 v6, 0x3fb8aa3b, v3
	v_fma_f32 v7, v3, s2, -v6
	v_rndne_f32_e32 v19, v6
	v_fmac_f32_e32 v7, 0x32a5705f, v3
	v_sub_f32_e32 v6, v6, v19
	v_add_f32_e32 v6, v6, v7
	v_exp_f32_e32 v6, v6
	v_cvt_i32_f32_e32 v7, v19
	v_cmp_ngt_f32_e32 vcc, s0, v0
	v_cndmask_b32_e32 v5, 0, v5, vcc
	v_cmp_nlt_f32_e32 vcc, s1, v0
	v_cndmask_b32_e32 v0, v20, v5, vcc
	v_ldexp_f32 v5, v6, v7
	v_mul_f32_e32 v6, 0x3fb8aa3b, v2
	v_fma_f32 v7, v2, s2, -v6
	v_rndne_f32_e32 v19, v6
	v_fmac_f32_e32 v7, 0x32a5705f, v2
	v_sub_f32_e32 v6, v6, v19
	v_add_f32_e32 v6, v6, v7
	v_exp_f32_e32 v6, v6
	v_cvt_i32_f32_e32 v7, v19
	;; [unrolled: 27-line block ×3, first 2 shown]
	v_cmp_ngt_f32_e32 vcc, s0, v7
	v_cndmask_b32_e32 v5, 0, v5, vcc
	v_cmp_nlt_f32_e32 vcc, s1, v7
	v_cndmask_b32_e32 v7, v20, v5, vcc
	v_ldexp_f32 v5, v12, v13
	v_cmp_ngt_f32_e32 vcc, s0, v6
	v_cndmask_b32_e32 v5, 0, v5, vcc
	v_cmp_nlt_f32_e32 vcc, s1, v6
	v_cndmask_b32_e32 v6, v20, v5, vcc
	v_pk_add_f32 v[4:5], v[8:9], v[4:5] op_sel_hi:[1,0] neg_lo:[0,1] neg_hi:[0,1]
	v_mul_f32_e32 v8, 0x3fb8aa3b, v5
	v_fma_f32 v9, v5, s2, -v8
	v_rndne_f32_e32 v13, v8
	v_fmac_f32_e32 v9, 0x32a5705f, v5
	v_sub_f32_e32 v8, v8, v13
	v_add_f32_e32 v8, v8, v9
	v_exp_f32_e32 v8, v8
	v_cvt_i32_f32_e32 v9, v13
	v_add_f32_e32 v17, v14, v15
	v_add_f32_e32 v17, v17, v16
	;; [unrolled: 1-line block ×3, first 2 shown]
	v_ldexp_f32 v8, v8, v9
	v_mul_f32_e32 v9, 0x3fb8aa3b, v4
	v_fma_f32 v13, v4, s2, -v9
	v_rndne_f32_e32 v17, v9
	v_fmac_f32_e32 v13, 0x32a5705f, v4
	v_sub_f32_e32 v9, v9, v17
	v_add_f32_e32 v9, v9, v13
	v_exp_f32_e32 v9, v9
	v_cvt_i32_f32_e32 v13, v17
	v_cmp_ngt_f32_e32 vcc, s0, v5
	v_cndmask_b32_e32 v8, 0, v8, vcc
	v_cmp_nlt_f32_e32 vcc, s1, v5
	v_add_f32_e32 v12, v12, v7
	v_cndmask_b32_e32 v5, v20, v8, vcc
	v_ldexp_f32 v8, v9, v13
	v_cmp_ngt_f32_e32 vcc, s0, v4
	v_add_f32_e32 v12, v12, v10
	v_cndmask_b32_e32 v8, 0, v8, vcc
	v_cmp_nlt_f32_e32 vcc, s1, v4
	v_add_f32_e32 v12, v12, v11
	v_cndmask_b32_e32 v4, v20, v8, vcc
	v_add_f32_e32 v8, v12, v4
	v_add_f32_e32 v8, v8, v5
	;; [unrolled: 1-line block ×9, first 2 shown]
	ds_bpermute_b32 v9, v38, v8
	s_movk_i32 s2, 0x1f8
	s_waitcnt lgkmcnt(0)
	v_add_f32_e32 v8, v8, v9
	ds_bpermute_b32 v9, v39, v8
	s_waitcnt lgkmcnt(0)
	v_add_f32_e32 v8, v8, v9
	ds_bpermute_b32 v9, v40, v8
	s_waitcnt lgkmcnt(0)
	v_add_f32_e32 v8, v8, v9
	ds_bpermute_b32 v9, v41, v8
	s_waitcnt lgkmcnt(0)
	v_add_f32_e32 v8, v8, v9
	ds_bpermute_b32 v9, v42, v8
	s_waitcnt lgkmcnt(0)
	v_add_f32_e32 v8, v8, v9
	v_div_scale_f32 v9, s[0:1], v8, v8, 1.0
	v_rcp_f32_e32 v12, v9
	s_load_dwordx2 s[0:1], s[4:5], 0x40
	v_fma_f32 v13, -v9, v12, 1.0
	v_fmac_f32_e32 v12, v13, v12
	v_div_scale_f32 v13, vcc, 1.0, v8, 1.0
	v_mul_f32_e32 v17, v13, v12
	v_fma_f32 v19, -v9, v17, v13
	v_fmac_f32_e32 v17, v19, v12
	v_fma_f32 v9, -v9, v17, v13
	v_div_fmas_f32 v9, v9, v12, v17
	v_div_fixup_f32 v8, v9, v8, 1.0
	v_mul_f32_e32 v9, v8, v14
	v_mul_f32_e32 v19, v8, v15
	v_cmp_class_f32_e64 vcc, v9, s2
	v_mul_f32_e32 v20, v8, v16
	v_pk_mul_f32 v[14:15], v[8:9], v[0:1] op_sel_hi:[0,1]
	v_cndmask_b32_e32 v0, 0, v9, vcc
	v_cmp_class_f32_e64 vcc, v19, s2
	v_pk_mul_f32 v[6:7], v[8:9], v[6:7] op_sel_hi:[0,1]
	v_cndmask_b32_e32 v1, 0, v19, vcc
	v_cmp_class_f32_e64 vcc, v20, s2
	v_mov_b32_e32 v19, 0x207
	v_pk_mul_f32 v[16:17], v[8:9], v[2:3] op_sel_hi:[0,1]
	v_cndmask_b32_e32 v2, 0, v20, vcc
	v_cmp_class_f32_e32 vcc, v7, v19
	v_pk_mul_f32 v[10:11], v[8:9], v[10:11] op_sel_hi:[0,1]
	v_pk_mul_f32 v[12:13], v[8:9], v[4:5] op_sel_hi:[0,1]
	v_cndmask_b32_e64 v4, v7, 0, vcc
	v_cmp_class_f32_e32 vcc, v6, v19
	v_cndmask_b32_e64 v3, v6, 0, vcc
	v_cmp_class_f32_e32 vcc, v11, v19
	;; [unrolled: 2-line block ×4, first 2 shown]
	v_mul_f32_e32 v18, v8, v18
	v_mul_f32_e32 v22, v8, v22
	;; [unrolled: 1-line block ×3, first 2 shown]
	v_cndmask_b32_e64 v8, v13, 0, vcc
	v_cmp_class_f32_e32 vcc, v12, v19
	v_cndmask_b32_e64 v7, v12, 0, vcc
	v_cmp_class_f32_e64 vcc, v18, s2
	v_cndmask_b32_e32 v9, 0, v18, vcc
	v_cmp_class_f32_e64 vcc, v22, s2
	v_cndmask_b32_e32 v10, 0, v22, vcc
	;; [unrolled: 2-line block ×3, first 2 shown]
	v_cmp_class_f32_e32 vcc, v15, v19
	v_cndmask_b32_e64 v13, v15, 0, vcc
	v_cmp_class_f32_e32 vcc, v14, v19
	v_cndmask_b32_e64 v12, v14, 0, vcc
	;; [unrolled: 2-line block ×3, first 2 shown]
	v_cmp_class_f32_e32 vcc, v16, v19
	s_waitcnt lgkmcnt(0)
	s_cmp_eq_u64 s[0:1], 0
	v_cndmask_b32_e64 v14, v16, 0, vcc
	s_cbranch_scc1 .LBB64_27
; %bb.4:
	v_lshlrev_b32_e32 v32, 2, v43
	global_load_dwordx4 v[16:19], v32, s[0:1]
	global_load_dwordx4 v[20:23], v32, s[0:1] offset:512
	global_load_dwordx4 v[24:27], v32, s[0:1] offset:1024
	;; [unrolled: 1-line block ×3, first 2 shown]
	s_waitcnt vmcnt(3)
	v_pk_add_f32 v[16:17], v[16:17], v[0:1]
	v_pk_add_f32 v[18:19], v[18:19], v[2:3]
	s_waitcnt vmcnt(2)
	v_pk_add_f32 v[20:21], v[20:21], v[4:5]
	v_pk_add_f32 v[22:23], v[22:23], v[6:7]
	;; [unrolled: 3-line block ×4, first 2 shown]
	s_cbranch_execnz .LBB64_6
.LBB64_5:
	v_pk_mov_b32 v[30:31], v[14:15], v[14:15] op_sel:[0,1]
	v_pk_mov_b32 v[28:29], v[12:13], v[12:13] op_sel:[0,1]
	;; [unrolled: 1-line block ×8, first 2 shown]
.LBB64_6:
	s_load_dwordx4 s[8:11], s[4:5], 0x30
	s_mov_b32 s25, 0
	v_cmp_eq_u32_e64 s[0:1], 0, v37
	s_waitcnt lgkmcnt(0)
	s_bitcmp1_b32 s11, 0
	s_cselect_b64 vcc, -1, 0
	s_cmp_gt_i32 s8, 0
	s_cselect_b64 s[20:21], -1, 0
	s_cmp_lt_i32 s8, 1
	s_cbranch_scc1 .LBB64_28
; %bb.7:
	s_load_dwordx4 s[12:15], s[4:5], 0x20
	v_mul_lo_u32 v45, v33, s8
	v_mov_b32_e32 v44, 0
	v_mov_b32_e32 v46, 0x83
	;; [unrolled: 1-line block ×4, first 2 shown]
	v_bfrev_b32_e32 v49, 4.0
	v_bfrev_b32_e32 v50, -4.0
	v_mov_b32_e32 v51, 0x180
	v_mov_b32_e32 v52, 0x181
	v_mov_b32_e32 v53, 0x182
	v_mov_b32_e32 v54, 0x183
	v_mov_b32_e32 v55, 0x200
	v_mov_b32_e32 v56, 0xc61c4000
	v_mov_b32_e32 v57, v33
	s_branch .LBB64_10
.LBB64_8:                               ;   in Loop: Header=BB64_10 Depth=1
	s_or_b64 exec, exec, s[4:5]
.LBB64_9:                               ;   in Loop: Header=BB64_10 Depth=1
	s_cmp_eq_u32 s8, s25
	v_add_u32_e32 v57, s24, v57
	s_cbranch_scc1 .LBB64_29
.LBB64_10:                              ; =>This Inner Loop Header: Depth=1
	v_cmp_gt_f32_e64 s[2:3], v17, v16
	v_cndmask_b32_e64 v32, v16, v17, s[2:3]
	v_cndmask_b32_e64 v34, v0, v1, s[2:3]
	s_waitcnt lgkmcnt(0)
	v_cndmask_b32_e64 v35, 0, 1, s[2:3]
	v_cmp_gt_f32_e64 s[2:3], v18, v32
	v_cndmask_b32_e64 v32, v32, v18, s[2:3]
	v_cndmask_b32_e64 v34, v34, v2, s[2:3]
	;; [unrolled: 1-line block ×3, first 2 shown]
	v_cmp_gt_f32_e64 s[2:3], v19, v32
	v_cndmask_b32_e64 v32, v32, v19, s[2:3]
	v_cndmask_b32_e64 v34, v34, v3, s[2:3]
	;; [unrolled: 1-line block ×3, first 2 shown]
	v_cmp_gt_f32_e64 s[2:3], v20, v32
	v_cndmask_b32_e64 v32, v32, v20, s[2:3]
	v_mov_b32_e32 v36, 0x80
	v_cndmask_b32_e64 v34, v34, v4, s[2:3]
	v_cndmask_b32_e64 v35, v35, v36, s[2:3]
	v_cmp_gt_f32_e64 s[2:3], v21, v32
	v_cndmask_b32_e64 v32, v32, v21, s[2:3]
	v_mov_b32_e32 v36, 0x81
	v_cndmask_b32_e64 v34, v34, v5, s[2:3]
	v_cndmask_b32_e64 v35, v35, v36, s[2:3]
	;; [unrolled: 5-line block ×3, first 2 shown]
	v_cmp_gt_f32_e64 s[2:3], v23, v32
	v_cndmask_b32_e64 v32, v32, v23, s[2:3]
	v_cndmask_b32_e64 v34, v34, v7, s[2:3]
	v_cndmask_b32_e64 v35, v35, v46, s[2:3]
	v_cmp_gt_f32_e64 s[2:3], v24, v32
	v_cndmask_b32_e64 v32, v32, v24, s[2:3]
	v_cndmask_b32_e64 v34, v34, v8, s[2:3]
	v_cndmask_b32_e64 v35, v35, v47, s[2:3]
	;; [unrolled: 4-line block ×8, first 2 shown]
	v_cmp_gt_f32_e64 s[2:3], v31, v32
	v_cndmask_b32_e64 v35, v35, v54, s[2:3]
	v_cndmask_b32_e64 v32, v32, v31, s[2:3]
	v_or_b32_e32 v35, v43, v35
	ds_bpermute_b32 v36, v38, v32
	ds_bpermute_b32 v58, v38, v35
	v_cndmask_b32_e64 v34, v34, v15, s[2:3]
	ds_bpermute_b32 v60, v38, v34
	s_waitcnt lgkmcnt(0)
	v_cmp_eq_f32_e64 s[4:5], v32, v36
	v_cmp_lt_i32_e64 s[6:7], v58, v35
	v_cmp_lt_f32_e64 s[2:3], v32, v36
	s_and_b64 s[4:5], s[4:5], s[6:7]
	s_or_b64 s[2:3], s[2:3], s[4:5]
	v_cndmask_b32_e64 v59, v35, v58, s[2:3]
	v_cndmask_b32_e64 v58, v32, v36, s[2:3]
	;; [unrolled: 1-line block ×3, first 2 shown]
	ds_bpermute_b32 v61, v39, v58
	ds_bpermute_b32 v36, v39, v32
	;; [unrolled: 1-line block ×3, first 2 shown]
                                        ; implicit-def: $vgpr34_vgpr35
	s_waitcnt lgkmcnt(2)
	v_cmp_lt_f32_e64 s[6:7], v58, v61
	v_cmp_nlt_f32_e64 s[2:3], v58, v61
	s_and_saveexec_b64 s[22:23], s[2:3]
	s_cbranch_execz .LBB64_12
; %bb.11:                               ;   in Loop: Header=BB64_10 Depth=1
	v_cmp_eq_f32_e64 s[2:3], v58, v61
	s_waitcnt lgkmcnt(0)
	v_cmp_lt_i32_e64 s[4:5], v60, v59
	s_and_b64 s[2:3], s[2:3], s[4:5]
	s_andn2_b64 s[4:5], s[6:7], exec
	s_and_b64 s[2:3], s[2:3], exec
	s_or_b64 s[6:7], s[4:5], s[2:3]
	v_pk_mov_b32 v[34:35], v[32:33], v[32:33] op_sel:[0,1]
.LBB64_12:                              ;   in Loop: Header=BB64_10 Depth=1
	s_or_b64 exec, exec, s[22:23]
	s_and_saveexec_b64 s[2:3], s[6:7]
	s_cbranch_execz .LBB64_14
; %bb.13:                               ;   in Loop: Header=BB64_10 Depth=1
	v_mov_b32_e32 v58, v61
	s_waitcnt lgkmcnt(1)
	v_mov_b32_e32 v32, v36
	s_waitcnt lgkmcnt(0)
	v_mov_b32_e32 v59, v60
	v_pk_mov_b32 v[34:35], v[36:37], v[36:37] op_sel:[0,1]
.LBB64_14:                              ;   in Loop: Header=BB64_10 Depth=1
	s_or_b64 exec, exec, s[2:3]
	s_waitcnt lgkmcnt(0)
	ds_bpermute_b32 v60, v40, v58
	ds_bpermute_b32 v36, v40, v32
	;; [unrolled: 1-line block ×3, first 2 shown]
	s_waitcnt lgkmcnt(2)
	v_cmp_lt_f32_e64 s[6:7], v58, v60
	v_cmp_nlt_f32_e64 s[2:3], v58, v60
	s_and_saveexec_b64 s[22:23], s[2:3]
	s_cbranch_execz .LBB64_16
; %bb.15:                               ;   in Loop: Header=BB64_10 Depth=1
	v_cmp_eq_f32_e64 s[2:3], v58, v60
	s_waitcnt lgkmcnt(0)
	v_cmp_lt_i32_e64 s[4:5], v35, v59
	s_and_b64 s[2:3], s[2:3], s[4:5]
	s_andn2_b64 s[4:5], s[6:7], exec
	s_and_b64 s[2:3], s[2:3], exec
	s_or_b64 s[6:7], s[4:5], s[2:3]
.LBB64_16:                              ;   in Loop: Header=BB64_10 Depth=1
	s_or_b64 exec, exec, s[22:23]
	s_and_saveexec_b64 s[2:3], s[6:7]
	s_cbranch_execz .LBB64_18
; %bb.17:                               ;   in Loop: Header=BB64_10 Depth=1
	v_mov_b32_e32 v58, v60
	s_waitcnt lgkmcnt(1)
	v_mov_b32_e32 v32, v36
	s_waitcnt lgkmcnt(0)
	v_mov_b32_e32 v59, v35
	v_pk_mov_b32 v[34:35], v[36:37], v[36:37] op_sel:[0,1]
.LBB64_18:                              ;   in Loop: Header=BB64_10 Depth=1
	s_or_b64 exec, exec, s[2:3]
	ds_bpermute_b32 v60, v41, v58
	s_waitcnt lgkmcnt(2)
	ds_bpermute_b32 v36, v41, v32
	s_waitcnt lgkmcnt(2)
	;; [unrolled: 2-line block ×3, first 2 shown]
	v_cmp_lt_f32_e64 s[6:7], v58, v60
	v_cmp_nlt_f32_e64 s[2:3], v58, v60
	s_and_saveexec_b64 s[22:23], s[2:3]
	s_cbranch_execz .LBB64_20
; %bb.19:                               ;   in Loop: Header=BB64_10 Depth=1
	v_cmp_eq_f32_e64 s[2:3], v58, v60
	s_waitcnt lgkmcnt(0)
	v_cmp_lt_i32_e64 s[4:5], v35, v59
	s_and_b64 s[2:3], s[2:3], s[4:5]
	s_andn2_b64 s[4:5], s[6:7], exec
	s_and_b64 s[2:3], s[2:3], exec
	s_or_b64 s[6:7], s[4:5], s[2:3]
.LBB64_20:                              ;   in Loop: Header=BB64_10 Depth=1
	s_or_b64 exec, exec, s[22:23]
	s_and_saveexec_b64 s[2:3], s[6:7]
	s_cbranch_execz .LBB64_22
; %bb.21:                               ;   in Loop: Header=BB64_10 Depth=1
	v_mov_b32_e32 v58, v60
	s_waitcnt lgkmcnt(1)
	v_mov_b32_e32 v32, v36
	s_waitcnt lgkmcnt(0)
	v_mov_b32_e32 v59, v35
	v_pk_mov_b32 v[34:35], v[36:37], v[36:37] op_sel:[0,1]
.LBB64_22:                              ;   in Loop: Header=BB64_10 Depth=1
	s_or_b64 exec, exec, s[2:3]
	s_waitcnt lgkmcnt(1)
	ds_bpermute_b32 v36, v42, v58
	ds_bpermute_b32 v60, v42, v59
	s_waitcnt lgkmcnt(2)
	ds_bpermute_b32 v35, v42, v32
	s_waitcnt lgkmcnt(2)
	v_cmp_eq_f32_e64 s[4:5], v58, v36
	s_waitcnt lgkmcnt(1)
	v_cmp_lt_i32_e64 s[6:7], v60, v59
	v_cmp_lt_f32_e64 s[2:3], v58, v36
	s_and_b64 s[4:5], s[4:5], s[6:7]
	s_or_b64 s[2:3], s[2:3], s[4:5]
	v_cndmask_b32_e64 v32, v59, v60, s[2:3]
	s_and_saveexec_b64 s[6:7], s[0:1]
	s_cbranch_execnz .LBB64_24
; %bb.23:                               ;   in Loop: Header=BB64_10 Depth=1
	s_or_b64 exec, exec, s[6:7]
	s_add_i32 s25, s25, 1
	s_cmp_ge_i32 s25, s8
	s_cbranch_scc1 .LBB64_9
	s_branch .LBB64_25
.LBB64_24:                              ;   in Loop: Header=BB64_10 Depth=1
	s_waitcnt lgkmcnt(0)
	v_cndmask_b32_e64 v36, v34, v35, s[2:3]
	v_add_u32_e32 v34, s25, v45
	v_ashrrev_i32_e32 v35, 31, v34
	v_cmp_le_i32_e64 s[2:3], s9, v32
	v_cmp_gt_i32_e64 s[4:5], s10, v32
	v_lshlrev_b64 v[58:59], 2, v[34:35]
	s_and_b64 s[4:5], s[2:3], s[4:5]
	v_mov_b32_e32 v61, s17
	v_add_co_u32_e64 v60, s[2:3], s16, v58
	v_addc_co_u32_e64 v61, s[2:3], v61, v59, s[2:3]
	global_store_dword v[60:61], v36, off
	v_subrev_u32_e32 v60, s9, v32
	v_ashrrev_i32_e32 v61, 31, v60
	s_and_b64 s[2:3], s[18:19], s[4:5]
	v_lshlrev_b64 v[34:35], 3, v[34:35]
	v_cndmask_b32_e64 v61, 0, v61, s[2:3]
	v_cndmask_b32_e64 v60, v55, v60, s[2:3]
	v_mov_b32_e32 v62, s13
	v_add_co_u32_e64 v34, s[2:3], s12, v34
	v_addc_co_u32_e64 v35, s[2:3], v62, v35, s[2:3]
	global_store_dwordx2 v[34:35], v[60:61], off
	v_mov_b32_e32 v35, s15
	v_add_co_u32_e64 v34, s[2:3], s14, v58
	v_addc_co_u32_e64 v35, s[2:3], v35, v59, s[2:3]
	global_store_dword v[34:35], v57, off
	v_add_f32_e32 v34, v44, v36
	v_cndmask_b32_e32 v44, v44, v34, vcc
	s_or_b64 exec, exec, s[6:7]
	s_add_i32 s25, s25, 1
	s_cmp_ge_i32 s25, s8
	s_cbranch_scc1 .LBB64_9
.LBB64_25:                              ;   in Loop: Header=BB64_10 Depth=1
	s_waitcnt lgkmcnt(0)
	v_ashrrev_i32_e32 v35, 31, v32
	v_lshrrev_b32_e32 v34, 30, v35
	v_add_u32_e32 v36, v32, v34
	v_ashrrev_i32_e32 v34, 2, v36
	v_ashrrev_i32_e32 v36, 31, v36
	v_lshrrev_b32_e32 v36, 27, v36
	v_add_u32_e32 v36, v34, v36
	v_and_b32_e32 v36, 0xffffffe0, v36
	v_sub_u32_e32 v36, v34, v36
	v_cmp_eq_u32_e64 s[2:3], v37, v36
	s_and_saveexec_b64 s[4:5], s[2:3]
	s_cbranch_execz .LBB64_8
; %bb.26:                               ;   in Loop: Header=BB64_10 Depth=1
	v_lshrrev_b32_e32 v35, 25, v35
	v_add_u32_e32 v35, v32, v35
	v_lshlrev_b32_e32 v34, 2, v34
	v_ashrrev_i32_e32 v35, 7, v35
	v_sub_u32_e32 v32, v32, v34
	v_lshl_add_u32 v32, v35, 2, v32
	v_cmp_ne_u32_e64 s[2:3], 15, v32
	v_cndmask_b32_e64 v31, v56, v31, s[2:3]
	v_cmp_ne_u32_e64 s[2:3], 14, v32
	v_cndmask_b32_e64 v30, v56, v30, s[2:3]
	;; [unrolled: 2-line block ×16, first 2 shown]
	s_branch .LBB64_8
.LBB64_27:
                                        ; implicit-def: $vgpr16_vgpr17_vgpr18_vgpr19_vgpr20_vgpr21_vgpr22_vgpr23_vgpr24_vgpr25_vgpr26_vgpr27_vgpr28_vgpr29_vgpr30_vgpr31
	s_andn2_b64 vcc, exec, s[6:7]
	s_cbranch_vccz .LBB64_5
	s_branch .LBB64_6
.LBB64_28:
	v_mov_b32_e32 v44, 0
.LBB64_29:
	v_cmp_eq_u32_e64 s[0:1], 0, v37
	s_and_b64 s[0:1], s[0:1], vcc
	s_and_b64 exec, exec, s[0:1]
	s_cbranch_execz .LBB64_38
; %bb.30:
	s_andn2_b64 vcc, exec, s[20:21]
	s_cbranch_vccnz .LBB64_38
; %bb.31:
	v_cmp_lt_f32_e32 vcc, 0, v44
	s_mov_b32 s2, 0
	v_cndmask_b32_e32 v0, 1.0, v44, vcc
	v_mul_lo_u32 v4, v33, s8
	s_cmp_eq_u32 s8, 1
	s_mov_b64 s[0:1], -1
	s_cbranch_scc1 .LBB64_35
; %bb.32:
	s_and_b32 s2, s8, 0x7ffffffe
	v_mov_b32_e32 v1, v0
	v_mov_b32_e32 v5, s17
	s_mov_b32 s3, s2
	v_mov_b32_e32 v2, v4
.LBB64_33:                              ; =>This Inner Loop Header: Depth=1
	v_ashrrev_i32_e32 v3, 31, v2
	v_lshlrev_b64 v[6:7], 2, v[2:3]
	v_add_co_u32_e32 v6, vcc, s16, v6
	v_addc_co_u32_e32 v7, vcc, v5, v7, vcc
	global_load_dwordx2 v[8:9], v[6:7], off
	s_add_i32 s3, s3, -2
	s_cmp_lg_u32 s3, 0
	v_add_u32_e32 v2, 2, v2
	s_waitcnt vmcnt(0)
	v_div_scale_f32 v3, s[0:1], v1, v1, v9
	v_div_scale_f32 v11, s[0:1], v0, v0, v8
	v_rcp_f32_e32 v12, v3
	v_rcp_f32_e32 v13, v11
	v_div_scale_f32 v10, vcc, v9, v1, v9
	v_fma_f32 v15, -v3, v12, 1.0
	v_fma_f32 v16, -v11, v13, 1.0
	v_fmac_f32_e32 v12, v15, v12
	v_div_scale_f32 v14, s[0:1], v8, v0, v8
	v_fmac_f32_e32 v13, v16, v13
	v_mul_f32_e32 v15, v10, v12
	v_mul_f32_e32 v16, v14, v13
	v_fma_f32 v17, -v3, v15, v10
	v_fma_f32 v18, -v11, v16, v14
	v_fmac_f32_e32 v15, v17, v12
	v_fmac_f32_e32 v16, v18, v13
	v_fma_f32 v3, -v3, v15, v10
	v_fma_f32 v10, -v11, v16, v14
	v_div_fmas_f32 v3, v3, v12, v15
	s_mov_b64 vcc, s[0:1]
	v_div_fixup_f32 v9, v3, v1, v9
	v_div_fmas_f32 v3, v10, v13, v16
	v_div_fixup_f32 v8, v3, v0, v8
	global_store_dwordx2 v[6:7], v[8:9], off
	s_cbranch_scc1 .LBB64_33
; %bb.34:
	s_cmp_lg_u32 s2, s8
	s_cselect_b64 s[0:1], -1, 0
.LBB64_35:
	s_and_b64 vcc, exec, s[0:1]
	s_cbranch_vccz .LBB64_38
; %bb.36:
	v_ashrrev_i32_e32 v1, 31, v4
	v_add_co_u32_e32 v2, vcc, s2, v4
	v_addc_co_u32_e32 v3, vcc, 0, v1, vcc
	v_lshlrev_b64 v[2:3], 2, v[2:3]
	v_mov_b32_e32 v1, s17
	v_add_co_u32_e32 v2, vcc, s16, v2
	s_sub_i32 s0, s8, s2
	v_addc_co_u32_e32 v3, vcc, v1, v3, vcc
.LBB64_37:                              ; =>This Inner Loop Header: Depth=1
	global_load_dword v1, v[2:3], off
	s_add_i32 s0, s0, -1
	s_cmp_lg_u32 s0, 0
	s_waitcnt vmcnt(0)
	v_div_scale_f32 v4, s[2:3], v0, v0, v1
	v_rcp_f32_e32 v5, v4
	v_div_scale_f32 v6, vcc, v1, v0, v1
	v_fma_f32 v7, -v4, v5, 1.0
	v_fmac_f32_e32 v5, v7, v5
	v_mul_f32_e32 v7, v6, v5
	v_fma_f32 v8, -v4, v7, v6
	v_fmac_f32_e32 v7, v8, v5
	v_fma_f32 v4, -v4, v7, v6
	v_div_fmas_f32 v4, v4, v5, v7
	v_div_fixup_f32 v1, v4, v0, v1
	global_store_dword v[2:3], v1, off
	v_add_co_u32_e32 v2, vcc, 4, v2
	v_addc_co_u32_e32 v3, vcc, 0, v3, vcc
	s_cbranch_scc1 .LBB64_37
.LBB64_38:
	s_endpgm
	.section	.rodata,"a",@progbits
	.p2align	6, 0x0
	.amdhsa_kernel _ZN4vllm3moe10topkGatingILi16ELi512ELi4ELi16ELi32ElfLNS0_11ScoringFuncE0EEEvPKT5_PKbPfiPT4_PiiiibPKf
		.amdhsa_group_segment_fixed_size 0
		.amdhsa_private_segment_fixed_size 0
		.amdhsa_kernarg_size 72
		.amdhsa_user_sgpr_count 6
		.amdhsa_user_sgpr_private_segment_buffer 1
		.amdhsa_user_sgpr_dispatch_ptr 0
		.amdhsa_user_sgpr_queue_ptr 0
		.amdhsa_user_sgpr_kernarg_segment_ptr 1
		.amdhsa_user_sgpr_dispatch_id 0
		.amdhsa_user_sgpr_flat_scratch_init 0
		.amdhsa_user_sgpr_kernarg_preload_length 0
		.amdhsa_user_sgpr_kernarg_preload_offset 0
		.amdhsa_user_sgpr_private_segment_size 0
		.amdhsa_uses_dynamic_stack 0
		.amdhsa_system_sgpr_private_segment_wavefront_offset 0
		.amdhsa_system_sgpr_workgroup_id_x 1
		.amdhsa_system_sgpr_workgroup_id_y 0
		.amdhsa_system_sgpr_workgroup_id_z 0
		.amdhsa_system_sgpr_workgroup_info 0
		.amdhsa_system_vgpr_workitem_id 1
		.amdhsa_next_free_vgpr 63
		.amdhsa_next_free_sgpr 26
		.amdhsa_accum_offset 64
		.amdhsa_reserve_vcc 1
		.amdhsa_reserve_flat_scratch 0
		.amdhsa_float_round_mode_32 0
		.amdhsa_float_round_mode_16_64 0
		.amdhsa_float_denorm_mode_32 3
		.amdhsa_float_denorm_mode_16_64 3
		.amdhsa_dx10_clamp 1
		.amdhsa_ieee_mode 1
		.amdhsa_fp16_overflow 0
		.amdhsa_tg_split 0
		.amdhsa_exception_fp_ieee_invalid_op 0
		.amdhsa_exception_fp_denorm_src 0
		.amdhsa_exception_fp_ieee_div_zero 0
		.amdhsa_exception_fp_ieee_overflow 0
		.amdhsa_exception_fp_ieee_underflow 0
		.amdhsa_exception_fp_ieee_inexact 0
		.amdhsa_exception_int_div_zero 0
	.end_amdhsa_kernel
	.section	.text._ZN4vllm3moe10topkGatingILi16ELi512ELi4ELi16ELi32ElfLNS0_11ScoringFuncE0EEEvPKT5_PKbPfiPT4_PiiiibPKf,"axG",@progbits,_ZN4vllm3moe10topkGatingILi16ELi512ELi4ELi16ELi32ElfLNS0_11ScoringFuncE0EEEvPKT5_PKbPfiPT4_PiiiibPKf,comdat
.Lfunc_end64:
	.size	_ZN4vllm3moe10topkGatingILi16ELi512ELi4ELi16ELi32ElfLNS0_11ScoringFuncE0EEEvPKT5_PKbPfiPT4_PiiiibPKf, .Lfunc_end64-_ZN4vllm3moe10topkGatingILi16ELi512ELi4ELi16ELi32ElfLNS0_11ScoringFuncE0EEEvPKT5_PKbPfiPT4_PiiiibPKf
                                        ; -- End function
	.section	.AMDGPU.csdata,"",@progbits
; Kernel info:
; codeLenInByte = 4704
; NumSgprs: 30
; NumVgprs: 63
; NumAgprs: 0
; TotalNumVgprs: 63
; ScratchSize: 0
; MemoryBound: 0
; FloatMode: 240
; IeeeMode: 1
; LDSByteSize: 0 bytes/workgroup (compile time only)
; SGPRBlocks: 3
; VGPRBlocks: 7
; NumSGPRsForWavesPerEU: 30
; NumVGPRsForWavesPerEU: 63
; AccumOffset: 64
; Occupancy: 8
; WaveLimiterHint : 1
; COMPUTE_PGM_RSRC2:SCRATCH_EN: 0
; COMPUTE_PGM_RSRC2:USER_SGPR: 6
; COMPUTE_PGM_RSRC2:TRAP_HANDLER: 0
; COMPUTE_PGM_RSRC2:TGID_X_EN: 1
; COMPUTE_PGM_RSRC2:TGID_Y_EN: 0
; COMPUTE_PGM_RSRC2:TGID_Z_EN: 0
; COMPUTE_PGM_RSRC2:TIDIG_COMP_CNT: 1
; COMPUTE_PGM_RSRC3_GFX90A:ACCUM_OFFSET: 15
; COMPUTE_PGM_RSRC3_GFX90A:TG_SPLIT: 0
	.section	.text._ZN4vllm3moe7moeTopKILi256ElEEvPKfPKbPfPT0_PiiiiibS3_,"axG",@progbits,_ZN4vllm3moe7moeTopKILi256ElEEvPKfPKbPfPT0_PiiiiibS3_,comdat
	.protected	_ZN4vllm3moe7moeTopKILi256ElEEvPKfPKbPfPT0_PiiiiibS3_ ; -- Begin function _ZN4vllm3moe7moeTopKILi256ElEEvPKfPKbPfPT0_PiiiiibS3_
	.globl	_ZN4vllm3moe7moeTopKILi256ElEEvPKfPKbPfPT0_PiiiiibS3_
	.p2align	8
	.type	_ZN4vllm3moe7moeTopKILi256ElEEvPKfPKbPfPT0_PiiiiibS3_,@function
_ZN4vllm3moe7moeTopKILi256ElEEvPKfPKbPfPT0_PiiiiibS3_: ; @_ZN4vllm3moe7moeTopKILi256ElEEvPKfPKbPfPT0_PiiiiibS3_
; %bb.0:
	s_add_u32 flat_scratch_lo, s6, s9
	s_load_dwordx8 s[24:31], s[4:5], 0x0
	s_load_dwordx2 s[34:35], s[4:5], 0x20
	s_addc_u32 flat_scratch_hi, s7, 0
	s_add_u32 s0, s0, s9
	s_addc_u32 s1, s1, 0
	s_mov_b64 s[12:13], -1
	s_mov_b64 s[42:43], 0
	s_waitcnt lgkmcnt(0)
	s_cmp_eq_u64 s[26:27], 0
	s_mov_b64 s[40:41], -1
	s_mov_b32 s32, 0
	s_cbranch_scc1 .LBB65_2
; %bb.1:
	s_ashr_i32 s7, s8, 31
	s_add_u32 s6, s26, s8
	s_addc_u32 s7, s27, s7
	v_mov_b32_e32 v1, 0
	global_load_ubyte v1, v1, s[6:7]
	s_waitcnt vmcnt(0)
	v_readfirstlane_b32 s6, v1
	s_bitcmp1_b32 s6, 0
	s_cselect_b64 s[6:7], -1, 0
	s_xor_b64 s[40:41], s[6:7], -1
.LBB65_2:
	s_load_dword s6, s[4:5], 0x38
	s_load_dwordx4 s[36:39], s[4:5], 0x28
	s_mov_b32 s9, 0
	s_waitcnt lgkmcnt(0)
	s_bitcmp1_b32 s6, 0
	s_cselect_b64 s[6:7], -1, 0
	s_cmp_gt_i32 s37, 0
	s_cselect_b64 s[26:27], -1, 0
	s_and_b64 vcc, exec, s[26:27]
	s_cbranch_vccnz .LBB65_4
; %bb.3:
	s_mov_b64 s[42:43], -1
	s_mov_b64 s[10:11], 0
	v_mov_b32_e32 v1, s9
	s_cbranch_execz .LBB65_5
	s_branch .LBB65_30
.LBB65_4:
                                        ; implicit-def: $sgpr9
	s_mov_b64 s[10:11], 0
	s_andn2_b64 vcc, exec, s[12:13]
	v_mov_b32_e32 v1, s9
	s_cbranch_vccnz .LBB65_30
.LBB65_5:
	v_mbcnt_lo_u32_b32 v1, -1, 0
	v_mbcnt_hi_u32_b32 v1, -1, v1
	v_bfrev_b32_e32 v2, 0.5
	s_load_dwordx2 s[44:45], s[4:5], 0x40
	s_load_dword s9, s[4:5], 0x48
	v_lshl_or_b32 v4, v1, 2, v2
	v_lshrrev_b32_e32 v2, 3, v0
	v_and_b32_e32 v5, 24, v2
	v_and_b32_e32 v2, 3, v1
	v_cmp_ne_u32_e32 vcc, 3, v2
	v_addc_co_u32_e32 v3, vcc, 0, v1, vcc
	s_waitcnt lgkmcnt(0)
	s_cmp_lg_u64 s[44:45], 0
	s_mul_i32 s48, s8, s37
	v_cmp_gt_u32_e32 vcc, 2, v2
	v_lshlrev_b32_e32 v6, 3, v2
	v_cndmask_b32_e64 v2, 0, 1, vcc
	s_cselect_b64 s[16:17], -1, 0
	s_ashr_i32 s49, s48, 31
	v_lshlrev_b32_e32 v2, 1, v2
	s_lshl_b64 s[18:19], s[48:49], 3
	v_cmp_eq_u32_e64 s[10:11], 0, v1
	v_add_lshl_u32 v8, v2, v1, 2
	s_add_u32 s50, s30, s18
	v_cndmask_b32_e64 v1, 0, 1, s[16:17]
	s_mul_i32 s33, s8, s36
	v_cmp_gt_i32_e64 s[20:21], s36, v0
	s_mov_b64 s[46:47], 0
	s_mov_b32 s58, 0
	v_cmp_gt_u32_e64 s[12:13], 64, v0
	v_lshlrev_b32_e32 v7, 2, v3
	v_cmp_eq_u32_e64 s[14:15], 0, v0
	s_addc_u32 s51, s31, s19
	v_mov_b32_e32 v3, 0
	v_cmp_ne_u32_e64 s[16:17], 1, v1
	v_mov_b32_e32 v1, 0
                                        ; implicit-def: $sgpr42_sgpr43
	s_branch .LBB65_7
.LBB65_6:                               ;   in Loop: Header=BB65_7 Depth=1
	s_or_b64 exec, exec, s[52:53]
	s_xor_b64 s[18:19], s[18:19], -1
	s_and_b64 s[22:23], exec, s[22:23]
	s_or_b64 s[46:47], s[22:23], s[46:47]
	s_andn2_b64 s[22:23], s[42:43], exec
	s_and_b64 s[18:19], s[18:19], exec
	s_or_b64 s[42:43], s[22:23], s[18:19]
	s_andn2_b64 exec, exec, s[46:47]
	s_cbranch_execz .LBB65_29
.LBB65_7:                               ; =>This Loop Header: Depth=1
                                        ;     Child Loop BB65_10 Depth 2
                                        ;       Child Loop BB65_14 Depth 3
	v_mov_b32_e32 v9, -1.0
	v_mov_b32_e32 v10, v3
	s_and_saveexec_b64 s[52:53], s[20:21]
	s_cbranch_execz .LBB65_19
; %bb.8:                                ;   in Loop: Header=BB65_7 Depth=1
	s_cmp_lg_u32 s58, 0
	s_cselect_b64 s[18:19], -1, 0
	v_cndmask_b32_e64 v2, 0, 1, s[18:19]
	s_mov_b64 s[54:55], 0
	v_mov_b32_e32 v9, -1.0
	v_mov_b32_e32 v10, 0
	v_cmp_ne_u32_e64 s[18:19], 1, v2
	v_mov_b32_e32 v2, v0
	s_branch .LBB65_10
.LBB65_9:                               ;   in Loop: Header=BB65_10 Depth=2
	s_or_b64 exec, exec, s[56:57]
	v_add_u32_e32 v2, 0x100, v2
	v_cmp_le_i32_e32 vcc, s36, v2
	s_or_b64 s[54:55], vcc, s[54:55]
	s_andn2_b64 exec, exec, s[54:55]
	s_cbranch_execz .LBB65_18
.LBB65_10:                              ;   Parent Loop BB65_7 Depth=1
                                        ; =>  This Loop Header: Depth=2
                                        ;       Child Loop BB65_14 Depth 3
	v_add_u32_e32 v12, s33, v2
	v_ashrrev_i32_e32 v13, 31, v12
	v_lshlrev_b64 v[12:13], 2, v[12:13]
	v_mov_b32_e32 v11, s25
	v_add_co_u32_e32 v12, vcc, s24, v12
	v_addc_co_u32_e32 v13, vcc, v11, v13, vcc
	global_load_dword v11, v[12:13], off
	s_and_b64 vcc, exec, s[16:17]
	s_cbranch_vccnz .LBB65_12
; %bb.11:                               ;   in Loop: Header=BB65_10 Depth=2
	v_lshlrev_b64 v[12:13], 2, v[2:3]
	v_mov_b32_e32 v14, s45
	v_add_co_u32_e32 v12, vcc, s44, v12
	v_addc_co_u32_e32 v13, vcc, v14, v13, vcc
	global_load_dword v12, v[12:13], off
	s_waitcnt vmcnt(0)
	v_add_f32_e32 v11, v11, v12
.LBB65_12:                              ;   in Loop: Header=BB65_10 Depth=2
	s_and_b64 vcc, exec, s[18:19]
	s_cbranch_vccnz .LBB65_16
; %bb.13:                               ;   in Loop: Header=BB65_10 Depth=2
	s_mov_b32 s49, 0
	s_mov_b64 s[22:23], s[50:51]
	v_mov_b32_e32 v12, v2
.LBB65_14:                              ;   Parent Loop BB65_7 Depth=1
                                        ;     Parent Loop BB65_10 Depth=2
                                        ; =>    This Inner Loop Header: Depth=3
	global_load_dword v13, v3, s[22:23]
	s_add_i32 s49, s49, 1
	s_add_u32 s22, s22, 8
	s_addc_u32 s23, s23, 0
	s_cmp_ge_u32 s49, s58
	s_waitcnt vmcnt(0)
	v_cmp_eq_u32_e32 vcc, v2, v13
	v_cndmask_b32_e32 v12, v12, v10, vcc
	v_cndmask_b32_e32 v11, v11, v9, vcc
	s_cbranch_scc0 .LBB65_14
; %bb.15:                               ;   in Loop: Header=BB65_10 Depth=2
	v_cmp_ngt_f32_e32 vcc, v9, v11
	s_and_saveexec_b64 s[56:57], vcc
	s_cbranch_execz .LBB65_9
	s_branch .LBB65_17
.LBB65_16:                              ;   in Loop: Header=BB65_10 Depth=2
	v_mov_b32_e32 v12, v2
	s_waitcnt vmcnt(0)
	v_cmp_ngt_f32_e32 vcc, v9, v11
	s_and_saveexec_b64 s[56:57], vcc
	s_cbranch_execz .LBB65_9
.LBB65_17:                              ;   in Loop: Header=BB65_10 Depth=2
	v_cmp_eq_f32_e32 vcc, v11, v9
	v_cmp_lt_i32_e64 s[22:23], v10, v12
	s_and_b64 vcc, vcc, s[22:23]
	v_cndmask_b32_e32 v9, v11, v9, vcc
	v_cndmask_b32_e32 v10, v12, v10, vcc
	s_branch .LBB65_9
.LBB65_18:                              ;   in Loop: Header=BB65_7 Depth=1
	s_or_b64 exec, exec, s[54:55]
.LBB65_19:                              ;   in Loop: Header=BB65_7 Depth=1
	s_or_b64 exec, exec, s[52:53]
	v_mov_b32_dpp v2, v10 quad_perm:[1,0,3,2] row_mask:0xf bank_mask:0xf
	v_mov_b32_dpp v11, v9 quad_perm:[1,0,3,2] row_mask:0xf bank_mask:0xf
	v_cmp_eq_f32_e32 vcc, v9, v11
	v_cmp_lt_i32_e64 s[18:19], v10, v2
	s_and_b64 vcc, vcc, s[18:19]
	v_cmp_gt_f32_e64 s[18:19], v9, v11
	v_cndmask_b32_e32 v12, v11, v9, vcc
	s_or_b64 vcc, s[18:19], vcc
	v_cndmask_b32_e64 v9, v12, v9, s[18:19]
	v_cndmask_b32_e32 v2, v2, v10, vcc
	s_nop 0
	v_mov_b32_dpp v11, v9 quad_perm:[2,3,0,1] row_mask:0xf bank_mask:0xf
	v_mov_b32_dpp v10, v2 quad_perm:[2,3,0,1] row_mask:0xf bank_mask:0xf
	v_cmp_eq_f32_e32 vcc, v9, v11
	v_cmp_lt_i32_e64 s[18:19], v2, v10
	s_and_b64 vcc, vcc, s[18:19]
	v_cmp_gt_f32_e64 s[18:19], v9, v11
	v_cndmask_b32_e32 v12, v11, v9, vcc
	s_or_b64 vcc, s[18:19], vcc
	v_cndmask_b32_e64 v9, v12, v9, s[18:19]
	v_cndmask_b32_e32 v2, v10, v2, vcc
	s_nop 0
	v_mov_b32_dpp v11, v9 row_ror:4 row_mask:0xf bank_mask:0xf
	v_mov_b32_dpp v10, v2 row_ror:4 row_mask:0xf bank_mask:0xf
	v_cmp_eq_f32_e32 vcc, v9, v11
	v_cmp_lt_i32_e64 s[18:19], v2, v10
	s_and_b64 vcc, vcc, s[18:19]
	v_cmp_gt_f32_e64 s[18:19], v9, v11
	v_cndmask_b32_e32 v12, v11, v9, vcc
	s_or_b64 vcc, s[18:19], vcc
	v_cndmask_b32_e64 v9, v12, v9, s[18:19]
	v_cndmask_b32_e32 v2, v10, v2, vcc
	s_nop 0
	v_mov_b32_dpp v11, v9 row_ror:8 row_mask:0xf bank_mask:0xf
	v_mov_b32_dpp v10, v2 row_ror:8 row_mask:0xf bank_mask:0xf
	v_cmp_eq_f32_e32 vcc, v9, v11
	v_cmp_lt_i32_e64 s[18:19], v2, v10
	s_and_b64 vcc, vcc, s[18:19]
	v_cmp_gt_f32_e64 s[18:19], v9, v11
	v_cndmask_b32_e32 v12, v11, v9, vcc
	s_or_b64 vcc, s[18:19], vcc
	v_cndmask_b32_e64 v9, v12, v9, s[18:19]
	v_cndmask_b32_e32 v2, v10, v2, vcc
	s_nop 0
	v_mov_b32_dpp v11, v9 row_bcast:15 row_mask:0xf bank_mask:0xf
	v_mov_b32_dpp v10, v2 row_bcast:15 row_mask:0xf bank_mask:0xf
	v_cmp_eq_f32_e32 vcc, v9, v11
	v_cmp_lt_i32_e64 s[18:19], v2, v10
	s_and_b64 vcc, vcc, s[18:19]
	v_cmp_gt_f32_e64 s[18:19], v9, v11
	v_cndmask_b32_e32 v12, v11, v9, vcc
	s_or_b64 vcc, s[18:19], vcc
	v_cndmask_b32_e64 v9, v12, v9, s[18:19]
	v_cndmask_b32_e32 v2, v10, v2, vcc
	s_nop 0
	v_mov_b32_dpp v11, v9 row_bcast:31 row_mask:0xf bank_mask:0xf
	v_mov_b32_dpp v10, v2 row_bcast:31 row_mask:0xf bank_mask:0xf
	v_cmp_eq_f32_e32 vcc, v9, v11
	v_cmp_lt_i32_e64 s[18:19], v2, v10
	s_and_b64 vcc, vcc, s[18:19]
	v_cmp_gt_f32_e64 s[18:19], v9, v11
	v_cndmask_b32_e32 v12, v11, v9, vcc
	s_or_b64 vcc, s[18:19], vcc
	v_cndmask_b32_e64 v9, v12, v9, s[18:19]
	v_cndmask_b32_e32 v2, v10, v2, vcc
	ds_bpermute_b32 v2, v4, v2
	ds_bpermute_b32 v9, v4, v9
	s_and_saveexec_b64 s[18:19], s[10:11]
	s_cbranch_execz .LBB65_21
; %bb.20:                               ;   in Loop: Header=BB65_7 Depth=1
	s_waitcnt lgkmcnt(0)
	ds_write2_b32 v5, v2, v9 offset1:1
.LBB65_21:                              ;   in Loop: Header=BB65_7 Depth=1
	s_or_b64 exec, exec, s[18:19]
	s_waitcnt lgkmcnt(0)
	s_barrier
	s_and_saveexec_b64 s[52:53], s[12:13]
	s_cbranch_execz .LBB65_23
; %bb.22:                               ;   in Loop: Header=BB65_7 Depth=1
	ds_read2_b32 v[10:11], v6 offset1:1
	s_waitcnt lgkmcnt(0)
	ds_bpermute_b32 v2, v7, v11
	ds_bpermute_b32 v9, v7, v10
	s_waitcnt lgkmcnt(1)
	v_cmp_eq_f32_e64 s[18:19], v11, v2
	s_waitcnt lgkmcnt(0)
	v_cmp_lt_i32_e64 s[22:23], v9, v10
	v_cmp_lt_f32_e32 vcc, v11, v2
	s_and_b64 s[18:19], s[18:19], s[22:23]
	s_or_b64 vcc, vcc, s[18:19]
	v_cndmask_b32_e32 v2, v11, v2, vcc
	v_cndmask_b32_e32 v9, v10, v9, vcc
	ds_bpermute_b32 v11, v8, v2
	ds_bpermute_b32 v10, v8, v9
	s_waitcnt lgkmcnt(1)
	v_cmp_eq_f32_e64 s[18:19], v2, v11
	s_waitcnt lgkmcnt(0)
	v_cmp_lt_i32_e64 s[22:23], v10, v9
	v_cmp_lt_f32_e32 vcc, v2, v11
	s_and_b64 s[18:19], s[18:19], s[22:23]
	s_or_b64 vcc, vcc, s[18:19]
	v_cndmask_b32_e32 v2, v9, v10, vcc
.LBB65_23:                              ;   in Loop: Header=BB65_7 Depth=1
	s_or_b64 exec, exec, s[52:53]
	s_mov_b64 s[22:23], -1
	s_mov_b64 s[54:55], -1
                                        ; implicit-def: $sgpr18_sgpr19
	s_and_saveexec_b64 s[52:53], s[14:15]
	s_cbranch_execz .LBB65_27
; %bb.24:                               ;   in Loop: Header=BB65_7 Depth=1
	v_add_u32_e32 v10, s33, v2
	v_ashrrev_i32_e32 v11, 31, v10
	v_lshlrev_b64 v[10:11], 2, v[10:11]
	v_mov_b32_e32 v9, s25
	v_add_co_u32_e32 v10, vcc, s24, v10
	v_addc_co_u32_e32 v11, vcc, v9, v11, vcc
	global_load_dword v9, v[10:11], off
	v_cmp_le_i32_e32 vcc, s38, v2
	v_cmp_gt_i32_e64 s[18:19], s39, v2
	s_add_i32 s54, s58, s48
	s_and_b64 s[56:57], vcc, s[18:19]
	s_ashr_i32 s55, s54, 31
	s_lshl_b64 s[18:19], s[54:55], 2
	s_and_b64 vcc, s[40:41], s[56:57]
	s_add_u32 s56, s28, s18
	v_subrev_u32_e32 v2, s38, v2
	v_mov_b32_e32 v10, s36
	s_addc_u32 s57, s29, s19
	s_lshl_b64 s[54:55], s[54:55], 3
	v_cndmask_b32_e32 v10, v10, v2, vcc
	s_add_u32 s54, s30, s54
	v_ashrrev_i32_e32 v11, 31, v10
	s_addc_u32 s55, s31, s55
	v_cmp_lt_i32_e32 vcc, -1, v10
	global_store_dwordx2 v3, v[10:11], s[54:55]
	s_waitcnt vmcnt(1)
	global_store_dword v3, v9, s[56:57]
	s_mov_b64 s[54:55], 0
	s_and_saveexec_b64 s[56:57], vcc
	s_cbranch_execz .LBB65_26
; %bb.25:                               ;   in Loop: Header=BB65_7 Depth=1
	s_mul_i32 s49, s58, s9
	s_add_i32 s49, s49, s8
	s_add_u32 s18, s34, s18
	s_addc_u32 s19, s35, s19
	v_mov_b32_e32 v2, s49
	global_store_dword v3, v2, s[18:19]
	v_add_f32_e32 v2, v1, v9
	s_mov_b64 s[54:55], exec
	v_cndmask_b32_e64 v1, v1, v2, s[6:7]
.LBB65_26:                              ;   in Loop: Header=BB65_7 Depth=1
	s_or_b64 exec, exec, s[56:57]
	s_mov_b64 s[18:19], -1
	s_orn2_b64 s[54:55], s[54:55], exec
.LBB65_27:                              ;   in Loop: Header=BB65_7 Depth=1
	s_or_b64 exec, exec, s[52:53]
	s_and_saveexec_b64 s[52:53], s[54:55]
	s_cbranch_execz .LBB65_6
; %bb.28:                               ;   in Loop: Header=BB65_7 Depth=1
	s_add_i32 s58, s58, 1
	s_cmp_eq_u32 s58, s37
	s_cselect_b64 s[22:23], -1, 0
	s_andn2_b64 s[18:19], s[18:19], exec
	s_orn2_b64 s[22:23], s[22:23], exec
	s_barrier
	s_branch .LBB65_6
.LBB65_29:
	s_or_b64 exec, exec, s[46:47]
	s_mov_b64 s[10:11], -1
.LBB65_30:
	s_and_saveexec_b64 s[12:13], s[42:43]
	s_cbranch_execnz .LBB65_33
; %bb.31:
	s_or_b64 exec, exec, s[12:13]
	s_and_saveexec_b64 s[6:7], s[10:11]
	s_cbranch_execnz .LBB65_43
.LBB65_32:
	s_endpgm
.LBB65_33:
	v_cmp_eq_u32_e32 vcc, 0, v0
	s_and_b64 s[6:7], vcc, s[6:7]
	s_and_saveexec_b64 s[14:15], s[6:7]
	s_cbranch_execz .LBB65_42
; %bb.34:
	s_andn2_b64 vcc, exec, s[26:27]
	s_cbranch_vccnz .LBB65_42
; %bb.35:
	v_cmp_lt_f32_e32 vcc, 0, v1
	s_mov_b32 s16, 0
	v_cndmask_b32_e32 v0, 1.0, v1, vcc
	s_mul_i32 s17, s8, s37
	s_cmp_eq_u32 s37, 1
	s_mov_b64 s[6:7], -1
	s_cbranch_scc1 .LBB65_39
; %bb.36:
	s_and_b32 s16, s37, 0x7ffffffe
	v_mov_b32_e32 v1, v0
	v_mov_b32_e32 v2, 0
	s_mov_b32 s18, s16
	s_mov_b32 s8, s17
.LBB65_37:                              ; =>This Inner Loop Header: Depth=1
	s_ashr_i32 s9, s8, 31
	s_lshl_b64 s[6:7], s[8:9], 2
	s_add_u32 s20, s28, s6
	s_addc_u32 s21, s29, s7
	global_load_dwordx2 v[4:5], v2, s[20:21]
	s_add_i32 s8, s8, 2
	s_add_i32 s18, s18, -2
	s_cmp_lg_u32 s18, 0
	s_waitcnt vmcnt(0)
	v_div_scale_f32 v3, s[6:7], v1, v1, v5
	v_div_scale_f32 v7, s[6:7], v0, v0, v4
	v_rcp_f32_e32 v8, v3
	v_rcp_f32_e32 v9, v7
	v_div_scale_f32 v6, vcc, v5, v1, v5
	v_fma_f32 v11, -v3, v8, 1.0
	v_fma_f32 v12, -v7, v9, 1.0
	v_fmac_f32_e32 v8, v11, v8
	v_div_scale_f32 v10, s[6:7], v4, v0, v4
	v_fmac_f32_e32 v9, v12, v9
	v_mul_f32_e32 v11, v6, v8
	v_mul_f32_e32 v12, v10, v9
	v_fma_f32 v13, -v3, v11, v6
	v_fma_f32 v14, -v7, v12, v10
	v_fmac_f32_e32 v11, v13, v8
	v_fmac_f32_e32 v12, v14, v9
	v_fma_f32 v3, -v3, v11, v6
	v_fma_f32 v6, -v7, v12, v10
	v_div_fmas_f32 v3, v3, v8, v11
	s_mov_b64 vcc, s[6:7]
	v_div_fixup_f32 v5, v3, v1, v5
	v_div_fmas_f32 v3, v6, v9, v12
	v_div_fixup_f32 v4, v3, v0, v4
	global_store_dwordx2 v2, v[4:5], s[20:21]
	s_cbranch_scc1 .LBB65_37
; %bb.38:
	s_cmp_lg_u32 s16, s37
	s_cselect_b64 s[6:7], -1, 0
.LBB65_39:
	s_and_b64 vcc, exec, s[6:7]
	s_cbranch_vccz .LBB65_42
; %bb.40:
	s_sub_i32 s8, s37, s16
	s_ashr_i32 s7, s17, 31
	s_add_u32 s6, s17, s16
	s_addc_u32 s7, s7, 0
	s_lshl_b64 s[6:7], s[6:7], 2
	s_add_u32 s6, s28, s6
	s_addc_u32 s7, s29, s7
	v_mov_b32_e32 v1, 0
.LBB65_41:                              ; =>This Inner Loop Header: Depth=1
	global_load_dword v2, v1, s[6:7]
	s_add_i32 s8, s8, -1
	s_waitcnt vmcnt(0)
	v_div_scale_f32 v3, s[16:17], v0, v0, v2
	v_rcp_f32_e32 v4, v3
	v_div_scale_f32 v5, vcc, v2, v0, v2
	v_fma_f32 v6, -v3, v4, 1.0
	v_fmac_f32_e32 v4, v6, v4
	v_mul_f32_e32 v6, v5, v4
	v_fma_f32 v7, -v3, v6, v5
	v_fmac_f32_e32 v6, v7, v4
	v_fma_f32 v3, -v3, v6, v5
	v_div_fmas_f32 v3, v3, v4, v6
	v_div_fixup_f32 v2, v3, v0, v2
	global_store_dword v1, v2, s[6:7]
	s_add_u32 s6, s6, 4
	s_addc_u32 s7, s7, 0
	s_cmp_lg_u32 s8, 0
	s_cbranch_scc1 .LBB65_41
.LBB65_42:
	s_or_b64 exec, exec, s[14:15]
	s_andn2_b64 s[10:11], s[10:11], exec
	s_or_b64 exec, exec, s[12:13]
	s_and_saveexec_b64 s[6:7], s[10:11]
	s_cbranch_execz .LBB65_32
.LBB65_43:
	s_add_u32 s8, s4, 0x48
	s_addc_u32 s9, s5, 0
	s_getpc_b64 s[4:5]
	s_add_u32 s4, s4, __PRETTY_FUNCTION__._ZN4vllm3moe7moeTopKILi256ElEEvPKfPKbPfPT0_PiiiiibS3_@rel32@lo+4
	s_addc_u32 s5, s5, __PRETTY_FUNCTION__._ZN4vllm3moe7moeTopKILi256ElEEvPKfPKbPfPT0_PiiiiibS3_@rel32@hi+12
	v_mov_b32_e32 v0, s4
	v_mov_b32_e32 v1, s5
	s_getpc_b64 s[6:7]
	s_add_u32 s6, s6, __assert_fail@rel32@lo+4
	s_addc_u32 s7, s7, __assert_fail@rel32@hi+12
	s_swappc_b64 s[30:31], s[6:7]
	; divergent unreachable
	s_endpgm
	.section	.rodata,"a",@progbits
	.p2align	6, 0x0
	.amdhsa_kernel _ZN4vllm3moe7moeTopKILi256ElEEvPKfPKbPfPT0_PiiiiibS3_
		.amdhsa_group_segment_fixed_size 32
		.amdhsa_private_segment_fixed_size 64
		.amdhsa_kernarg_size 328
		.amdhsa_user_sgpr_count 8
		.amdhsa_user_sgpr_private_segment_buffer 1
		.amdhsa_user_sgpr_dispatch_ptr 0
		.amdhsa_user_sgpr_queue_ptr 0
		.amdhsa_user_sgpr_kernarg_segment_ptr 1
		.amdhsa_user_sgpr_dispatch_id 0
		.amdhsa_user_sgpr_flat_scratch_init 1
		.amdhsa_user_sgpr_kernarg_preload_length 0
		.amdhsa_user_sgpr_kernarg_preload_offset 0
		.amdhsa_user_sgpr_private_segment_size 0
		.amdhsa_uses_dynamic_stack 0
		.amdhsa_system_sgpr_private_segment_wavefront_offset 1
		.amdhsa_system_sgpr_workgroup_id_x 1
		.amdhsa_system_sgpr_workgroup_id_y 0
		.amdhsa_system_sgpr_workgroup_id_z 0
		.amdhsa_system_sgpr_workgroup_info 0
		.amdhsa_system_vgpr_workitem_id 0
		.amdhsa_next_free_vgpr 41
		.amdhsa_next_free_sgpr 59
		.amdhsa_accum_offset 44
		.amdhsa_reserve_vcc 1
		.amdhsa_reserve_flat_scratch 1
		.amdhsa_float_round_mode_32 0
		.amdhsa_float_round_mode_16_64 0
		.amdhsa_float_denorm_mode_32 3
		.amdhsa_float_denorm_mode_16_64 3
		.amdhsa_dx10_clamp 1
		.amdhsa_ieee_mode 1
		.amdhsa_fp16_overflow 0
		.amdhsa_tg_split 0
		.amdhsa_exception_fp_ieee_invalid_op 0
		.amdhsa_exception_fp_denorm_src 0
		.amdhsa_exception_fp_ieee_div_zero 0
		.amdhsa_exception_fp_ieee_overflow 0
		.amdhsa_exception_fp_ieee_underflow 0
		.amdhsa_exception_fp_ieee_inexact 0
		.amdhsa_exception_int_div_zero 0
	.end_amdhsa_kernel
	.section	.text._ZN4vllm3moe7moeTopKILi256ElEEvPKfPKbPfPT0_PiiiiibS3_,"axG",@progbits,_ZN4vllm3moe7moeTopKILi256ElEEvPKfPKbPfPT0_PiiiiibS3_,comdat
.Lfunc_end65:
	.size	_ZN4vllm3moe7moeTopKILi256ElEEvPKfPKbPfPT0_PiiiiibS3_, .Lfunc_end65-_ZN4vllm3moe7moeTopKILi256ElEEvPKfPKbPfPT0_PiiiiibS3_
                                        ; -- End function
	.section	.AMDGPU.csdata,"",@progbits
; Kernel info:
; codeLenInByte = 2104
; NumSgprs: 65
; NumVgprs: 41
; NumAgprs: 0
; TotalNumVgprs: 41
; ScratchSize: 64
; MemoryBound: 0
; FloatMode: 240
; IeeeMode: 1
; LDSByteSize: 32 bytes/workgroup (compile time only)
; SGPRBlocks: 8
; VGPRBlocks: 5
; NumSGPRsForWavesPerEU: 65
; NumVGPRsForWavesPerEU: 41
; AccumOffset: 44
; Occupancy: 8
; WaveLimiterHint : 1
; COMPUTE_PGM_RSRC2:SCRATCH_EN: 1
; COMPUTE_PGM_RSRC2:USER_SGPR: 8
; COMPUTE_PGM_RSRC2:TRAP_HANDLER: 0
; COMPUTE_PGM_RSRC2:TGID_X_EN: 1
; COMPUTE_PGM_RSRC2:TGID_Y_EN: 0
; COMPUTE_PGM_RSRC2:TGID_Z_EN: 0
; COMPUTE_PGM_RSRC2:TIDIG_COMP_CNT: 0
; COMPUTE_PGM_RSRC3_GFX90A:ACCUM_OFFSET: 10
; COMPUTE_PGM_RSRC3_GFX90A:TG_SPLIT: 0
	.section	.text._ZN4vllm3moe10topkGatingILi1ELi1ELi4ELi2ELi64Ei6__halfLNS0_11ScoringFuncE0EEEvPKT5_PKbPfiPT4_PiiiibPKf,"axG",@progbits,_ZN4vllm3moe10topkGatingILi1ELi1ELi4ELi2ELi64Ei6__halfLNS0_11ScoringFuncE0EEEvPKT5_PKbPfiPT4_PiiiibPKf,comdat
	.protected	_ZN4vllm3moe10topkGatingILi1ELi1ELi4ELi2ELi64Ei6__halfLNS0_11ScoringFuncE0EEEvPKT5_PKbPfiPT4_PiiiibPKf ; -- Begin function _ZN4vllm3moe10topkGatingILi1ELi1ELi4ELi2ELi64Ei6__halfLNS0_11ScoringFuncE0EEEvPKT5_PKbPfiPT4_PiiiibPKf
	.globl	_ZN4vllm3moe10topkGatingILi1ELi1ELi4ELi2ELi64Ei6__halfLNS0_11ScoringFuncE0EEEvPKT5_PKbPfiPT4_PiiiibPKf
	.p2align	8
	.type	_ZN4vllm3moe10topkGatingILi1ELi1ELi4ELi2ELi64Ei6__halfLNS0_11ScoringFuncE0EEEvPKT5_PKbPfiPT4_PiiiibPKf,@function
_ZN4vllm3moe10topkGatingILi1ELi1ELi4ELi2ELi64Ei6__halfLNS0_11ScoringFuncE0EEEvPKT5_PKbPfiPT4_PiiiibPKf: ; @_ZN4vllm3moe10topkGatingILi1ELi1ELi4ELi2ELi64Ei6__halfLNS0_11ScoringFuncE0EEEvPKT5_PKbPfiPT4_PiiiibPKf
; %bb.0:
	s_load_dword s18, s[4:5], 0x18
	v_bfe_u32 v1, v0, 10, 10
	s_lshl_b32 s0, s6, 8
	v_lshlrev_b32_e32 v1, 6, v1
	v_and_b32_e32 v0, 0x3ff, v0
	v_add3_u32 v0, v1, v0, s0
	s_waitcnt lgkmcnt(0)
	v_cmp_gt_i32_e32 vcc, s18, v0
	s_and_saveexec_b64 s[0:1], vcc
	s_cbranch_execz .LBB66_17
; %bb.1:
	s_load_dwordx4 s[12:15], s[4:5], 0x0
	s_load_dwordx2 s[2:3], s[4:5], 0x10
	v_ashrrev_i32_e32 v1, 31, v0
	s_waitcnt lgkmcnt(0)
	s_cmp_eq_u64 s[14:15], 0
	s_cbranch_scc1 .LBB66_3
; %bb.2:
	v_mov_b32_e32 v3, s15
	v_add_co_u32_e32 v2, vcc, s14, v0
	v_addc_co_u32_e32 v3, vcc, v3, v1, vcc
	global_load_ubyte v2, v[2:3], off
	s_waitcnt vmcnt(0)
	v_and_b32_e32 v2, 1, v2
	v_cmp_eq_u32_e32 vcc, 1, v2
	s_xor_b64 s[0:1], vcc, -1
	s_orn2_b64 s[16:17], s[0:1], exec
	s_branch .LBB66_4
.LBB66_3:
	s_mov_b64 s[16:17], -1
.LBB66_4:
	s_load_dwordx4 s[8:11], s[4:5], 0x30
	s_waitcnt lgkmcnt(0)
	s_bitcmp1_b32 s11, 0
	s_cselect_b64 s[0:1], -1, 0
	s_cmp_gt_i32 s8, 0
	s_cselect_b64 s[14:15], -1, 0
	s_cmp_lt_i32 s8, 1
	s_cbranch_scc1 .LBB66_8
; %bb.5:
	v_lshlrev_b64 v[2:3], 1, v[0:1]
	v_mov_b32_e32 v1, s13
	v_add_co_u32_e32 v2, vcc, s12, v2
	v_addc_co_u32_e32 v3, vcc, v1, v3, vcc
	global_load_ushort v4, v[2:3], off
	s_mov_b32 s19, 0x3fb8aa3b
	v_mul_lo_u32 v2, v0, s8
	s_load_dwordx4 s[4:7], s[4:5], 0x20
	s_cmp_lt_i32 s9, 1
	v_ashrrev_i32_e32 v3, 31, v2
	s_cselect_b64 s[12:13], -1, 0
	s_cmp_gt_i32 s10, 0
	v_lshlrev_b64 v[6:7], 2, v[2:3]
	v_mov_b32_e32 v5, s3
	s_cselect_b64 s[10:11], -1, 0
	v_add_co_u32_e32 v2, vcc, s2, v6
	s_sub_i32 s9, 0, s9
	s_and_b64 s[10:11], s[12:13], s[10:11]
	v_addc_co_u32_e32 v3, vcc, v5, v7, vcc
	v_mov_b32_e32 v9, s9
	s_and_b64 vcc, s[16:17], s[10:11]
	v_cndmask_b32_e32 v9, 1, v9, vcc
	s_waitcnt lgkmcnt(0)
	v_mov_b32_e32 v5, s5
	s_mov_b32 s20, 0xc2ce8ed0
	s_mov_b32 s21, 0x42b17218
	v_mov_b32_e32 v10, 0x7f800000
	v_mov_b32_e32 v11, s7
	s_movk_i32 s22, 0x1f8
	v_mov_b32_e32 v1, 0
	v_mov_b32_e32 v8, v0
	s_waitcnt vmcnt(0)
	v_cvt_f32_f16_e32 v4, v4
	v_sub_f32_e32 v12, v4, v4
	v_mul_f32_e32 v4, 0x3fb8aa3b, v12
	v_fma_f32 v13, v12, s19, -v4
	v_rndne_f32_e32 v14, v4
	v_fmac_f32_e32 v13, 0x32a5705f, v12
	v_sub_f32_e32 v4, v4, v14
	v_add_f32_e32 v4, v4, v13
	v_cvt_i32_f32_e32 v14, v14
	v_exp_f32_e32 v13, v4
	v_add_co_u32_e32 v4, vcc, s4, v6
	v_addc_co_u32_e32 v5, vcc, v5, v7, vcc
	v_ldexp_f32 v13, v13, v14
	v_cmp_ngt_f32_e32 vcc, s20, v12
	v_cndmask_b32_e32 v13, 0, v13, vcc
	v_cmp_nlt_f32_e32 vcc, s21, v12
	v_cndmask_b32_e32 v10, v10, v13, vcc
	v_div_scale_f32 v12, s[4:5], v10, v10, 1.0
	v_rcp_f32_e32 v13, v12
	v_add_co_u32_e32 v6, vcc, s6, v6
	v_addc_co_u32_e32 v7, vcc, v11, v7, vcc
	v_fma_f32 v14, -v12, v13, 1.0
	v_div_scale_f32 v11, vcc, 1.0, v10, 1.0
	v_fmac_f32_e32 v13, v14, v13
	v_mul_f32_e32 v14, v11, v13
	v_fma_f32 v15, -v12, v14, v11
	v_fmac_f32_e32 v14, v15, v13
	v_fma_f32 v11, -v12, v14, v11
	v_div_fmas_f32 v11, v11, v13, v14
	v_div_fixup_f32 v11, v11, v10, 1.0
	v_mul_f32_e32 v10, v10, v11
	v_cmp_class_f32_e64 vcc, v10, s22
	v_cndmask_b32_e32 v10, 0, v10, vcc
	s_mov_b32 s4, s8
.LBB66_6:                               ; =>This Inner Loop Header: Depth=1
	global_store_dword v[2:3], v10, off
	global_store_dword v[4:5], v9, off
	;; [unrolled: 1-line block ×3, first 2 shown]
	v_add_co_u32_e32 v2, vcc, 4, v2
	v_addc_co_u32_e32 v3, vcc, 0, v3, vcc
	v_add_co_u32_e32 v4, vcc, 4, v4
	v_addc_co_u32_e32 v5, vcc, 0, v5, vcc
	v_add_f32_e32 v11, v1, v10
	s_add_i32 s4, s4, -1
	v_add_co_u32_e32 v6, vcc, 4, v6
	v_cndmask_b32_e64 v1, v1, v11, s[0:1]
	v_add_u32_e32 v8, s18, v8
	s_cmp_lg_u32 s4, 0
	v_addc_co_u32_e32 v7, vcc, 0, v7, vcc
	s_cbranch_scc1 .LBB66_6
; %bb.7:
	s_andn2_b64 vcc, exec, s[0:1]
	s_cbranch_vccz .LBB66_9
	s_branch .LBB66_17
.LBB66_8:
	v_mov_b32_e32 v1, 0
	s_andn2_b64 vcc, exec, s[0:1]
	s_cbranch_vccnz .LBB66_17
.LBB66_9:
	s_andn2_b64 vcc, exec, s[14:15]
	s_cbranch_vccnz .LBB66_17
; %bb.10:
	v_cmp_lt_f32_e32 vcc, 0, v1
	s_mov_b32 s4, 0
	v_cndmask_b32_e32 v2, 1.0, v1, vcc
	v_mul_lo_u32 v0, v0, s8
	s_cmp_eq_u32 s8, 1
	s_mov_b64 s[0:1], -1
	s_cbranch_scc1 .LBB66_14
; %bb.11:
	s_and_b32 s4, s8, 0x7ffffffe
	v_mov_b32_e32 v1, v2
	v_mov_b32_e32 v3, s3
	s_mov_b32 s5, s4
	v_mov_b32_e32 v4, v0
.LBB66_12:                              ; =>This Inner Loop Header: Depth=1
	v_ashrrev_i32_e32 v5, 31, v4
	v_lshlrev_b64 v[6:7], 2, v[4:5]
	v_add_co_u32_e32 v6, vcc, s2, v6
	v_addc_co_u32_e32 v7, vcc, v3, v7, vcc
	global_load_dwordx2 v[8:9], v[6:7], off
	s_add_i32 s5, s5, -2
	s_cmp_lg_u32 s5, 0
	v_add_u32_e32 v4, 2, v4
	s_waitcnt vmcnt(0)
	v_div_scale_f32 v5, s[0:1], v1, v1, v9
	v_div_scale_f32 v11, s[0:1], v2, v2, v8
	v_rcp_f32_e32 v12, v5
	v_rcp_f32_e32 v13, v11
	v_div_scale_f32 v10, vcc, v9, v1, v9
	v_fma_f32 v15, -v5, v12, 1.0
	v_fma_f32 v16, -v11, v13, 1.0
	v_fmac_f32_e32 v12, v15, v12
	v_div_scale_f32 v14, s[0:1], v8, v2, v8
	v_fmac_f32_e32 v13, v16, v13
	v_mul_f32_e32 v15, v10, v12
	v_mul_f32_e32 v16, v14, v13
	v_fma_f32 v17, -v5, v15, v10
	v_fma_f32 v18, -v11, v16, v14
	v_fmac_f32_e32 v15, v17, v12
	v_fmac_f32_e32 v16, v18, v13
	v_fma_f32 v5, -v5, v15, v10
	v_fma_f32 v10, -v11, v16, v14
	v_div_fmas_f32 v5, v5, v12, v15
	s_mov_b64 vcc, s[0:1]
	v_div_fixup_f32 v9, v5, v1, v9
	v_div_fmas_f32 v5, v10, v13, v16
	v_div_fixup_f32 v8, v5, v2, v8
	global_store_dwordx2 v[6:7], v[8:9], off
	s_cbranch_scc1 .LBB66_12
; %bb.13:
	s_cmp_lg_u32 s4, s8
	s_cselect_b64 s[0:1], -1, 0
.LBB66_14:
	s_and_b64 vcc, exec, s[0:1]
	s_cbranch_vccz .LBB66_17
; %bb.15:
	v_ashrrev_i32_e32 v1, 31, v0
	v_add_co_u32_e32 v0, vcc, s4, v0
	v_addc_co_u32_e32 v1, vcc, 0, v1, vcc
	v_lshlrev_b64 v[0:1], 2, v[0:1]
	v_mov_b32_e32 v3, s3
	v_add_co_u32_e32 v0, vcc, s2, v0
	s_sub_i32 s0, s8, s4
	v_addc_co_u32_e32 v1, vcc, v3, v1, vcc
.LBB66_16:                              ; =>This Inner Loop Header: Depth=1
	global_load_dword v3, v[0:1], off
	s_add_i32 s0, s0, -1
	s_cmp_lg_u32 s0, 0
	s_waitcnt vmcnt(0)
	v_div_scale_f32 v4, s[2:3], v2, v2, v3
	v_rcp_f32_e32 v5, v4
	v_div_scale_f32 v6, vcc, v3, v2, v3
	v_fma_f32 v7, -v4, v5, 1.0
	v_fmac_f32_e32 v5, v7, v5
	v_mul_f32_e32 v7, v6, v5
	v_fma_f32 v8, -v4, v7, v6
	v_fmac_f32_e32 v7, v8, v5
	v_fma_f32 v4, -v4, v7, v6
	v_div_fmas_f32 v4, v4, v5, v7
	v_div_fixup_f32 v3, v4, v2, v3
	global_store_dword v[0:1], v3, off
	v_add_co_u32_e32 v0, vcc, 4, v0
	v_addc_co_u32_e32 v1, vcc, 0, v1, vcc
	s_cbranch_scc1 .LBB66_16
.LBB66_17:
	s_endpgm
	.section	.rodata,"a",@progbits
	.p2align	6, 0x0
	.amdhsa_kernel _ZN4vllm3moe10topkGatingILi1ELi1ELi4ELi2ELi64Ei6__halfLNS0_11ScoringFuncE0EEEvPKT5_PKbPfiPT4_PiiiibPKf
		.amdhsa_group_segment_fixed_size 0
		.amdhsa_private_segment_fixed_size 0
		.amdhsa_kernarg_size 72
		.amdhsa_user_sgpr_count 6
		.amdhsa_user_sgpr_private_segment_buffer 1
		.amdhsa_user_sgpr_dispatch_ptr 0
		.amdhsa_user_sgpr_queue_ptr 0
		.amdhsa_user_sgpr_kernarg_segment_ptr 1
		.amdhsa_user_sgpr_dispatch_id 0
		.amdhsa_user_sgpr_flat_scratch_init 0
		.amdhsa_user_sgpr_kernarg_preload_length 0
		.amdhsa_user_sgpr_kernarg_preload_offset 0
		.amdhsa_user_sgpr_private_segment_size 0
		.amdhsa_uses_dynamic_stack 0
		.amdhsa_system_sgpr_private_segment_wavefront_offset 0
		.amdhsa_system_sgpr_workgroup_id_x 1
		.amdhsa_system_sgpr_workgroup_id_y 0
		.amdhsa_system_sgpr_workgroup_id_z 0
		.amdhsa_system_sgpr_workgroup_info 0
		.amdhsa_system_vgpr_workitem_id 1
		.amdhsa_next_free_vgpr 19
		.amdhsa_next_free_sgpr 23
		.amdhsa_accum_offset 20
		.amdhsa_reserve_vcc 1
		.amdhsa_reserve_flat_scratch 0
		.amdhsa_float_round_mode_32 0
		.amdhsa_float_round_mode_16_64 0
		.amdhsa_float_denorm_mode_32 3
		.amdhsa_float_denorm_mode_16_64 3
		.amdhsa_dx10_clamp 1
		.amdhsa_ieee_mode 1
		.amdhsa_fp16_overflow 0
		.amdhsa_tg_split 0
		.amdhsa_exception_fp_ieee_invalid_op 0
		.amdhsa_exception_fp_denorm_src 0
		.amdhsa_exception_fp_ieee_div_zero 0
		.amdhsa_exception_fp_ieee_overflow 0
		.amdhsa_exception_fp_ieee_underflow 0
		.amdhsa_exception_fp_ieee_inexact 0
		.amdhsa_exception_int_div_zero 0
	.end_amdhsa_kernel
	.section	.text._ZN4vllm3moe10topkGatingILi1ELi1ELi4ELi2ELi64Ei6__halfLNS0_11ScoringFuncE0EEEvPKT5_PKbPfiPT4_PiiiibPKf,"axG",@progbits,_ZN4vllm3moe10topkGatingILi1ELi1ELi4ELi2ELi64Ei6__halfLNS0_11ScoringFuncE0EEEvPKT5_PKbPfiPT4_PiiiibPKf,comdat
.Lfunc_end66:
	.size	_ZN4vllm3moe10topkGatingILi1ELi1ELi4ELi2ELi64Ei6__halfLNS0_11ScoringFuncE0EEEvPKT5_PKbPfiPT4_PiiiibPKf, .Lfunc_end66-_ZN4vllm3moe10topkGatingILi1ELi1ELi4ELi2ELi64Ei6__halfLNS0_11ScoringFuncE0EEEvPKT5_PKbPfiPT4_PiiiibPKf
                                        ; -- End function
	.section	.AMDGPU.csdata,"",@progbits
; Kernel info:
; codeLenInByte = 1056
; NumSgprs: 27
; NumVgprs: 19
; NumAgprs: 0
; TotalNumVgprs: 19
; ScratchSize: 0
; MemoryBound: 0
; FloatMode: 240
; IeeeMode: 1
; LDSByteSize: 0 bytes/workgroup (compile time only)
; SGPRBlocks: 3
; VGPRBlocks: 2
; NumSGPRsForWavesPerEU: 27
; NumVGPRsForWavesPerEU: 19
; AccumOffset: 20
; Occupancy: 8
; WaveLimiterHint : 0
; COMPUTE_PGM_RSRC2:SCRATCH_EN: 0
; COMPUTE_PGM_RSRC2:USER_SGPR: 6
; COMPUTE_PGM_RSRC2:TRAP_HANDLER: 0
; COMPUTE_PGM_RSRC2:TGID_X_EN: 1
; COMPUTE_PGM_RSRC2:TGID_Y_EN: 0
; COMPUTE_PGM_RSRC2:TGID_Z_EN: 0
; COMPUTE_PGM_RSRC2:TIDIG_COMP_CNT: 1
; COMPUTE_PGM_RSRC3_GFX90A:ACCUM_OFFSET: 4
; COMPUTE_PGM_RSRC3_GFX90A:TG_SPLIT: 0
	.section	.text._ZN4vllm3moe10topkGatingILi1ELi1ELi4ELi2ELi32Ei6__halfLNS0_11ScoringFuncE0EEEvPKT5_PKbPfiPT4_PiiiibPKf,"axG",@progbits,_ZN4vllm3moe10topkGatingILi1ELi1ELi4ELi2ELi32Ei6__halfLNS0_11ScoringFuncE0EEEvPKT5_PKbPfiPT4_PiiiibPKf,comdat
	.protected	_ZN4vllm3moe10topkGatingILi1ELi1ELi4ELi2ELi32Ei6__halfLNS0_11ScoringFuncE0EEEvPKT5_PKbPfiPT4_PiiiibPKf ; -- Begin function _ZN4vllm3moe10topkGatingILi1ELi1ELi4ELi2ELi32Ei6__halfLNS0_11ScoringFuncE0EEEvPKT5_PKbPfiPT4_PiiiibPKf
	.globl	_ZN4vllm3moe10topkGatingILi1ELi1ELi4ELi2ELi32Ei6__halfLNS0_11ScoringFuncE0EEEvPKT5_PKbPfiPT4_PiiiibPKf
	.p2align	8
	.type	_ZN4vllm3moe10topkGatingILi1ELi1ELi4ELi2ELi32Ei6__halfLNS0_11ScoringFuncE0EEEvPKT5_PKbPfiPT4_PiiiibPKf,@function
_ZN4vllm3moe10topkGatingILi1ELi1ELi4ELi2ELi32Ei6__halfLNS0_11ScoringFuncE0EEEvPKT5_PKbPfiPT4_PiiiibPKf: ; @_ZN4vllm3moe10topkGatingILi1ELi1ELi4ELi2ELi32Ei6__halfLNS0_11ScoringFuncE0EEEvPKT5_PKbPfiPT4_PiiiibPKf
; %bb.0:
	s_load_dword s18, s[4:5], 0x18
	v_bfe_u32 v1, v0, 10, 10
	s_lshl_b32 s0, s6, 7
	v_lshlrev_b32_e32 v1, 5, v1
	v_and_b32_e32 v0, 0x3ff, v0
	v_add3_u32 v0, v1, v0, s0
	s_waitcnt lgkmcnt(0)
	v_cmp_gt_i32_e32 vcc, s18, v0
	s_and_saveexec_b64 s[0:1], vcc
	s_cbranch_execz .LBB67_17
; %bb.1:
	s_load_dwordx4 s[12:15], s[4:5], 0x0
	s_load_dwordx2 s[2:3], s[4:5], 0x10
	v_ashrrev_i32_e32 v1, 31, v0
	s_waitcnt lgkmcnt(0)
	s_cmp_eq_u64 s[14:15], 0
	s_cbranch_scc1 .LBB67_3
; %bb.2:
	v_mov_b32_e32 v3, s15
	v_add_co_u32_e32 v2, vcc, s14, v0
	v_addc_co_u32_e32 v3, vcc, v3, v1, vcc
	global_load_ubyte v2, v[2:3], off
	s_waitcnt vmcnt(0)
	v_and_b32_e32 v2, 1, v2
	v_cmp_eq_u32_e32 vcc, 1, v2
	s_xor_b64 s[0:1], vcc, -1
	s_orn2_b64 s[16:17], s[0:1], exec
	s_branch .LBB67_4
.LBB67_3:
	s_mov_b64 s[16:17], -1
.LBB67_4:
	s_load_dwordx4 s[8:11], s[4:5], 0x30
	s_waitcnt lgkmcnt(0)
	s_bitcmp1_b32 s11, 0
	s_cselect_b64 s[0:1], -1, 0
	s_cmp_gt_i32 s8, 0
	s_cselect_b64 s[14:15], -1, 0
	s_cmp_lt_i32 s8, 1
	s_cbranch_scc1 .LBB67_8
; %bb.5:
	v_lshlrev_b64 v[2:3], 1, v[0:1]
	v_mov_b32_e32 v1, s13
	v_add_co_u32_e32 v2, vcc, s12, v2
	v_addc_co_u32_e32 v3, vcc, v1, v3, vcc
	global_load_ushort v4, v[2:3], off
	s_mov_b32 s19, 0x3fb8aa3b
	v_mul_lo_u32 v2, v0, s8
	s_load_dwordx4 s[4:7], s[4:5], 0x20
	s_cmp_lt_i32 s9, 1
	v_ashrrev_i32_e32 v3, 31, v2
	s_cselect_b64 s[12:13], -1, 0
	s_cmp_gt_i32 s10, 0
	v_lshlrev_b64 v[6:7], 2, v[2:3]
	v_mov_b32_e32 v5, s3
	s_cselect_b64 s[10:11], -1, 0
	v_add_co_u32_e32 v2, vcc, s2, v6
	s_sub_i32 s9, 0, s9
	s_and_b64 s[10:11], s[12:13], s[10:11]
	v_addc_co_u32_e32 v3, vcc, v5, v7, vcc
	v_mov_b32_e32 v9, s9
	s_and_b64 vcc, s[16:17], s[10:11]
	v_cndmask_b32_e32 v9, 1, v9, vcc
	s_waitcnt lgkmcnt(0)
	v_mov_b32_e32 v5, s5
	s_mov_b32 s20, 0xc2ce8ed0
	s_mov_b32 s21, 0x42b17218
	v_mov_b32_e32 v10, 0x7f800000
	v_mov_b32_e32 v11, s7
	s_movk_i32 s22, 0x1f8
	v_mov_b32_e32 v1, 0
	v_mov_b32_e32 v8, v0
	s_waitcnt vmcnt(0)
	v_cvt_f32_f16_e32 v4, v4
	v_sub_f32_e32 v12, v4, v4
	v_mul_f32_e32 v4, 0x3fb8aa3b, v12
	v_fma_f32 v13, v12, s19, -v4
	v_rndne_f32_e32 v14, v4
	v_fmac_f32_e32 v13, 0x32a5705f, v12
	v_sub_f32_e32 v4, v4, v14
	v_add_f32_e32 v4, v4, v13
	v_cvt_i32_f32_e32 v14, v14
	v_exp_f32_e32 v13, v4
	v_add_co_u32_e32 v4, vcc, s4, v6
	v_addc_co_u32_e32 v5, vcc, v5, v7, vcc
	v_ldexp_f32 v13, v13, v14
	v_cmp_ngt_f32_e32 vcc, s20, v12
	v_cndmask_b32_e32 v13, 0, v13, vcc
	v_cmp_nlt_f32_e32 vcc, s21, v12
	v_cndmask_b32_e32 v10, v10, v13, vcc
	v_div_scale_f32 v12, s[4:5], v10, v10, 1.0
	v_rcp_f32_e32 v13, v12
	v_add_co_u32_e32 v6, vcc, s6, v6
	v_addc_co_u32_e32 v7, vcc, v11, v7, vcc
	v_fma_f32 v14, -v12, v13, 1.0
	v_div_scale_f32 v11, vcc, 1.0, v10, 1.0
	v_fmac_f32_e32 v13, v14, v13
	v_mul_f32_e32 v14, v11, v13
	v_fma_f32 v15, -v12, v14, v11
	v_fmac_f32_e32 v14, v15, v13
	v_fma_f32 v11, -v12, v14, v11
	v_div_fmas_f32 v11, v11, v13, v14
	v_div_fixup_f32 v11, v11, v10, 1.0
	v_mul_f32_e32 v10, v10, v11
	v_cmp_class_f32_e64 vcc, v10, s22
	v_cndmask_b32_e32 v10, 0, v10, vcc
	s_mov_b32 s4, s8
.LBB67_6:                               ; =>This Inner Loop Header: Depth=1
	global_store_dword v[2:3], v10, off
	global_store_dword v[4:5], v9, off
	;; [unrolled: 1-line block ×3, first 2 shown]
	v_add_co_u32_e32 v2, vcc, 4, v2
	v_addc_co_u32_e32 v3, vcc, 0, v3, vcc
	v_add_co_u32_e32 v4, vcc, 4, v4
	v_addc_co_u32_e32 v5, vcc, 0, v5, vcc
	v_add_f32_e32 v11, v1, v10
	s_add_i32 s4, s4, -1
	v_add_co_u32_e32 v6, vcc, 4, v6
	v_cndmask_b32_e64 v1, v1, v11, s[0:1]
	v_add_u32_e32 v8, s18, v8
	s_cmp_lg_u32 s4, 0
	v_addc_co_u32_e32 v7, vcc, 0, v7, vcc
	s_cbranch_scc1 .LBB67_6
; %bb.7:
	s_andn2_b64 vcc, exec, s[0:1]
	s_cbranch_vccz .LBB67_9
	s_branch .LBB67_17
.LBB67_8:
	v_mov_b32_e32 v1, 0
	s_andn2_b64 vcc, exec, s[0:1]
	s_cbranch_vccnz .LBB67_17
.LBB67_9:
	s_andn2_b64 vcc, exec, s[14:15]
	s_cbranch_vccnz .LBB67_17
; %bb.10:
	v_cmp_lt_f32_e32 vcc, 0, v1
	s_mov_b32 s4, 0
	v_cndmask_b32_e32 v2, 1.0, v1, vcc
	v_mul_lo_u32 v0, v0, s8
	s_cmp_eq_u32 s8, 1
	s_mov_b64 s[0:1], -1
	s_cbranch_scc1 .LBB67_14
; %bb.11:
	s_and_b32 s4, s8, 0x7ffffffe
	v_mov_b32_e32 v1, v2
	v_mov_b32_e32 v3, s3
	s_mov_b32 s5, s4
	v_mov_b32_e32 v4, v0
.LBB67_12:                              ; =>This Inner Loop Header: Depth=1
	v_ashrrev_i32_e32 v5, 31, v4
	v_lshlrev_b64 v[6:7], 2, v[4:5]
	v_add_co_u32_e32 v6, vcc, s2, v6
	v_addc_co_u32_e32 v7, vcc, v3, v7, vcc
	global_load_dwordx2 v[8:9], v[6:7], off
	s_add_i32 s5, s5, -2
	s_cmp_lg_u32 s5, 0
	v_add_u32_e32 v4, 2, v4
	s_waitcnt vmcnt(0)
	v_div_scale_f32 v5, s[0:1], v1, v1, v9
	v_div_scale_f32 v11, s[0:1], v2, v2, v8
	v_rcp_f32_e32 v12, v5
	v_rcp_f32_e32 v13, v11
	v_div_scale_f32 v10, vcc, v9, v1, v9
	v_fma_f32 v15, -v5, v12, 1.0
	v_fma_f32 v16, -v11, v13, 1.0
	v_fmac_f32_e32 v12, v15, v12
	v_div_scale_f32 v14, s[0:1], v8, v2, v8
	v_fmac_f32_e32 v13, v16, v13
	v_mul_f32_e32 v15, v10, v12
	v_mul_f32_e32 v16, v14, v13
	v_fma_f32 v17, -v5, v15, v10
	v_fma_f32 v18, -v11, v16, v14
	v_fmac_f32_e32 v15, v17, v12
	v_fmac_f32_e32 v16, v18, v13
	v_fma_f32 v5, -v5, v15, v10
	v_fma_f32 v10, -v11, v16, v14
	v_div_fmas_f32 v5, v5, v12, v15
	s_mov_b64 vcc, s[0:1]
	v_div_fixup_f32 v9, v5, v1, v9
	v_div_fmas_f32 v5, v10, v13, v16
	v_div_fixup_f32 v8, v5, v2, v8
	global_store_dwordx2 v[6:7], v[8:9], off
	s_cbranch_scc1 .LBB67_12
; %bb.13:
	s_cmp_lg_u32 s4, s8
	s_cselect_b64 s[0:1], -1, 0
.LBB67_14:
	s_and_b64 vcc, exec, s[0:1]
	s_cbranch_vccz .LBB67_17
; %bb.15:
	v_ashrrev_i32_e32 v1, 31, v0
	v_add_co_u32_e32 v0, vcc, s4, v0
	v_addc_co_u32_e32 v1, vcc, 0, v1, vcc
	v_lshlrev_b64 v[0:1], 2, v[0:1]
	v_mov_b32_e32 v3, s3
	v_add_co_u32_e32 v0, vcc, s2, v0
	s_sub_i32 s0, s8, s4
	v_addc_co_u32_e32 v1, vcc, v3, v1, vcc
.LBB67_16:                              ; =>This Inner Loop Header: Depth=1
	global_load_dword v3, v[0:1], off
	s_add_i32 s0, s0, -1
	s_cmp_lg_u32 s0, 0
	s_waitcnt vmcnt(0)
	v_div_scale_f32 v4, s[2:3], v2, v2, v3
	v_rcp_f32_e32 v5, v4
	v_div_scale_f32 v6, vcc, v3, v2, v3
	v_fma_f32 v7, -v4, v5, 1.0
	v_fmac_f32_e32 v5, v7, v5
	v_mul_f32_e32 v7, v6, v5
	v_fma_f32 v8, -v4, v7, v6
	v_fmac_f32_e32 v7, v8, v5
	v_fma_f32 v4, -v4, v7, v6
	v_div_fmas_f32 v4, v4, v5, v7
	v_div_fixup_f32 v3, v4, v2, v3
	global_store_dword v[0:1], v3, off
	v_add_co_u32_e32 v0, vcc, 4, v0
	v_addc_co_u32_e32 v1, vcc, 0, v1, vcc
	s_cbranch_scc1 .LBB67_16
.LBB67_17:
	s_endpgm
	.section	.rodata,"a",@progbits
	.p2align	6, 0x0
	.amdhsa_kernel _ZN4vllm3moe10topkGatingILi1ELi1ELi4ELi2ELi32Ei6__halfLNS0_11ScoringFuncE0EEEvPKT5_PKbPfiPT4_PiiiibPKf
		.amdhsa_group_segment_fixed_size 0
		.amdhsa_private_segment_fixed_size 0
		.amdhsa_kernarg_size 72
		.amdhsa_user_sgpr_count 6
		.amdhsa_user_sgpr_private_segment_buffer 1
		.amdhsa_user_sgpr_dispatch_ptr 0
		.amdhsa_user_sgpr_queue_ptr 0
		.amdhsa_user_sgpr_kernarg_segment_ptr 1
		.amdhsa_user_sgpr_dispatch_id 0
		.amdhsa_user_sgpr_flat_scratch_init 0
		.amdhsa_user_sgpr_kernarg_preload_length 0
		.amdhsa_user_sgpr_kernarg_preload_offset 0
		.amdhsa_user_sgpr_private_segment_size 0
		.amdhsa_uses_dynamic_stack 0
		.amdhsa_system_sgpr_private_segment_wavefront_offset 0
		.amdhsa_system_sgpr_workgroup_id_x 1
		.amdhsa_system_sgpr_workgroup_id_y 0
		.amdhsa_system_sgpr_workgroup_id_z 0
		.amdhsa_system_sgpr_workgroup_info 0
		.amdhsa_system_vgpr_workitem_id 1
		.amdhsa_next_free_vgpr 19
		.amdhsa_next_free_sgpr 23
		.amdhsa_accum_offset 20
		.amdhsa_reserve_vcc 1
		.amdhsa_reserve_flat_scratch 0
		.amdhsa_float_round_mode_32 0
		.amdhsa_float_round_mode_16_64 0
		.amdhsa_float_denorm_mode_32 3
		.amdhsa_float_denorm_mode_16_64 3
		.amdhsa_dx10_clamp 1
		.amdhsa_ieee_mode 1
		.amdhsa_fp16_overflow 0
		.amdhsa_tg_split 0
		.amdhsa_exception_fp_ieee_invalid_op 0
		.amdhsa_exception_fp_denorm_src 0
		.amdhsa_exception_fp_ieee_div_zero 0
		.amdhsa_exception_fp_ieee_overflow 0
		.amdhsa_exception_fp_ieee_underflow 0
		.amdhsa_exception_fp_ieee_inexact 0
		.amdhsa_exception_int_div_zero 0
	.end_amdhsa_kernel
	.section	.text._ZN4vllm3moe10topkGatingILi1ELi1ELi4ELi2ELi32Ei6__halfLNS0_11ScoringFuncE0EEEvPKT5_PKbPfiPT4_PiiiibPKf,"axG",@progbits,_ZN4vllm3moe10topkGatingILi1ELi1ELi4ELi2ELi32Ei6__halfLNS0_11ScoringFuncE0EEEvPKT5_PKbPfiPT4_PiiiibPKf,comdat
.Lfunc_end67:
	.size	_ZN4vllm3moe10topkGatingILi1ELi1ELi4ELi2ELi32Ei6__halfLNS0_11ScoringFuncE0EEEvPKT5_PKbPfiPT4_PiiiibPKf, .Lfunc_end67-_ZN4vllm3moe10topkGatingILi1ELi1ELi4ELi2ELi32Ei6__halfLNS0_11ScoringFuncE0EEEvPKT5_PKbPfiPT4_PiiiibPKf
                                        ; -- End function
	.section	.AMDGPU.csdata,"",@progbits
; Kernel info:
; codeLenInByte = 1056
; NumSgprs: 27
; NumVgprs: 19
; NumAgprs: 0
; TotalNumVgprs: 19
; ScratchSize: 0
; MemoryBound: 0
; FloatMode: 240
; IeeeMode: 1
; LDSByteSize: 0 bytes/workgroup (compile time only)
; SGPRBlocks: 3
; VGPRBlocks: 2
; NumSGPRsForWavesPerEU: 27
; NumVGPRsForWavesPerEU: 19
; AccumOffset: 20
; Occupancy: 8
; WaveLimiterHint : 0
; COMPUTE_PGM_RSRC2:SCRATCH_EN: 0
; COMPUTE_PGM_RSRC2:USER_SGPR: 6
; COMPUTE_PGM_RSRC2:TRAP_HANDLER: 0
; COMPUTE_PGM_RSRC2:TGID_X_EN: 1
; COMPUTE_PGM_RSRC2:TGID_Y_EN: 0
; COMPUTE_PGM_RSRC2:TGID_Z_EN: 0
; COMPUTE_PGM_RSRC2:TIDIG_COMP_CNT: 1
; COMPUTE_PGM_RSRC3_GFX90A:ACCUM_OFFSET: 4
; COMPUTE_PGM_RSRC3_GFX90A:TG_SPLIT: 0
	.section	.text._ZN4vllm3moe10topkGatingILi2ELi2ELi4ELi4ELi64Ei6__halfLNS0_11ScoringFuncE0EEEvPKT5_PKbPfiPT4_PiiiibPKf,"axG",@progbits,_ZN4vllm3moe10topkGatingILi2ELi2ELi4ELi4ELi64Ei6__halfLNS0_11ScoringFuncE0EEEvPKT5_PKbPfiPT4_PiiiibPKf,comdat
	.protected	_ZN4vllm3moe10topkGatingILi2ELi2ELi4ELi4ELi64Ei6__halfLNS0_11ScoringFuncE0EEEvPKT5_PKbPfiPT4_PiiiibPKf ; -- Begin function _ZN4vllm3moe10topkGatingILi2ELi2ELi4ELi4ELi64Ei6__halfLNS0_11ScoringFuncE0EEEvPKT5_PKbPfiPT4_PiiiibPKf
	.globl	_ZN4vllm3moe10topkGatingILi2ELi2ELi4ELi4ELi64Ei6__halfLNS0_11ScoringFuncE0EEEvPKT5_PKbPfiPT4_PiiiibPKf
	.p2align	8
	.type	_ZN4vllm3moe10topkGatingILi2ELi2ELi4ELi4ELi64Ei6__halfLNS0_11ScoringFuncE0EEEvPKT5_PKbPfiPT4_PiiiibPKf,@function
_ZN4vllm3moe10topkGatingILi2ELi2ELi4ELi4ELi64Ei6__halfLNS0_11ScoringFuncE0EEEvPKT5_PKbPfiPT4_PiiiibPKf: ; @_ZN4vllm3moe10topkGatingILi2ELi2ELi4ELi4ELi64Ei6__halfLNS0_11ScoringFuncE0EEEvPKT5_PKbPfiPT4_PiiiibPKf
; %bb.0:
	s_load_dword s16, s[4:5], 0x18
	v_bfe_u32 v1, v0, 10, 10
	s_lshl_b32 s0, s6, 8
	v_lshlrev_b32_e32 v1, 6, v1
	v_and_b32_e32 v0, 0x3ff, v0
	v_add3_u32 v10, v1, v0, s0
	s_waitcnt lgkmcnt(0)
	v_cmp_gt_i32_e32 vcc, s16, v10
	s_and_saveexec_b64 s[0:1], vcc
	s_cbranch_execz .LBB68_19
; %bb.1:
	s_load_dwordx4 s[0:3], s[4:5], 0x0
	s_load_dwordx2 s[6:7], s[4:5], 0x10
	s_waitcnt lgkmcnt(0)
	s_cmp_eq_u64 s[2:3], 0
	s_cbranch_scc1 .LBB68_3
; %bb.2:
	v_ashrrev_i32_e32 v1, 31, v10
	v_mov_b32_e32 v2, s3
	v_add_co_u32_e32 v0, vcc, s2, v10
	v_addc_co_u32_e32 v1, vcc, v2, v1, vcc
	global_load_ubyte v0, v[0:1], off
	s_waitcnt vmcnt(0)
	v_and_b32_e32 v0, 1, v0
	v_cmp_eq_u32_e32 vcc, 1, v0
	s_xor_b64 s[2:3], vcc, -1
	s_orn2_b64 s[12:13], s[2:3], exec
	s_branch .LBB68_4
.LBB68_3:
	s_mov_b64 s[12:13], -1
.LBB68_4:
	v_lshlrev_b32_e32 v0, 1, v10
	v_ashrrev_i32_e32 v1, 31, v0
	v_lshlrev_b64 v[0:1], 1, v[0:1]
	v_mov_b32_e32 v2, s1
	v_add_co_u32_e32 v0, vcc, s0, v0
	v_addc_co_u32_e32 v1, vcc, v2, v1, vcc
	global_load_dword v1, v[0:1], off
	s_mov_b32 s2, 0x3fb8aa3b
	s_mov_b32 s3, 0xc2ce8ed0
	;; [unrolled: 1-line block ×3, first 2 shown]
	s_load_dwordx2 s[0:1], s[4:5], 0x40
	s_mov_b32 s9, 0x7f800000
	s_waitcnt lgkmcnt(0)
	s_cmp_eq_u64 s[0:1], 0
	s_waitcnt vmcnt(0)
	v_cvt_f32_f16_e32 v0, v1
	v_cvt_f32_f16_sdwa v1, v1 dst_sel:DWORD dst_unused:UNUSED_PAD src0_sel:WORD_1
	v_max_f32_e32 v2, v0, v1
	v_pk_add_f32 v[0:1], v[0:1], v[2:3] op_sel_hi:[1,0] neg_lo:[0,1] neg_hi:[0,1]
	v_mul_f32_e32 v2, 0x3fb8aa3b, v1
	v_mul_f32_e32 v3, 0x3fb8aa3b, v0
	v_fma_f32 v4, v1, s2, -v2
	v_rndne_f32_e32 v5, v2
	v_fma_f32 v6, v0, s2, -v3
	v_rndne_f32_e32 v7, v3
	v_fmac_f32_e32 v4, 0x32a5705f, v1
	v_sub_f32_e32 v2, v2, v5
	v_fmac_f32_e32 v6, 0x32a5705f, v0
	v_sub_f32_e32 v3, v3, v7
	v_add_f32_e32 v2, v2, v4
	v_cvt_i32_f32_e32 v5, v5
	v_add_f32_e32 v3, v3, v6
	v_exp_f32_e32 v2, v2
	v_cvt_i32_f32_e32 v7, v7
	v_exp_f32_e32 v3, v3
	v_cmp_ngt_f32_e32 vcc, s3, v1
	v_ldexp_f32 v2, v2, v5
	v_cndmask_b32_e32 v2, 0, v2, vcc
	v_ldexp_f32 v3, v3, v7
	v_cmp_ngt_f32_e32 vcc, s3, v0
	v_mov_b32_e32 v4, 0x7f800000
	v_cndmask_b32_e32 v3, 0, v3, vcc
	v_cmp_nlt_f32_e32 vcc, s8, v1
	v_cndmask_b32_e32 v1, v4, v2, vcc
	v_cmp_nlt_f32_e32 vcc, s8, v0
	v_cndmask_b32_e32 v0, v4, v3, vcc
	v_add_f32_e32 v2, v0, v1
	v_div_scale_f32 v3, s[2:3], v2, v2, 1.0
	v_rcp_f32_e32 v4, v3
	v_div_scale_f32 v5, vcc, 1.0, v2, 1.0
	s_movk_i32 s2, 0x1f8
	v_fma_f32 v6, -v3, v4, 1.0
	v_fmac_f32_e32 v4, v6, v4
	v_mul_f32_e32 v6, v5, v4
	v_fma_f32 v7, -v3, v6, v5
	v_fmac_f32_e32 v6, v7, v4
	v_fma_f32 v3, -v3, v6, v5
	v_div_fmas_f32 v3, v3, v4, v6
	v_div_fixup_f32 v2, v3, v2, 1.0
	v_pk_mul_f32 v[0:1], v[2:3], v[0:1] op_sel_hi:[0,1]
	v_cmp_nlg_f32_e64 vcc, |v0|, s9
	v_cndmask_b32_e32 v1, v1, v1, vcc
	v_cndmask_b32_e64 v0, v0, 0, vcc
	v_cmp_class_f32_e64 vcc, v1, s2
	v_cndmask_b32_e32 v1, 0, v1, vcc
	v_pk_mov_b32 v[2:3], v[0:1], v[0:1] op_sel:[0,1]
	s_cbranch_scc1 .LBB68_6
; %bb.5:
	s_load_dwordx2 s[0:1], s[0:1], 0x0
	s_waitcnt lgkmcnt(0)
	v_pk_add_f32 v[2:3], v[0:1], s[0:1]
.LBB68_6:
	s_load_dwordx4 s[8:11], s[4:5], 0x30
	s_waitcnt lgkmcnt(0)
	s_bitcmp1_b32 s11, 0
	s_cselect_b64 vcc, -1, 0
	s_cmp_gt_i32 s8, 0
	s_cselect_b64 s[14:15], -1, 0
	s_cmp_lt_i32 s8, 1
	s_cbranch_scc1 .LBB68_10
; %bb.7:
	s_load_dwordx4 s[20:23], s[4:5], 0x20
	v_mul_lo_u32 v4, v10, s8
	v_ashrrev_i32_e32 v5, 31, v4
	v_lshlrev_b64 v[8:9], 2, v[4:5]
	v_mov_b32_e32 v5, s7
	v_add_co_u32_e64 v4, s[0:1], s6, v8
	v_addc_co_u32_e64 v5, s[0:1], v5, v9, s[0:1]
	s_waitcnt lgkmcnt(0)
	v_mov_b32_e32 v7, s21
	v_add_co_u32_e64 v6, s[0:1], s20, v8
	v_addc_co_u32_e64 v7, s[0:1], v7, v9, s[0:1]
	v_mov_b32_e32 v11, s23
	v_add_co_u32_e64 v8, s[0:1], s22, v8
	v_addc_co_u32_e64 v9, s[0:1], v11, v9, s[0:1]
	s_mov_b32 s11, 0
	v_mov_b32_e32 v11, 0
	v_mov_b32_e32 v12, 0xc61c4000
	;; [unrolled: 1-line block ×3, first 2 shown]
.LBB68_8:                               ; =>This Inner Loop Header: Depth=1
	v_cmp_gt_f32_e64 s[0:1], v3, v2
	v_cndmask_b32_e64 v15, 0, 1, s[0:1]
	v_cmp_le_i32_e64 s[2:3], s9, v15
	v_cmp_gt_i32_e64 s[4:5], s10, v15
	s_and_b64 s[2:3], s[2:3], s[4:5]
	v_cndmask_b32_e64 v14, v0, v1, s[0:1]
	v_subrev_u32_e32 v15, s9, v15
	s_and_b64 s[2:3], s[12:13], s[2:3]
	s_add_i32 s11, s11, 1
	global_store_dword v[4:5], v14, off
	v_cndmask_b32_e64 v15, 2, v15, s[2:3]
	v_add_f32_e32 v14, v11, v14
	s_cmp_lt_i32 s11, s8
	global_store_dword v[6:7], v15, off
	global_store_dword v[8:9], v13, off
	v_cndmask_b32_e32 v11, v11, v14, vcc
	v_cndmask_b32_e64 v14, v12, v2, s[0:1]
	v_cndmask_b32_e64 v15, v3, v12, s[0:1]
	s_cselect_b64 s[0:1], -1, 0
	v_cndmask_b32_e64 v3, v3, v15, s[0:1]
	v_cndmask_b32_e64 v2, v2, v14, s[0:1]
	v_add_co_u32_e64 v4, s[0:1], 4, v4
	v_addc_co_u32_e64 v5, s[0:1], 0, v5, s[0:1]
	v_add_co_u32_e64 v6, s[0:1], 4, v6
	v_addc_co_u32_e64 v7, s[0:1], 0, v7, s[0:1]
	v_add_co_u32_e64 v8, s[0:1], 4, v8
	v_add_u32_e32 v13, s16, v13
	s_cmp_eq_u32 s8, s11
	v_addc_co_u32_e64 v9, s[0:1], 0, v9, s[0:1]
	s_cbranch_scc0 .LBB68_8
; %bb.9:
	s_and_b64 vcc, exec, vcc
	s_cbranch_vccnz .LBB68_11
	s_branch .LBB68_19
.LBB68_10:
	v_mov_b32_e32 v11, 0
	s_and_b64 vcc, exec, vcc
	s_cbranch_vccz .LBB68_19
.LBB68_11:
	s_andn2_b64 vcc, exec, s[14:15]
	s_cbranch_vccnz .LBB68_19
; %bb.12:
	v_cmp_lt_f32_e32 vcc, 0, v11
	s_mov_b32 s2, 0
	v_cndmask_b32_e32 v0, 1.0, v11, vcc
	v_mul_lo_u32 v4, v10, s8
	s_cmp_eq_u32 s8, 1
	s_mov_b64 s[0:1], -1
	s_cbranch_scc1 .LBB68_16
; %bb.13:
	s_and_b32 s2, s8, 0x7ffffffe
	v_mov_b32_e32 v1, v0
	v_mov_b32_e32 v5, s7
	s_mov_b32 s3, s2
	v_mov_b32_e32 v2, v4
.LBB68_14:                              ; =>This Inner Loop Header: Depth=1
	v_ashrrev_i32_e32 v3, 31, v2
	v_lshlrev_b64 v[6:7], 2, v[2:3]
	v_add_co_u32_e32 v6, vcc, s6, v6
	v_addc_co_u32_e32 v7, vcc, v5, v7, vcc
	global_load_dwordx2 v[8:9], v[6:7], off
	s_add_i32 s3, s3, -2
	s_cmp_lg_u32 s3, 0
	v_add_u32_e32 v2, 2, v2
	s_waitcnt vmcnt(0)
	v_div_scale_f32 v3, s[0:1], v1, v1, v9
	v_div_scale_f32 v11, s[0:1], v0, v0, v8
	v_rcp_f32_e32 v12, v3
	v_rcp_f32_e32 v13, v11
	v_div_scale_f32 v10, vcc, v9, v1, v9
	v_fma_f32 v15, -v3, v12, 1.0
	v_fma_f32 v16, -v11, v13, 1.0
	v_fmac_f32_e32 v12, v15, v12
	v_div_scale_f32 v14, s[0:1], v8, v0, v8
	v_fmac_f32_e32 v13, v16, v13
	v_mul_f32_e32 v15, v10, v12
	v_mul_f32_e32 v16, v14, v13
	v_fma_f32 v17, -v3, v15, v10
	v_fma_f32 v18, -v11, v16, v14
	v_fmac_f32_e32 v15, v17, v12
	v_fmac_f32_e32 v16, v18, v13
	v_fma_f32 v3, -v3, v15, v10
	v_fma_f32 v10, -v11, v16, v14
	v_div_fmas_f32 v3, v3, v12, v15
	s_mov_b64 vcc, s[0:1]
	v_div_fixup_f32 v9, v3, v1, v9
	v_div_fmas_f32 v3, v10, v13, v16
	v_div_fixup_f32 v8, v3, v0, v8
	global_store_dwordx2 v[6:7], v[8:9], off
	s_cbranch_scc1 .LBB68_14
; %bb.15:
	s_cmp_lg_u32 s2, s8
	s_cselect_b64 s[0:1], -1, 0
.LBB68_16:
	s_and_b64 vcc, exec, s[0:1]
	s_cbranch_vccz .LBB68_19
; %bb.17:
	v_ashrrev_i32_e32 v1, 31, v4
	v_add_co_u32_e32 v2, vcc, s2, v4
	v_addc_co_u32_e32 v3, vcc, 0, v1, vcc
	v_lshlrev_b64 v[2:3], 2, v[2:3]
	v_mov_b32_e32 v1, s7
	v_add_co_u32_e32 v2, vcc, s6, v2
	s_sub_i32 s0, s8, s2
	v_addc_co_u32_e32 v3, vcc, v1, v3, vcc
.LBB68_18:                              ; =>This Inner Loop Header: Depth=1
	global_load_dword v1, v[2:3], off
	s_add_i32 s0, s0, -1
	s_cmp_lg_u32 s0, 0
	s_waitcnt vmcnt(0)
	v_div_scale_f32 v4, s[2:3], v0, v0, v1
	v_rcp_f32_e32 v5, v4
	v_div_scale_f32 v6, vcc, v1, v0, v1
	v_fma_f32 v7, -v4, v5, 1.0
	v_fmac_f32_e32 v5, v7, v5
	v_mul_f32_e32 v7, v6, v5
	v_fma_f32 v8, -v4, v7, v6
	v_fmac_f32_e32 v7, v8, v5
	v_fma_f32 v4, -v4, v7, v6
	v_div_fmas_f32 v4, v4, v5, v7
	v_div_fixup_f32 v1, v4, v0, v1
	global_store_dword v[2:3], v1, off
	v_add_co_u32_e32 v2, vcc, 4, v2
	v_addc_co_u32_e32 v3, vcc, 0, v3, vcc
	s_cbranch_scc1 .LBB68_18
.LBB68_19:
	s_endpgm
	.section	.rodata,"a",@progbits
	.p2align	6, 0x0
	.amdhsa_kernel _ZN4vllm3moe10topkGatingILi2ELi2ELi4ELi4ELi64Ei6__halfLNS0_11ScoringFuncE0EEEvPKT5_PKbPfiPT4_PiiiibPKf
		.amdhsa_group_segment_fixed_size 0
		.amdhsa_private_segment_fixed_size 0
		.amdhsa_kernarg_size 72
		.amdhsa_user_sgpr_count 6
		.amdhsa_user_sgpr_private_segment_buffer 1
		.amdhsa_user_sgpr_dispatch_ptr 0
		.amdhsa_user_sgpr_queue_ptr 0
		.amdhsa_user_sgpr_kernarg_segment_ptr 1
		.amdhsa_user_sgpr_dispatch_id 0
		.amdhsa_user_sgpr_flat_scratch_init 0
		.amdhsa_user_sgpr_kernarg_preload_length 0
		.amdhsa_user_sgpr_kernarg_preload_offset 0
		.amdhsa_user_sgpr_private_segment_size 0
		.amdhsa_uses_dynamic_stack 0
		.amdhsa_system_sgpr_private_segment_wavefront_offset 0
		.amdhsa_system_sgpr_workgroup_id_x 1
		.amdhsa_system_sgpr_workgroup_id_y 0
		.amdhsa_system_sgpr_workgroup_id_z 0
		.amdhsa_system_sgpr_workgroup_info 0
		.amdhsa_system_vgpr_workitem_id 1
		.amdhsa_next_free_vgpr 19
		.amdhsa_next_free_sgpr 24
		.amdhsa_accum_offset 20
		.amdhsa_reserve_vcc 1
		.amdhsa_reserve_flat_scratch 0
		.amdhsa_float_round_mode_32 0
		.amdhsa_float_round_mode_16_64 0
		.amdhsa_float_denorm_mode_32 3
		.amdhsa_float_denorm_mode_16_64 3
		.amdhsa_dx10_clamp 1
		.amdhsa_ieee_mode 1
		.amdhsa_fp16_overflow 0
		.amdhsa_tg_split 0
		.amdhsa_exception_fp_ieee_invalid_op 0
		.amdhsa_exception_fp_denorm_src 0
		.amdhsa_exception_fp_ieee_div_zero 0
		.amdhsa_exception_fp_ieee_overflow 0
		.amdhsa_exception_fp_ieee_underflow 0
		.amdhsa_exception_fp_ieee_inexact 0
		.amdhsa_exception_int_div_zero 0
	.end_amdhsa_kernel
	.section	.text._ZN4vllm3moe10topkGatingILi2ELi2ELi4ELi4ELi64Ei6__halfLNS0_11ScoringFuncE0EEEvPKT5_PKbPfiPT4_PiiiibPKf,"axG",@progbits,_ZN4vllm3moe10topkGatingILi2ELi2ELi4ELi4ELi64Ei6__halfLNS0_11ScoringFuncE0EEEvPKT5_PKbPfiPT4_PiiiibPKf,comdat
.Lfunc_end68:
	.size	_ZN4vllm3moe10topkGatingILi2ELi2ELi4ELi4ELi64Ei6__halfLNS0_11ScoringFuncE0EEEvPKT5_PKbPfiPT4_PiiiibPKf, .Lfunc_end68-_ZN4vllm3moe10topkGatingILi2ELi2ELi4ELi4ELi64Ei6__halfLNS0_11ScoringFuncE0EEEvPKT5_PKbPfiPT4_PiiiibPKf
                                        ; -- End function
	.section	.AMDGPU.csdata,"",@progbits
; Kernel info:
; codeLenInByte = 1348
; NumSgprs: 28
; NumVgprs: 19
; NumAgprs: 0
; TotalNumVgprs: 19
; ScratchSize: 0
; MemoryBound: 1
; FloatMode: 240
; IeeeMode: 1
; LDSByteSize: 0 bytes/workgroup (compile time only)
; SGPRBlocks: 3
; VGPRBlocks: 2
; NumSGPRsForWavesPerEU: 28
; NumVGPRsForWavesPerEU: 19
; AccumOffset: 20
; Occupancy: 8
; WaveLimiterHint : 0
; COMPUTE_PGM_RSRC2:SCRATCH_EN: 0
; COMPUTE_PGM_RSRC2:USER_SGPR: 6
; COMPUTE_PGM_RSRC2:TRAP_HANDLER: 0
; COMPUTE_PGM_RSRC2:TGID_X_EN: 1
; COMPUTE_PGM_RSRC2:TGID_Y_EN: 0
; COMPUTE_PGM_RSRC2:TGID_Z_EN: 0
; COMPUTE_PGM_RSRC2:TIDIG_COMP_CNT: 1
; COMPUTE_PGM_RSRC3_GFX90A:ACCUM_OFFSET: 4
; COMPUTE_PGM_RSRC3_GFX90A:TG_SPLIT: 0
	.section	.text._ZN4vllm3moe10topkGatingILi2ELi2ELi4ELi4ELi32Ei6__halfLNS0_11ScoringFuncE0EEEvPKT5_PKbPfiPT4_PiiiibPKf,"axG",@progbits,_ZN4vllm3moe10topkGatingILi2ELi2ELi4ELi4ELi32Ei6__halfLNS0_11ScoringFuncE0EEEvPKT5_PKbPfiPT4_PiiiibPKf,comdat
	.protected	_ZN4vllm3moe10topkGatingILi2ELi2ELi4ELi4ELi32Ei6__halfLNS0_11ScoringFuncE0EEEvPKT5_PKbPfiPT4_PiiiibPKf ; -- Begin function _ZN4vllm3moe10topkGatingILi2ELi2ELi4ELi4ELi32Ei6__halfLNS0_11ScoringFuncE0EEEvPKT5_PKbPfiPT4_PiiiibPKf
	.globl	_ZN4vllm3moe10topkGatingILi2ELi2ELi4ELi4ELi32Ei6__halfLNS0_11ScoringFuncE0EEEvPKT5_PKbPfiPT4_PiiiibPKf
	.p2align	8
	.type	_ZN4vllm3moe10topkGatingILi2ELi2ELi4ELi4ELi32Ei6__halfLNS0_11ScoringFuncE0EEEvPKT5_PKbPfiPT4_PiiiibPKf,@function
_ZN4vllm3moe10topkGatingILi2ELi2ELi4ELi4ELi32Ei6__halfLNS0_11ScoringFuncE0EEEvPKT5_PKbPfiPT4_PiiiibPKf: ; @_ZN4vllm3moe10topkGatingILi2ELi2ELi4ELi4ELi32Ei6__halfLNS0_11ScoringFuncE0EEEvPKT5_PKbPfiPT4_PiiiibPKf
; %bb.0:
	s_load_dword s16, s[4:5], 0x18
	v_bfe_u32 v1, v0, 10, 10
	s_lshl_b32 s0, s6, 7
	v_lshlrev_b32_e32 v1, 5, v1
	v_and_b32_e32 v0, 0x3ff, v0
	v_add3_u32 v10, v1, v0, s0
	s_waitcnt lgkmcnt(0)
	v_cmp_gt_i32_e32 vcc, s16, v10
	s_and_saveexec_b64 s[0:1], vcc
	s_cbranch_execz .LBB69_19
; %bb.1:
	s_load_dwordx4 s[0:3], s[4:5], 0x0
	s_load_dwordx2 s[6:7], s[4:5], 0x10
	s_waitcnt lgkmcnt(0)
	s_cmp_eq_u64 s[2:3], 0
	s_cbranch_scc1 .LBB69_3
; %bb.2:
	v_ashrrev_i32_e32 v1, 31, v10
	v_mov_b32_e32 v2, s3
	v_add_co_u32_e32 v0, vcc, s2, v10
	v_addc_co_u32_e32 v1, vcc, v2, v1, vcc
	global_load_ubyte v0, v[0:1], off
	s_waitcnt vmcnt(0)
	v_and_b32_e32 v0, 1, v0
	v_cmp_eq_u32_e32 vcc, 1, v0
	s_xor_b64 s[2:3], vcc, -1
	s_orn2_b64 s[12:13], s[2:3], exec
	s_branch .LBB69_4
.LBB69_3:
	s_mov_b64 s[12:13], -1
.LBB69_4:
	v_lshlrev_b32_e32 v0, 1, v10
	v_ashrrev_i32_e32 v1, 31, v0
	v_lshlrev_b64 v[0:1], 1, v[0:1]
	v_mov_b32_e32 v2, s1
	v_add_co_u32_e32 v0, vcc, s0, v0
	v_addc_co_u32_e32 v1, vcc, v2, v1, vcc
	global_load_dword v1, v[0:1], off
	s_mov_b32 s2, 0x3fb8aa3b
	s_mov_b32 s3, 0xc2ce8ed0
	;; [unrolled: 1-line block ×3, first 2 shown]
	s_load_dwordx2 s[0:1], s[4:5], 0x40
	s_mov_b32 s9, 0x7f800000
	s_waitcnt lgkmcnt(0)
	s_cmp_eq_u64 s[0:1], 0
	s_waitcnt vmcnt(0)
	v_cvt_f32_f16_e32 v0, v1
	v_cvt_f32_f16_sdwa v1, v1 dst_sel:DWORD dst_unused:UNUSED_PAD src0_sel:WORD_1
	v_max_f32_e32 v2, v0, v1
	v_pk_add_f32 v[0:1], v[0:1], v[2:3] op_sel_hi:[1,0] neg_lo:[0,1] neg_hi:[0,1]
	v_mul_f32_e32 v2, 0x3fb8aa3b, v1
	v_mul_f32_e32 v3, 0x3fb8aa3b, v0
	v_fma_f32 v4, v1, s2, -v2
	v_rndne_f32_e32 v5, v2
	v_fma_f32 v6, v0, s2, -v3
	v_rndne_f32_e32 v7, v3
	v_fmac_f32_e32 v4, 0x32a5705f, v1
	v_sub_f32_e32 v2, v2, v5
	v_fmac_f32_e32 v6, 0x32a5705f, v0
	v_sub_f32_e32 v3, v3, v7
	v_add_f32_e32 v2, v2, v4
	v_cvt_i32_f32_e32 v5, v5
	v_add_f32_e32 v3, v3, v6
	v_exp_f32_e32 v2, v2
	v_cvt_i32_f32_e32 v7, v7
	v_exp_f32_e32 v3, v3
	v_cmp_ngt_f32_e32 vcc, s3, v1
	v_ldexp_f32 v2, v2, v5
	v_cndmask_b32_e32 v2, 0, v2, vcc
	v_ldexp_f32 v3, v3, v7
	v_cmp_ngt_f32_e32 vcc, s3, v0
	v_mov_b32_e32 v4, 0x7f800000
	v_cndmask_b32_e32 v3, 0, v3, vcc
	v_cmp_nlt_f32_e32 vcc, s8, v1
	v_cndmask_b32_e32 v1, v4, v2, vcc
	v_cmp_nlt_f32_e32 vcc, s8, v0
	v_cndmask_b32_e32 v0, v4, v3, vcc
	v_add_f32_e32 v2, v0, v1
	v_div_scale_f32 v3, s[2:3], v2, v2, 1.0
	v_rcp_f32_e32 v4, v3
	v_div_scale_f32 v5, vcc, 1.0, v2, 1.0
	s_movk_i32 s2, 0x1f8
	v_fma_f32 v6, -v3, v4, 1.0
	v_fmac_f32_e32 v4, v6, v4
	v_mul_f32_e32 v6, v5, v4
	v_fma_f32 v7, -v3, v6, v5
	v_fmac_f32_e32 v6, v7, v4
	v_fma_f32 v3, -v3, v6, v5
	v_div_fmas_f32 v3, v3, v4, v6
	v_div_fixup_f32 v2, v3, v2, 1.0
	v_pk_mul_f32 v[0:1], v[2:3], v[0:1] op_sel_hi:[0,1]
	v_cmp_nlg_f32_e64 vcc, |v0|, s9
	v_cndmask_b32_e32 v1, v1, v1, vcc
	v_cndmask_b32_e64 v0, v0, 0, vcc
	v_cmp_class_f32_e64 vcc, v1, s2
	v_cndmask_b32_e32 v1, 0, v1, vcc
	v_pk_mov_b32 v[2:3], v[0:1], v[0:1] op_sel:[0,1]
	s_cbranch_scc1 .LBB69_6
; %bb.5:
	s_load_dwordx2 s[0:1], s[0:1], 0x0
	s_waitcnt lgkmcnt(0)
	v_pk_add_f32 v[2:3], v[0:1], s[0:1]
.LBB69_6:
	s_load_dwordx4 s[8:11], s[4:5], 0x30
	s_waitcnt lgkmcnt(0)
	s_bitcmp1_b32 s11, 0
	s_cselect_b64 vcc, -1, 0
	s_cmp_gt_i32 s8, 0
	s_cselect_b64 s[14:15], -1, 0
	s_cmp_lt_i32 s8, 1
	s_cbranch_scc1 .LBB69_10
; %bb.7:
	s_load_dwordx4 s[20:23], s[4:5], 0x20
	v_mul_lo_u32 v4, v10, s8
	v_ashrrev_i32_e32 v5, 31, v4
	v_lshlrev_b64 v[8:9], 2, v[4:5]
	v_mov_b32_e32 v5, s7
	v_add_co_u32_e64 v4, s[0:1], s6, v8
	v_addc_co_u32_e64 v5, s[0:1], v5, v9, s[0:1]
	s_waitcnt lgkmcnt(0)
	v_mov_b32_e32 v7, s21
	v_add_co_u32_e64 v6, s[0:1], s20, v8
	v_addc_co_u32_e64 v7, s[0:1], v7, v9, s[0:1]
	v_mov_b32_e32 v11, s23
	v_add_co_u32_e64 v8, s[0:1], s22, v8
	v_addc_co_u32_e64 v9, s[0:1], v11, v9, s[0:1]
	s_mov_b32 s11, 0
	v_mov_b32_e32 v11, 0
	v_mov_b32_e32 v12, 0xc61c4000
	;; [unrolled: 1-line block ×3, first 2 shown]
.LBB69_8:                               ; =>This Inner Loop Header: Depth=1
	v_cmp_gt_f32_e64 s[0:1], v3, v2
	v_cndmask_b32_e64 v15, 0, 1, s[0:1]
	v_cmp_le_i32_e64 s[2:3], s9, v15
	v_cmp_gt_i32_e64 s[4:5], s10, v15
	s_and_b64 s[2:3], s[2:3], s[4:5]
	v_cndmask_b32_e64 v14, v0, v1, s[0:1]
	v_subrev_u32_e32 v15, s9, v15
	s_and_b64 s[2:3], s[12:13], s[2:3]
	s_add_i32 s11, s11, 1
	global_store_dword v[4:5], v14, off
	v_cndmask_b32_e64 v15, 2, v15, s[2:3]
	v_add_f32_e32 v14, v11, v14
	s_cmp_lt_i32 s11, s8
	global_store_dword v[6:7], v15, off
	global_store_dword v[8:9], v13, off
	v_cndmask_b32_e32 v11, v11, v14, vcc
	v_cndmask_b32_e64 v14, v12, v2, s[0:1]
	v_cndmask_b32_e64 v15, v3, v12, s[0:1]
	s_cselect_b64 s[0:1], -1, 0
	v_cndmask_b32_e64 v3, v3, v15, s[0:1]
	v_cndmask_b32_e64 v2, v2, v14, s[0:1]
	v_add_co_u32_e64 v4, s[0:1], 4, v4
	v_addc_co_u32_e64 v5, s[0:1], 0, v5, s[0:1]
	v_add_co_u32_e64 v6, s[0:1], 4, v6
	v_addc_co_u32_e64 v7, s[0:1], 0, v7, s[0:1]
	v_add_co_u32_e64 v8, s[0:1], 4, v8
	v_add_u32_e32 v13, s16, v13
	s_cmp_eq_u32 s8, s11
	v_addc_co_u32_e64 v9, s[0:1], 0, v9, s[0:1]
	s_cbranch_scc0 .LBB69_8
; %bb.9:
	s_and_b64 vcc, exec, vcc
	s_cbranch_vccnz .LBB69_11
	s_branch .LBB69_19
.LBB69_10:
	v_mov_b32_e32 v11, 0
	s_and_b64 vcc, exec, vcc
	s_cbranch_vccz .LBB69_19
.LBB69_11:
	s_andn2_b64 vcc, exec, s[14:15]
	s_cbranch_vccnz .LBB69_19
; %bb.12:
	v_cmp_lt_f32_e32 vcc, 0, v11
	s_mov_b32 s2, 0
	v_cndmask_b32_e32 v0, 1.0, v11, vcc
	v_mul_lo_u32 v4, v10, s8
	s_cmp_eq_u32 s8, 1
	s_mov_b64 s[0:1], -1
	s_cbranch_scc1 .LBB69_16
; %bb.13:
	s_and_b32 s2, s8, 0x7ffffffe
	v_mov_b32_e32 v1, v0
	v_mov_b32_e32 v5, s7
	s_mov_b32 s3, s2
	v_mov_b32_e32 v2, v4
.LBB69_14:                              ; =>This Inner Loop Header: Depth=1
	v_ashrrev_i32_e32 v3, 31, v2
	v_lshlrev_b64 v[6:7], 2, v[2:3]
	v_add_co_u32_e32 v6, vcc, s6, v6
	v_addc_co_u32_e32 v7, vcc, v5, v7, vcc
	global_load_dwordx2 v[8:9], v[6:7], off
	s_add_i32 s3, s3, -2
	s_cmp_lg_u32 s3, 0
	v_add_u32_e32 v2, 2, v2
	s_waitcnt vmcnt(0)
	v_div_scale_f32 v3, s[0:1], v1, v1, v9
	v_div_scale_f32 v11, s[0:1], v0, v0, v8
	v_rcp_f32_e32 v12, v3
	v_rcp_f32_e32 v13, v11
	v_div_scale_f32 v10, vcc, v9, v1, v9
	v_fma_f32 v15, -v3, v12, 1.0
	v_fma_f32 v16, -v11, v13, 1.0
	v_fmac_f32_e32 v12, v15, v12
	v_div_scale_f32 v14, s[0:1], v8, v0, v8
	v_fmac_f32_e32 v13, v16, v13
	v_mul_f32_e32 v15, v10, v12
	v_mul_f32_e32 v16, v14, v13
	v_fma_f32 v17, -v3, v15, v10
	v_fma_f32 v18, -v11, v16, v14
	v_fmac_f32_e32 v15, v17, v12
	v_fmac_f32_e32 v16, v18, v13
	v_fma_f32 v3, -v3, v15, v10
	v_fma_f32 v10, -v11, v16, v14
	v_div_fmas_f32 v3, v3, v12, v15
	s_mov_b64 vcc, s[0:1]
	v_div_fixup_f32 v9, v3, v1, v9
	v_div_fmas_f32 v3, v10, v13, v16
	v_div_fixup_f32 v8, v3, v0, v8
	global_store_dwordx2 v[6:7], v[8:9], off
	s_cbranch_scc1 .LBB69_14
; %bb.15:
	s_cmp_lg_u32 s2, s8
	s_cselect_b64 s[0:1], -1, 0
.LBB69_16:
	s_and_b64 vcc, exec, s[0:1]
	s_cbranch_vccz .LBB69_19
; %bb.17:
	v_ashrrev_i32_e32 v1, 31, v4
	v_add_co_u32_e32 v2, vcc, s2, v4
	v_addc_co_u32_e32 v3, vcc, 0, v1, vcc
	v_lshlrev_b64 v[2:3], 2, v[2:3]
	v_mov_b32_e32 v1, s7
	v_add_co_u32_e32 v2, vcc, s6, v2
	s_sub_i32 s0, s8, s2
	v_addc_co_u32_e32 v3, vcc, v1, v3, vcc
.LBB69_18:                              ; =>This Inner Loop Header: Depth=1
	global_load_dword v1, v[2:3], off
	s_add_i32 s0, s0, -1
	s_cmp_lg_u32 s0, 0
	s_waitcnt vmcnt(0)
	v_div_scale_f32 v4, s[2:3], v0, v0, v1
	v_rcp_f32_e32 v5, v4
	v_div_scale_f32 v6, vcc, v1, v0, v1
	v_fma_f32 v7, -v4, v5, 1.0
	v_fmac_f32_e32 v5, v7, v5
	v_mul_f32_e32 v7, v6, v5
	v_fma_f32 v8, -v4, v7, v6
	v_fmac_f32_e32 v7, v8, v5
	v_fma_f32 v4, -v4, v7, v6
	v_div_fmas_f32 v4, v4, v5, v7
	v_div_fixup_f32 v1, v4, v0, v1
	global_store_dword v[2:3], v1, off
	v_add_co_u32_e32 v2, vcc, 4, v2
	v_addc_co_u32_e32 v3, vcc, 0, v3, vcc
	s_cbranch_scc1 .LBB69_18
.LBB69_19:
	s_endpgm
	.section	.rodata,"a",@progbits
	.p2align	6, 0x0
	.amdhsa_kernel _ZN4vllm3moe10topkGatingILi2ELi2ELi4ELi4ELi32Ei6__halfLNS0_11ScoringFuncE0EEEvPKT5_PKbPfiPT4_PiiiibPKf
		.amdhsa_group_segment_fixed_size 0
		.amdhsa_private_segment_fixed_size 0
		.amdhsa_kernarg_size 72
		.amdhsa_user_sgpr_count 6
		.amdhsa_user_sgpr_private_segment_buffer 1
		.amdhsa_user_sgpr_dispatch_ptr 0
		.amdhsa_user_sgpr_queue_ptr 0
		.amdhsa_user_sgpr_kernarg_segment_ptr 1
		.amdhsa_user_sgpr_dispatch_id 0
		.amdhsa_user_sgpr_flat_scratch_init 0
		.amdhsa_user_sgpr_kernarg_preload_length 0
		.amdhsa_user_sgpr_kernarg_preload_offset 0
		.amdhsa_user_sgpr_private_segment_size 0
		.amdhsa_uses_dynamic_stack 0
		.amdhsa_system_sgpr_private_segment_wavefront_offset 0
		.amdhsa_system_sgpr_workgroup_id_x 1
		.amdhsa_system_sgpr_workgroup_id_y 0
		.amdhsa_system_sgpr_workgroup_id_z 0
		.amdhsa_system_sgpr_workgroup_info 0
		.amdhsa_system_vgpr_workitem_id 1
		.amdhsa_next_free_vgpr 19
		.amdhsa_next_free_sgpr 24
		.amdhsa_accum_offset 20
		.amdhsa_reserve_vcc 1
		.amdhsa_reserve_flat_scratch 0
		.amdhsa_float_round_mode_32 0
		.amdhsa_float_round_mode_16_64 0
		.amdhsa_float_denorm_mode_32 3
		.amdhsa_float_denorm_mode_16_64 3
		.amdhsa_dx10_clamp 1
		.amdhsa_ieee_mode 1
		.amdhsa_fp16_overflow 0
		.amdhsa_tg_split 0
		.amdhsa_exception_fp_ieee_invalid_op 0
		.amdhsa_exception_fp_denorm_src 0
		.amdhsa_exception_fp_ieee_div_zero 0
		.amdhsa_exception_fp_ieee_overflow 0
		.amdhsa_exception_fp_ieee_underflow 0
		.amdhsa_exception_fp_ieee_inexact 0
		.amdhsa_exception_int_div_zero 0
	.end_amdhsa_kernel
	.section	.text._ZN4vllm3moe10topkGatingILi2ELi2ELi4ELi4ELi32Ei6__halfLNS0_11ScoringFuncE0EEEvPKT5_PKbPfiPT4_PiiiibPKf,"axG",@progbits,_ZN4vllm3moe10topkGatingILi2ELi2ELi4ELi4ELi32Ei6__halfLNS0_11ScoringFuncE0EEEvPKT5_PKbPfiPT4_PiiiibPKf,comdat
.Lfunc_end69:
	.size	_ZN4vllm3moe10topkGatingILi2ELi2ELi4ELi4ELi32Ei6__halfLNS0_11ScoringFuncE0EEEvPKT5_PKbPfiPT4_PiiiibPKf, .Lfunc_end69-_ZN4vllm3moe10topkGatingILi2ELi2ELi4ELi4ELi32Ei6__halfLNS0_11ScoringFuncE0EEEvPKT5_PKbPfiPT4_PiiiibPKf
                                        ; -- End function
	.section	.AMDGPU.csdata,"",@progbits
; Kernel info:
; codeLenInByte = 1348
; NumSgprs: 28
; NumVgprs: 19
; NumAgprs: 0
; TotalNumVgprs: 19
; ScratchSize: 0
; MemoryBound: 1
; FloatMode: 240
; IeeeMode: 1
; LDSByteSize: 0 bytes/workgroup (compile time only)
; SGPRBlocks: 3
; VGPRBlocks: 2
; NumSGPRsForWavesPerEU: 28
; NumVGPRsForWavesPerEU: 19
; AccumOffset: 20
; Occupancy: 8
; WaveLimiterHint : 0
; COMPUTE_PGM_RSRC2:SCRATCH_EN: 0
; COMPUTE_PGM_RSRC2:USER_SGPR: 6
; COMPUTE_PGM_RSRC2:TRAP_HANDLER: 0
; COMPUTE_PGM_RSRC2:TGID_X_EN: 1
; COMPUTE_PGM_RSRC2:TGID_Y_EN: 0
; COMPUTE_PGM_RSRC2:TGID_Z_EN: 0
; COMPUTE_PGM_RSRC2:TIDIG_COMP_CNT: 1
; COMPUTE_PGM_RSRC3_GFX90A:ACCUM_OFFSET: 4
; COMPUTE_PGM_RSRC3_GFX90A:TG_SPLIT: 0
	.section	.text._ZN4vllm3moe10topkGatingILi4ELi4ELi4ELi8ELi64Ei6__halfLNS0_11ScoringFuncE0EEEvPKT5_PKbPfiPT4_PiiiibPKf,"axG",@progbits,_ZN4vllm3moe10topkGatingILi4ELi4ELi4ELi8ELi64Ei6__halfLNS0_11ScoringFuncE0EEEvPKT5_PKbPfiPT4_PiiiibPKf,comdat
	.protected	_ZN4vllm3moe10topkGatingILi4ELi4ELi4ELi8ELi64Ei6__halfLNS0_11ScoringFuncE0EEEvPKT5_PKbPfiPT4_PiiiibPKf ; -- Begin function _ZN4vllm3moe10topkGatingILi4ELi4ELi4ELi8ELi64Ei6__halfLNS0_11ScoringFuncE0EEEvPKT5_PKbPfiPT4_PiiiibPKf
	.globl	_ZN4vllm3moe10topkGatingILi4ELi4ELi4ELi8ELi64Ei6__halfLNS0_11ScoringFuncE0EEEvPKT5_PKbPfiPT4_PiiiibPKf
	.p2align	8
	.type	_ZN4vllm3moe10topkGatingILi4ELi4ELi4ELi8ELi64Ei6__halfLNS0_11ScoringFuncE0EEEvPKT5_PKbPfiPT4_PiiiibPKf,@function
_ZN4vllm3moe10topkGatingILi4ELi4ELi4ELi8ELi64Ei6__halfLNS0_11ScoringFuncE0EEEvPKT5_PKbPfiPT4_PiiiibPKf: ; @_ZN4vllm3moe10topkGatingILi4ELi4ELi4ELi8ELi64Ei6__halfLNS0_11ScoringFuncE0EEEvPKT5_PKbPfiPT4_PiiiibPKf
; %bb.0:
	s_load_dword s16, s[4:5], 0x18
	v_bfe_u32 v1, v0, 10, 10
	s_lshl_b32 s0, s6, 8
	v_lshlrev_b32_e32 v1, 6, v1
	v_and_b32_e32 v0, 0x3ff, v0
	v_add3_u32 v14, v1, v0, s0
	s_waitcnt lgkmcnt(0)
	v_cmp_gt_i32_e32 vcc, s16, v14
	s_and_saveexec_b64 s[0:1], vcc
	s_cbranch_execz .LBB70_20
; %bb.1:
	s_load_dwordx4 s[0:3], s[4:5], 0x0
	s_load_dwordx2 s[6:7], s[4:5], 0x10
	s_mov_b64 s[8:9], -1
	s_mov_b64 s[12:13], -1
	s_waitcnt lgkmcnt(0)
	s_cmp_eq_u64 s[2:3], 0
	s_cbranch_scc1 .LBB70_3
; %bb.2:
	v_ashrrev_i32_e32 v1, 31, v14
	v_mov_b32_e32 v2, s3
	v_add_co_u32_e32 v0, vcc, s2, v14
	v_addc_co_u32_e32 v1, vcc, v2, v1, vcc
	global_load_ubyte v0, v[0:1], off
	s_waitcnt vmcnt(0)
	v_and_b32_e32 v0, 1, v0
	v_cmp_eq_u32_e32 vcc, 1, v0
	s_xor_b64 s[2:3], vcc, -1
	s_orn2_b64 s[12:13], s[2:3], exec
.LBB70_3:
	v_lshlrev_b32_e32 v0, 2, v14
	v_ashrrev_i32_e32 v1, 31, v0
	v_lshlrev_b64 v[0:1], 1, v[0:1]
	v_mov_b32_e32 v2, s1
	v_add_co_u32_e32 v0, vcc, s0, v0
	v_addc_co_u32_e32 v1, vcc, v2, v1, vcc
	global_load_dwordx2 v[0:1], v[0:1], off
	v_mov_b32_e32 v5, 0x7f800000
	s_mov_b32 s2, 0x3fb8aa3b
	s_mov_b32 s3, 0xc2ce8ed0
	;; [unrolled: 1-line block ×3, first 2 shown]
	s_load_dwordx2 s[0:1], s[4:5], 0x40
	v_mov_b32_e32 v6, 0x207
	s_waitcnt lgkmcnt(0)
	s_cmp_eq_u64 s[0:1], 0
	s_waitcnt vmcnt(0)
	v_cvt_f32_f16_e32 v2, v0
	v_cvt_f32_f16_sdwa v3, v0 dst_sel:DWORD dst_unused:UNUSED_PAD src0_sel:WORD_1
	v_cvt_f32_f16_e32 v0, v1
	v_cvt_f32_f16_sdwa v1, v1 dst_sel:DWORD dst_unused:UNUSED_PAD src0_sel:WORD_1
	v_max_f32_e32 v4, v2, v3
	v_max3_f32 v4, v4, v0, v1
	v_pk_add_f32 v[2:3], v[2:3], v[4:5] op_sel_hi:[1,0] neg_lo:[0,1] neg_hi:[0,1]
	v_pk_add_f32 v[0:1], v[0:1], v[4:5] op_sel_hi:[1,0] neg_lo:[0,1] neg_hi:[0,1]
	v_mul_f32_e32 v4, 0x3fb8aa3b, v3
	v_mul_f32_e32 v7, 0x3fb8aa3b, v2
	v_fma_f32 v10, v3, s2, -v4
	v_rndne_f32_e32 v11, v4
	v_mul_f32_e32 v8, 0x3fb8aa3b, v1
	v_fma_f32 v12, v2, s2, -v7
	v_rndne_f32_e32 v13, v7
	v_fmac_f32_e32 v10, 0x32a5705f, v3
	v_sub_f32_e32 v4, v4, v11
	v_mul_f32_e32 v9, 0x3fb8aa3b, v0
	v_fma_f32 v15, v1, s2, -v8
	v_rndne_f32_e32 v16, v8
	v_fmac_f32_e32 v12, 0x32a5705f, v2
	v_sub_f32_e32 v7, v7, v13
	v_add_f32_e32 v4, v4, v10
	v_fma_f32 v17, v0, s2, -v9
	v_rndne_f32_e32 v18, v9
	v_cvt_i32_f32_e32 v11, v11
	v_fmac_f32_e32 v15, 0x32a5705f, v1
	v_sub_f32_e32 v8, v8, v16
	v_add_f32_e32 v7, v7, v12
	v_exp_f32_e32 v4, v4
	v_cvt_i32_f32_e32 v13, v13
	v_fmac_f32_e32 v17, 0x32a5705f, v0
	v_sub_f32_e32 v9, v9, v18
	v_add_f32_e32 v8, v8, v15
	v_exp_f32_e32 v7, v7
	v_cvt_i32_f32_e32 v16, v16
	v_add_f32_e32 v9, v9, v17
	v_exp_f32_e32 v8, v8
	v_cvt_i32_f32_e32 v18, v18
	v_exp_f32_e32 v9, v9
	v_ldexp_f32 v4, v4, v11
	v_cmp_ngt_f32_e32 vcc, s3, v3
	v_ldexp_f32 v7, v7, v13
	v_cndmask_b32_e32 v4, 0, v4, vcc
	v_cmp_ngt_f32_e32 vcc, s3, v2
	v_ldexp_f32 v8, v8, v16
	v_cndmask_b32_e32 v7, 0, v7, vcc
	;; [unrolled: 3-line block ×3, first 2 shown]
	v_cmp_ngt_f32_e32 vcc, s3, v0
	v_cndmask_b32_e32 v9, 0, v9, vcc
	v_cmp_nlt_f32_e32 vcc, s10, v3
	v_cndmask_b32_e32 v3, v5, v4, vcc
	v_cmp_nlt_f32_e32 vcc, s10, v2
	;; [unrolled: 2-line block ×4, first 2 shown]
	v_cndmask_b32_e32 v0, v5, v9, vcc
	v_add_f32_e32 v4, v2, v3
	v_add_f32_e32 v4, v4, v0
	;; [unrolled: 1-line block ×3, first 2 shown]
	v_div_scale_f32 v5, s[2:3], v4, v4, 1.0
	v_rcp_f32_e32 v7, v5
	v_div_scale_f32 v8, vcc, 1.0, v4, 1.0
	v_fma_f32 v9, -v5, v7, 1.0
	v_fmac_f32_e32 v7, v9, v7
	v_mul_f32_e32 v9, v8, v7
	v_fma_f32 v10, -v5, v9, v8
	v_fmac_f32_e32 v9, v10, v7
	v_fma_f32 v5, -v5, v9, v8
	v_div_fmas_f32 v5, v5, v7, v9
	v_div_fixup_f32 v4, v5, v4, 1.0
	v_pk_mul_f32 v[2:3], v[4:5], v[2:3] op_sel_hi:[0,1]
	v_cmp_class_f32_e32 vcc, v3, v6
	v_pk_mul_f32 v[4:5], v[4:5], v[0:1] op_sel_hi:[0,1]
	v_cndmask_b32_e64 v1, v3, 0, vcc
	v_cmp_class_f32_e32 vcc, v2, v6
	v_cndmask_b32_e64 v0, v2, 0, vcc
	v_cmp_class_f32_e32 vcc, v5, v6
	v_cndmask_b32_e64 v3, v5, 0, vcc
	v_cmp_class_f32_e32 vcc, v4, v6
	v_cndmask_b32_e64 v2, v4, 0, vcc
	s_cbranch_scc1 .LBB70_10
; %bb.4:
	s_load_dwordx4 s[0:3], s[0:1], 0x0
	s_waitcnt lgkmcnt(0)
	v_pk_add_f32 v[4:5], s[0:1], v[0:1]
	v_pk_add_f32 v[6:7], s[2:3], v[2:3]
	s_cbranch_execnz .LBB70_6
.LBB70_5:
	v_pk_mov_b32 v[6:7], v[2:3], v[2:3] op_sel:[0,1]
	v_pk_mov_b32 v[4:5], v[0:1], v[0:1] op_sel:[0,1]
.LBB70_6:
	s_load_dwordx4 s[8:11], s[4:5], 0x30
	s_waitcnt lgkmcnt(0)
	s_bitcmp1_b32 s11, 0
	s_cselect_b64 vcc, -1, 0
	s_cmp_gt_i32 s8, 0
	s_cselect_b64 s[14:15], -1, 0
	s_cmp_lt_i32 s8, 1
	s_mov_b32 s11, 0
	s_cbranch_scc1 .LBB70_11
; %bb.7:
	s_load_dwordx4 s[20:23], s[4:5], 0x20
	v_mul_lo_u32 v8, v14, s8
	v_ashrrev_i32_e32 v9, 31, v8
	v_lshlrev_b64 v[12:13], 2, v[8:9]
	v_mov_b32_e32 v9, s7
	v_add_co_u32_e64 v8, s[0:1], s6, v12
	v_addc_co_u32_e64 v9, s[0:1], v9, v13, s[0:1]
	s_waitcnt lgkmcnt(0)
	v_mov_b32_e32 v11, s21
	v_add_co_u32_e64 v10, s[0:1], s20, v12
	v_addc_co_u32_e64 v11, s[0:1], v11, v13, s[0:1]
	v_mov_b32_e32 v15, s23
	v_add_co_u32_e64 v12, s[0:1], s22, v12
	v_addc_co_u32_e64 v13, s[0:1], v15, v13, s[0:1]
	v_mov_b32_e32 v15, 0
	v_mov_b32_e32 v16, 0xc61c4000
	;; [unrolled: 1-line block ×3, first 2 shown]
.LBB70_8:                               ; =>This Inner Loop Header: Depth=1
	v_cmp_gt_f32_e64 s[0:1], v5, v4
	v_cndmask_b32_e64 v18, v4, v5, s[0:1]
	v_cndmask_b32_e64 v19, v0, v1, s[0:1]
	;; [unrolled: 1-line block ×3, first 2 shown]
	v_cmp_gt_f32_e64 s[0:1], v6, v18
	v_cndmask_b32_e64 v18, v18, v6, s[0:1]
	v_cndmask_b32_e64 v19, v19, v2, s[0:1]
	;; [unrolled: 1-line block ×3, first 2 shown]
	v_cmp_gt_f32_e64 s[0:1], v7, v18
	v_cndmask_b32_e64 v18, v19, v3, s[0:1]
	v_cndmask_b32_e64 v19, v20, 3, s[0:1]
	v_cmp_le_i32_e64 s[0:1], s9, v19
	v_cmp_gt_i32_e64 s[2:3], s10, v19
	s_and_b64 s[0:1], s[0:1], s[2:3]
	v_subrev_u32_e32 v20, s9, v19
	s_and_b64 s[0:1], s[12:13], s[0:1]
	global_store_dword v[8:9], v18, off
	v_cndmask_b32_e64 v20, 4, v20, s[0:1]
	v_add_f32_e32 v18, v15, v18
	v_cmp_ne_u32_e64 s[0:1], 0, v19
	v_cndmask_b32_e32 v15, v15, v18, vcc
	v_cndmask_b32_e64 v18, v16, v4, s[0:1]
	v_cmp_ne_u32_e64 s[0:1], 1, v19
	global_store_dword v[10:11], v20, off
	global_store_dword v[12:13], v17, off
	s_add_i32 s11, s11, 1
	v_cndmask_b32_e64 v20, v16, v5, s[0:1]
	v_cmp_ne_u32_e64 s[0:1], 2, v19
	s_cmp_lt_i32 s11, s8
	v_cndmask_b32_e64 v21, v16, v6, s[0:1]
	v_cmp_ne_u32_e64 s[0:1], 3, v19
	v_cndmask_b32_e64 v19, v16, v7, s[0:1]
	s_cselect_b64 s[0:1], -1, 0
	v_cndmask_b32_e64 v7, v7, v19, s[0:1]
	v_cndmask_b32_e64 v6, v6, v21, s[0:1]
	;; [unrolled: 1-line block ×4, first 2 shown]
	v_add_co_u32_e64 v8, s[0:1], 4, v8
	v_addc_co_u32_e64 v9, s[0:1], 0, v9, s[0:1]
	v_add_co_u32_e64 v10, s[0:1], 4, v10
	v_addc_co_u32_e64 v11, s[0:1], 0, v11, s[0:1]
	v_add_co_u32_e64 v12, s[0:1], 4, v12
	v_add_u32_e32 v17, s16, v17
	s_cmp_eq_u32 s8, s11
	v_addc_co_u32_e64 v13, s[0:1], 0, v13, s[0:1]
	s_cbranch_scc0 .LBB70_8
; %bb.9:
	s_and_b64 vcc, exec, vcc
	s_cbranch_vccnz .LBB70_12
	s_branch .LBB70_20
.LBB70_10:
                                        ; implicit-def: $vgpr4_vgpr5_vgpr6_vgpr7
	s_andn2_b64 vcc, exec, s[8:9]
	s_cbranch_vccz .LBB70_5
	s_branch .LBB70_6
.LBB70_11:
	v_mov_b32_e32 v15, 0
	s_and_b64 vcc, exec, vcc
	s_cbranch_vccz .LBB70_20
.LBB70_12:
	s_andn2_b64 vcc, exec, s[14:15]
	s_cbranch_vccnz .LBB70_20
; %bb.13:
	v_cmp_lt_f32_e32 vcc, 0, v15
	s_mov_b32 s2, 0
	v_cndmask_b32_e32 v0, 1.0, v15, vcc
	v_mul_lo_u32 v4, v14, s8
	s_cmp_eq_u32 s8, 1
	s_mov_b64 s[0:1], -1
	s_cbranch_scc1 .LBB70_17
; %bb.14:
	s_and_b32 s2, s8, 0x7ffffffe
	v_mov_b32_e32 v1, v0
	v_mov_b32_e32 v5, s7
	s_mov_b32 s3, s2
	v_mov_b32_e32 v2, v4
.LBB70_15:                              ; =>This Inner Loop Header: Depth=1
	v_ashrrev_i32_e32 v3, 31, v2
	v_lshlrev_b64 v[6:7], 2, v[2:3]
	v_add_co_u32_e32 v6, vcc, s6, v6
	v_addc_co_u32_e32 v7, vcc, v5, v7, vcc
	global_load_dwordx2 v[8:9], v[6:7], off
	s_add_i32 s3, s3, -2
	s_cmp_lg_u32 s3, 0
	v_add_u32_e32 v2, 2, v2
	s_waitcnt vmcnt(0)
	v_div_scale_f32 v3, s[0:1], v1, v1, v9
	v_div_scale_f32 v11, s[0:1], v0, v0, v8
	v_rcp_f32_e32 v12, v3
	v_rcp_f32_e32 v13, v11
	v_div_scale_f32 v10, vcc, v9, v1, v9
	v_fma_f32 v15, -v3, v12, 1.0
	v_fma_f32 v16, -v11, v13, 1.0
	v_fmac_f32_e32 v12, v15, v12
	v_div_scale_f32 v14, s[0:1], v8, v0, v8
	v_fmac_f32_e32 v13, v16, v13
	v_mul_f32_e32 v15, v10, v12
	v_mul_f32_e32 v16, v14, v13
	v_fma_f32 v17, -v3, v15, v10
	v_fma_f32 v18, -v11, v16, v14
	v_fmac_f32_e32 v15, v17, v12
	v_fmac_f32_e32 v16, v18, v13
	v_fma_f32 v3, -v3, v15, v10
	v_fma_f32 v10, -v11, v16, v14
	v_div_fmas_f32 v3, v3, v12, v15
	s_mov_b64 vcc, s[0:1]
	v_div_fixup_f32 v9, v3, v1, v9
	v_div_fmas_f32 v3, v10, v13, v16
	v_div_fixup_f32 v8, v3, v0, v8
	global_store_dwordx2 v[6:7], v[8:9], off
	s_cbranch_scc1 .LBB70_15
; %bb.16:
	s_cmp_lg_u32 s2, s8
	s_cselect_b64 s[0:1], -1, 0
.LBB70_17:
	s_and_b64 vcc, exec, s[0:1]
	s_cbranch_vccz .LBB70_20
; %bb.18:
	v_ashrrev_i32_e32 v1, 31, v4
	v_add_co_u32_e32 v2, vcc, s2, v4
	v_addc_co_u32_e32 v3, vcc, 0, v1, vcc
	v_lshlrev_b64 v[2:3], 2, v[2:3]
	v_mov_b32_e32 v1, s7
	v_add_co_u32_e32 v2, vcc, s6, v2
	s_sub_i32 s0, s8, s2
	v_addc_co_u32_e32 v3, vcc, v1, v3, vcc
.LBB70_19:                              ; =>This Inner Loop Header: Depth=1
	global_load_dword v1, v[2:3], off
	s_add_i32 s0, s0, -1
	s_cmp_lg_u32 s0, 0
	s_waitcnt vmcnt(0)
	v_div_scale_f32 v4, s[2:3], v0, v0, v1
	v_rcp_f32_e32 v5, v4
	v_div_scale_f32 v6, vcc, v1, v0, v1
	v_fma_f32 v7, -v4, v5, 1.0
	v_fmac_f32_e32 v5, v7, v5
	v_mul_f32_e32 v7, v6, v5
	v_fma_f32 v8, -v4, v7, v6
	v_fmac_f32_e32 v7, v8, v5
	v_fma_f32 v4, -v4, v7, v6
	v_div_fmas_f32 v4, v4, v5, v7
	v_div_fixup_f32 v1, v4, v0, v1
	global_store_dword v[2:3], v1, off
	v_add_co_u32_e32 v2, vcc, 4, v2
	v_addc_co_u32_e32 v3, vcc, 0, v3, vcc
	s_cbranch_scc1 .LBB70_19
.LBB70_20:
	s_endpgm
	.section	.rodata,"a",@progbits
	.p2align	6, 0x0
	.amdhsa_kernel _ZN4vllm3moe10topkGatingILi4ELi4ELi4ELi8ELi64Ei6__halfLNS0_11ScoringFuncE0EEEvPKT5_PKbPfiPT4_PiiiibPKf
		.amdhsa_group_segment_fixed_size 0
		.amdhsa_private_segment_fixed_size 0
		.amdhsa_kernarg_size 72
		.amdhsa_user_sgpr_count 6
		.amdhsa_user_sgpr_private_segment_buffer 1
		.amdhsa_user_sgpr_dispatch_ptr 0
		.amdhsa_user_sgpr_queue_ptr 0
		.amdhsa_user_sgpr_kernarg_segment_ptr 1
		.amdhsa_user_sgpr_dispatch_id 0
		.amdhsa_user_sgpr_flat_scratch_init 0
		.amdhsa_user_sgpr_kernarg_preload_length 0
		.amdhsa_user_sgpr_kernarg_preload_offset 0
		.amdhsa_user_sgpr_private_segment_size 0
		.amdhsa_uses_dynamic_stack 0
		.amdhsa_system_sgpr_private_segment_wavefront_offset 0
		.amdhsa_system_sgpr_workgroup_id_x 1
		.amdhsa_system_sgpr_workgroup_id_y 0
		.amdhsa_system_sgpr_workgroup_id_z 0
		.amdhsa_system_sgpr_workgroup_info 0
		.amdhsa_system_vgpr_workitem_id 1
		.amdhsa_next_free_vgpr 22
		.amdhsa_next_free_sgpr 24
		.amdhsa_accum_offset 24
		.amdhsa_reserve_vcc 1
		.amdhsa_reserve_flat_scratch 0
		.amdhsa_float_round_mode_32 0
		.amdhsa_float_round_mode_16_64 0
		.amdhsa_float_denorm_mode_32 3
		.amdhsa_float_denorm_mode_16_64 3
		.amdhsa_dx10_clamp 1
		.amdhsa_ieee_mode 1
		.amdhsa_fp16_overflow 0
		.amdhsa_tg_split 0
		.amdhsa_exception_fp_ieee_invalid_op 0
		.amdhsa_exception_fp_denorm_src 0
		.amdhsa_exception_fp_ieee_div_zero 0
		.amdhsa_exception_fp_ieee_overflow 0
		.amdhsa_exception_fp_ieee_underflow 0
		.amdhsa_exception_fp_ieee_inexact 0
		.amdhsa_exception_int_div_zero 0
	.end_amdhsa_kernel
	.section	.text._ZN4vllm3moe10topkGatingILi4ELi4ELi4ELi8ELi64Ei6__halfLNS0_11ScoringFuncE0EEEvPKT5_PKbPfiPT4_PiiiibPKf,"axG",@progbits,_ZN4vllm3moe10topkGatingILi4ELi4ELi4ELi8ELi64Ei6__halfLNS0_11ScoringFuncE0EEEvPKT5_PKbPfiPT4_PiiiibPKf,comdat
.Lfunc_end70:
	.size	_ZN4vllm3moe10topkGatingILi4ELi4ELi4ELi8ELi64Ei6__halfLNS0_11ScoringFuncE0EEEvPKT5_PKbPfiPT4_PiiiibPKf, .Lfunc_end70-_ZN4vllm3moe10topkGatingILi4ELi4ELi4ELi8ELi64Ei6__halfLNS0_11ScoringFuncE0EEEvPKT5_PKbPfiPT4_PiiiibPKf
                                        ; -- End function
	.section	.AMDGPU.csdata,"",@progbits
; Kernel info:
; codeLenInByte = 1700
; NumSgprs: 28
; NumVgprs: 22
; NumAgprs: 0
; TotalNumVgprs: 22
; ScratchSize: 0
; MemoryBound: 1
; FloatMode: 240
; IeeeMode: 1
; LDSByteSize: 0 bytes/workgroup (compile time only)
; SGPRBlocks: 3
; VGPRBlocks: 2
; NumSGPRsForWavesPerEU: 28
; NumVGPRsForWavesPerEU: 22
; AccumOffset: 24
; Occupancy: 8
; WaveLimiterHint : 0
; COMPUTE_PGM_RSRC2:SCRATCH_EN: 0
; COMPUTE_PGM_RSRC2:USER_SGPR: 6
; COMPUTE_PGM_RSRC2:TRAP_HANDLER: 0
; COMPUTE_PGM_RSRC2:TGID_X_EN: 1
; COMPUTE_PGM_RSRC2:TGID_Y_EN: 0
; COMPUTE_PGM_RSRC2:TGID_Z_EN: 0
; COMPUTE_PGM_RSRC2:TIDIG_COMP_CNT: 1
; COMPUTE_PGM_RSRC3_GFX90A:ACCUM_OFFSET: 5
; COMPUTE_PGM_RSRC3_GFX90A:TG_SPLIT: 0
	.section	.text._ZN4vllm3moe10topkGatingILi4ELi4ELi4ELi8ELi32Ei6__halfLNS0_11ScoringFuncE0EEEvPKT5_PKbPfiPT4_PiiiibPKf,"axG",@progbits,_ZN4vllm3moe10topkGatingILi4ELi4ELi4ELi8ELi32Ei6__halfLNS0_11ScoringFuncE0EEEvPKT5_PKbPfiPT4_PiiiibPKf,comdat
	.protected	_ZN4vllm3moe10topkGatingILi4ELi4ELi4ELi8ELi32Ei6__halfLNS0_11ScoringFuncE0EEEvPKT5_PKbPfiPT4_PiiiibPKf ; -- Begin function _ZN4vllm3moe10topkGatingILi4ELi4ELi4ELi8ELi32Ei6__halfLNS0_11ScoringFuncE0EEEvPKT5_PKbPfiPT4_PiiiibPKf
	.globl	_ZN4vllm3moe10topkGatingILi4ELi4ELi4ELi8ELi32Ei6__halfLNS0_11ScoringFuncE0EEEvPKT5_PKbPfiPT4_PiiiibPKf
	.p2align	8
	.type	_ZN4vllm3moe10topkGatingILi4ELi4ELi4ELi8ELi32Ei6__halfLNS0_11ScoringFuncE0EEEvPKT5_PKbPfiPT4_PiiiibPKf,@function
_ZN4vllm3moe10topkGatingILi4ELi4ELi4ELi8ELi32Ei6__halfLNS0_11ScoringFuncE0EEEvPKT5_PKbPfiPT4_PiiiibPKf: ; @_ZN4vllm3moe10topkGatingILi4ELi4ELi4ELi8ELi32Ei6__halfLNS0_11ScoringFuncE0EEEvPKT5_PKbPfiPT4_PiiiibPKf
; %bb.0:
	s_load_dword s16, s[4:5], 0x18
	v_bfe_u32 v1, v0, 10, 10
	s_lshl_b32 s0, s6, 7
	v_lshlrev_b32_e32 v1, 5, v1
	v_and_b32_e32 v0, 0x3ff, v0
	v_add3_u32 v14, v1, v0, s0
	s_waitcnt lgkmcnt(0)
	v_cmp_gt_i32_e32 vcc, s16, v14
	s_and_saveexec_b64 s[0:1], vcc
	s_cbranch_execz .LBB71_20
; %bb.1:
	s_load_dwordx4 s[0:3], s[4:5], 0x0
	s_load_dwordx2 s[6:7], s[4:5], 0x10
	s_mov_b64 s[8:9], -1
	s_mov_b64 s[12:13], -1
	s_waitcnt lgkmcnt(0)
	s_cmp_eq_u64 s[2:3], 0
	s_cbranch_scc1 .LBB71_3
; %bb.2:
	v_ashrrev_i32_e32 v1, 31, v14
	v_mov_b32_e32 v2, s3
	v_add_co_u32_e32 v0, vcc, s2, v14
	v_addc_co_u32_e32 v1, vcc, v2, v1, vcc
	global_load_ubyte v0, v[0:1], off
	s_waitcnt vmcnt(0)
	v_and_b32_e32 v0, 1, v0
	v_cmp_eq_u32_e32 vcc, 1, v0
	s_xor_b64 s[2:3], vcc, -1
	s_orn2_b64 s[12:13], s[2:3], exec
.LBB71_3:
	v_lshlrev_b32_e32 v0, 2, v14
	v_ashrrev_i32_e32 v1, 31, v0
	v_lshlrev_b64 v[0:1], 1, v[0:1]
	v_mov_b32_e32 v2, s1
	v_add_co_u32_e32 v0, vcc, s0, v0
	v_addc_co_u32_e32 v1, vcc, v2, v1, vcc
	global_load_dwordx2 v[0:1], v[0:1], off
	v_mov_b32_e32 v5, 0x7f800000
	s_mov_b32 s2, 0x3fb8aa3b
	s_mov_b32 s3, 0xc2ce8ed0
	;; [unrolled: 1-line block ×3, first 2 shown]
	s_load_dwordx2 s[0:1], s[4:5], 0x40
	v_mov_b32_e32 v6, 0x207
	s_waitcnt lgkmcnt(0)
	s_cmp_eq_u64 s[0:1], 0
	s_waitcnt vmcnt(0)
	v_cvt_f32_f16_e32 v2, v0
	v_cvt_f32_f16_sdwa v3, v0 dst_sel:DWORD dst_unused:UNUSED_PAD src0_sel:WORD_1
	v_cvt_f32_f16_e32 v0, v1
	v_cvt_f32_f16_sdwa v1, v1 dst_sel:DWORD dst_unused:UNUSED_PAD src0_sel:WORD_1
	v_max_f32_e32 v4, v2, v3
	v_max3_f32 v4, v4, v0, v1
	v_pk_add_f32 v[2:3], v[2:3], v[4:5] op_sel_hi:[1,0] neg_lo:[0,1] neg_hi:[0,1]
	v_pk_add_f32 v[0:1], v[0:1], v[4:5] op_sel_hi:[1,0] neg_lo:[0,1] neg_hi:[0,1]
	v_mul_f32_e32 v4, 0x3fb8aa3b, v3
	v_mul_f32_e32 v7, 0x3fb8aa3b, v2
	v_fma_f32 v10, v3, s2, -v4
	v_rndne_f32_e32 v11, v4
	v_mul_f32_e32 v8, 0x3fb8aa3b, v1
	v_fma_f32 v12, v2, s2, -v7
	v_rndne_f32_e32 v13, v7
	v_fmac_f32_e32 v10, 0x32a5705f, v3
	v_sub_f32_e32 v4, v4, v11
	v_mul_f32_e32 v9, 0x3fb8aa3b, v0
	v_fma_f32 v15, v1, s2, -v8
	v_rndne_f32_e32 v16, v8
	v_fmac_f32_e32 v12, 0x32a5705f, v2
	v_sub_f32_e32 v7, v7, v13
	v_add_f32_e32 v4, v4, v10
	v_fma_f32 v17, v0, s2, -v9
	v_rndne_f32_e32 v18, v9
	v_cvt_i32_f32_e32 v11, v11
	v_fmac_f32_e32 v15, 0x32a5705f, v1
	v_sub_f32_e32 v8, v8, v16
	v_add_f32_e32 v7, v7, v12
	v_exp_f32_e32 v4, v4
	v_cvt_i32_f32_e32 v13, v13
	v_fmac_f32_e32 v17, 0x32a5705f, v0
	v_sub_f32_e32 v9, v9, v18
	v_add_f32_e32 v8, v8, v15
	v_exp_f32_e32 v7, v7
	v_cvt_i32_f32_e32 v16, v16
	v_add_f32_e32 v9, v9, v17
	v_exp_f32_e32 v8, v8
	v_cvt_i32_f32_e32 v18, v18
	v_exp_f32_e32 v9, v9
	v_ldexp_f32 v4, v4, v11
	v_cmp_ngt_f32_e32 vcc, s3, v3
	v_ldexp_f32 v7, v7, v13
	v_cndmask_b32_e32 v4, 0, v4, vcc
	v_cmp_ngt_f32_e32 vcc, s3, v2
	v_ldexp_f32 v8, v8, v16
	v_cndmask_b32_e32 v7, 0, v7, vcc
	;; [unrolled: 3-line block ×3, first 2 shown]
	v_cmp_ngt_f32_e32 vcc, s3, v0
	v_cndmask_b32_e32 v9, 0, v9, vcc
	v_cmp_nlt_f32_e32 vcc, s10, v3
	v_cndmask_b32_e32 v3, v5, v4, vcc
	v_cmp_nlt_f32_e32 vcc, s10, v2
	;; [unrolled: 2-line block ×4, first 2 shown]
	v_cndmask_b32_e32 v0, v5, v9, vcc
	v_add_f32_e32 v4, v2, v3
	v_add_f32_e32 v4, v4, v0
	;; [unrolled: 1-line block ×3, first 2 shown]
	v_div_scale_f32 v5, s[2:3], v4, v4, 1.0
	v_rcp_f32_e32 v7, v5
	v_div_scale_f32 v8, vcc, 1.0, v4, 1.0
	v_fma_f32 v9, -v5, v7, 1.0
	v_fmac_f32_e32 v7, v9, v7
	v_mul_f32_e32 v9, v8, v7
	v_fma_f32 v10, -v5, v9, v8
	v_fmac_f32_e32 v9, v10, v7
	v_fma_f32 v5, -v5, v9, v8
	v_div_fmas_f32 v5, v5, v7, v9
	v_div_fixup_f32 v4, v5, v4, 1.0
	v_pk_mul_f32 v[2:3], v[4:5], v[2:3] op_sel_hi:[0,1]
	v_cmp_class_f32_e32 vcc, v3, v6
	v_pk_mul_f32 v[4:5], v[4:5], v[0:1] op_sel_hi:[0,1]
	v_cndmask_b32_e64 v1, v3, 0, vcc
	v_cmp_class_f32_e32 vcc, v2, v6
	v_cndmask_b32_e64 v0, v2, 0, vcc
	v_cmp_class_f32_e32 vcc, v5, v6
	;; [unrolled: 2-line block ×3, first 2 shown]
	v_cndmask_b32_e64 v2, v4, 0, vcc
	s_cbranch_scc1 .LBB71_10
; %bb.4:
	s_load_dwordx4 s[0:3], s[0:1], 0x0
	s_waitcnt lgkmcnt(0)
	v_pk_add_f32 v[4:5], s[0:1], v[0:1]
	v_pk_add_f32 v[6:7], s[2:3], v[2:3]
	s_cbranch_execnz .LBB71_6
.LBB71_5:
	v_pk_mov_b32 v[6:7], v[2:3], v[2:3] op_sel:[0,1]
	v_pk_mov_b32 v[4:5], v[0:1], v[0:1] op_sel:[0,1]
.LBB71_6:
	s_load_dwordx4 s[8:11], s[4:5], 0x30
	s_waitcnt lgkmcnt(0)
	s_bitcmp1_b32 s11, 0
	s_cselect_b64 vcc, -1, 0
	s_cmp_gt_i32 s8, 0
	s_cselect_b64 s[14:15], -1, 0
	s_cmp_lt_i32 s8, 1
	s_mov_b32 s11, 0
	s_cbranch_scc1 .LBB71_11
; %bb.7:
	s_load_dwordx4 s[20:23], s[4:5], 0x20
	v_mul_lo_u32 v8, v14, s8
	v_ashrrev_i32_e32 v9, 31, v8
	v_lshlrev_b64 v[12:13], 2, v[8:9]
	v_mov_b32_e32 v9, s7
	v_add_co_u32_e64 v8, s[0:1], s6, v12
	v_addc_co_u32_e64 v9, s[0:1], v9, v13, s[0:1]
	s_waitcnt lgkmcnt(0)
	v_mov_b32_e32 v11, s21
	v_add_co_u32_e64 v10, s[0:1], s20, v12
	v_addc_co_u32_e64 v11, s[0:1], v11, v13, s[0:1]
	v_mov_b32_e32 v15, s23
	v_add_co_u32_e64 v12, s[0:1], s22, v12
	v_addc_co_u32_e64 v13, s[0:1], v15, v13, s[0:1]
	v_mov_b32_e32 v15, 0
	v_mov_b32_e32 v16, 0xc61c4000
	;; [unrolled: 1-line block ×3, first 2 shown]
.LBB71_8:                               ; =>This Inner Loop Header: Depth=1
	v_cmp_gt_f32_e64 s[0:1], v5, v4
	v_cndmask_b32_e64 v18, v4, v5, s[0:1]
	v_cndmask_b32_e64 v19, v0, v1, s[0:1]
	;; [unrolled: 1-line block ×3, first 2 shown]
	v_cmp_gt_f32_e64 s[0:1], v6, v18
	v_cndmask_b32_e64 v18, v18, v6, s[0:1]
	v_cndmask_b32_e64 v19, v19, v2, s[0:1]
	v_cndmask_b32_e64 v20, v20, 2, s[0:1]
	v_cmp_gt_f32_e64 s[0:1], v7, v18
	v_cndmask_b32_e64 v18, v19, v3, s[0:1]
	v_cndmask_b32_e64 v19, v20, 3, s[0:1]
	v_cmp_le_i32_e64 s[0:1], s9, v19
	v_cmp_gt_i32_e64 s[2:3], s10, v19
	s_and_b64 s[0:1], s[0:1], s[2:3]
	v_subrev_u32_e32 v20, s9, v19
	s_and_b64 s[0:1], s[12:13], s[0:1]
	global_store_dword v[8:9], v18, off
	v_cndmask_b32_e64 v20, 4, v20, s[0:1]
	v_add_f32_e32 v18, v15, v18
	v_cmp_ne_u32_e64 s[0:1], 0, v19
	v_cndmask_b32_e32 v15, v15, v18, vcc
	v_cndmask_b32_e64 v18, v16, v4, s[0:1]
	v_cmp_ne_u32_e64 s[0:1], 1, v19
	global_store_dword v[10:11], v20, off
	global_store_dword v[12:13], v17, off
	s_add_i32 s11, s11, 1
	v_cndmask_b32_e64 v20, v16, v5, s[0:1]
	v_cmp_ne_u32_e64 s[0:1], 2, v19
	s_cmp_lt_i32 s11, s8
	v_cndmask_b32_e64 v21, v16, v6, s[0:1]
	v_cmp_ne_u32_e64 s[0:1], 3, v19
	v_cndmask_b32_e64 v19, v16, v7, s[0:1]
	s_cselect_b64 s[0:1], -1, 0
	v_cndmask_b32_e64 v7, v7, v19, s[0:1]
	v_cndmask_b32_e64 v6, v6, v21, s[0:1]
	;; [unrolled: 1-line block ×4, first 2 shown]
	v_add_co_u32_e64 v8, s[0:1], 4, v8
	v_addc_co_u32_e64 v9, s[0:1], 0, v9, s[0:1]
	v_add_co_u32_e64 v10, s[0:1], 4, v10
	v_addc_co_u32_e64 v11, s[0:1], 0, v11, s[0:1]
	v_add_co_u32_e64 v12, s[0:1], 4, v12
	v_add_u32_e32 v17, s16, v17
	s_cmp_eq_u32 s8, s11
	v_addc_co_u32_e64 v13, s[0:1], 0, v13, s[0:1]
	s_cbranch_scc0 .LBB71_8
; %bb.9:
	s_and_b64 vcc, exec, vcc
	s_cbranch_vccnz .LBB71_12
	s_branch .LBB71_20
.LBB71_10:
                                        ; implicit-def: $vgpr4_vgpr5_vgpr6_vgpr7
	s_andn2_b64 vcc, exec, s[8:9]
	s_cbranch_vccz .LBB71_5
	s_branch .LBB71_6
.LBB71_11:
	v_mov_b32_e32 v15, 0
	s_and_b64 vcc, exec, vcc
	s_cbranch_vccz .LBB71_20
.LBB71_12:
	s_andn2_b64 vcc, exec, s[14:15]
	s_cbranch_vccnz .LBB71_20
; %bb.13:
	v_cmp_lt_f32_e32 vcc, 0, v15
	s_mov_b32 s2, 0
	v_cndmask_b32_e32 v0, 1.0, v15, vcc
	v_mul_lo_u32 v4, v14, s8
	s_cmp_eq_u32 s8, 1
	s_mov_b64 s[0:1], -1
	s_cbranch_scc1 .LBB71_17
; %bb.14:
	s_and_b32 s2, s8, 0x7ffffffe
	v_mov_b32_e32 v1, v0
	v_mov_b32_e32 v5, s7
	s_mov_b32 s3, s2
	v_mov_b32_e32 v2, v4
.LBB71_15:                              ; =>This Inner Loop Header: Depth=1
	v_ashrrev_i32_e32 v3, 31, v2
	v_lshlrev_b64 v[6:7], 2, v[2:3]
	v_add_co_u32_e32 v6, vcc, s6, v6
	v_addc_co_u32_e32 v7, vcc, v5, v7, vcc
	global_load_dwordx2 v[8:9], v[6:7], off
	s_add_i32 s3, s3, -2
	s_cmp_lg_u32 s3, 0
	v_add_u32_e32 v2, 2, v2
	s_waitcnt vmcnt(0)
	v_div_scale_f32 v3, s[0:1], v1, v1, v9
	v_div_scale_f32 v11, s[0:1], v0, v0, v8
	v_rcp_f32_e32 v12, v3
	v_rcp_f32_e32 v13, v11
	v_div_scale_f32 v10, vcc, v9, v1, v9
	v_fma_f32 v15, -v3, v12, 1.0
	v_fma_f32 v16, -v11, v13, 1.0
	v_fmac_f32_e32 v12, v15, v12
	v_div_scale_f32 v14, s[0:1], v8, v0, v8
	v_fmac_f32_e32 v13, v16, v13
	v_mul_f32_e32 v15, v10, v12
	v_mul_f32_e32 v16, v14, v13
	v_fma_f32 v17, -v3, v15, v10
	v_fma_f32 v18, -v11, v16, v14
	v_fmac_f32_e32 v15, v17, v12
	v_fmac_f32_e32 v16, v18, v13
	v_fma_f32 v3, -v3, v15, v10
	v_fma_f32 v10, -v11, v16, v14
	v_div_fmas_f32 v3, v3, v12, v15
	s_mov_b64 vcc, s[0:1]
	v_div_fixup_f32 v9, v3, v1, v9
	v_div_fmas_f32 v3, v10, v13, v16
	v_div_fixup_f32 v8, v3, v0, v8
	global_store_dwordx2 v[6:7], v[8:9], off
	s_cbranch_scc1 .LBB71_15
; %bb.16:
	s_cmp_lg_u32 s2, s8
	s_cselect_b64 s[0:1], -1, 0
.LBB71_17:
	s_and_b64 vcc, exec, s[0:1]
	s_cbranch_vccz .LBB71_20
; %bb.18:
	v_ashrrev_i32_e32 v1, 31, v4
	v_add_co_u32_e32 v2, vcc, s2, v4
	v_addc_co_u32_e32 v3, vcc, 0, v1, vcc
	v_lshlrev_b64 v[2:3], 2, v[2:3]
	v_mov_b32_e32 v1, s7
	v_add_co_u32_e32 v2, vcc, s6, v2
	s_sub_i32 s0, s8, s2
	v_addc_co_u32_e32 v3, vcc, v1, v3, vcc
.LBB71_19:                              ; =>This Inner Loop Header: Depth=1
	global_load_dword v1, v[2:3], off
	s_add_i32 s0, s0, -1
	s_cmp_lg_u32 s0, 0
	s_waitcnt vmcnt(0)
	v_div_scale_f32 v4, s[2:3], v0, v0, v1
	v_rcp_f32_e32 v5, v4
	v_div_scale_f32 v6, vcc, v1, v0, v1
	v_fma_f32 v7, -v4, v5, 1.0
	v_fmac_f32_e32 v5, v7, v5
	v_mul_f32_e32 v7, v6, v5
	v_fma_f32 v8, -v4, v7, v6
	v_fmac_f32_e32 v7, v8, v5
	v_fma_f32 v4, -v4, v7, v6
	v_div_fmas_f32 v4, v4, v5, v7
	v_div_fixup_f32 v1, v4, v0, v1
	global_store_dword v[2:3], v1, off
	v_add_co_u32_e32 v2, vcc, 4, v2
	v_addc_co_u32_e32 v3, vcc, 0, v3, vcc
	s_cbranch_scc1 .LBB71_19
.LBB71_20:
	s_endpgm
	.section	.rodata,"a",@progbits
	.p2align	6, 0x0
	.amdhsa_kernel _ZN4vllm3moe10topkGatingILi4ELi4ELi4ELi8ELi32Ei6__halfLNS0_11ScoringFuncE0EEEvPKT5_PKbPfiPT4_PiiiibPKf
		.amdhsa_group_segment_fixed_size 0
		.amdhsa_private_segment_fixed_size 0
		.amdhsa_kernarg_size 72
		.amdhsa_user_sgpr_count 6
		.amdhsa_user_sgpr_private_segment_buffer 1
		.amdhsa_user_sgpr_dispatch_ptr 0
		.amdhsa_user_sgpr_queue_ptr 0
		.amdhsa_user_sgpr_kernarg_segment_ptr 1
		.amdhsa_user_sgpr_dispatch_id 0
		.amdhsa_user_sgpr_flat_scratch_init 0
		.amdhsa_user_sgpr_kernarg_preload_length 0
		.amdhsa_user_sgpr_kernarg_preload_offset 0
		.amdhsa_user_sgpr_private_segment_size 0
		.amdhsa_uses_dynamic_stack 0
		.amdhsa_system_sgpr_private_segment_wavefront_offset 0
		.amdhsa_system_sgpr_workgroup_id_x 1
		.amdhsa_system_sgpr_workgroup_id_y 0
		.amdhsa_system_sgpr_workgroup_id_z 0
		.amdhsa_system_sgpr_workgroup_info 0
		.amdhsa_system_vgpr_workitem_id 1
		.amdhsa_next_free_vgpr 22
		.amdhsa_next_free_sgpr 24
		.amdhsa_accum_offset 24
		.amdhsa_reserve_vcc 1
		.amdhsa_reserve_flat_scratch 0
		.amdhsa_float_round_mode_32 0
		.amdhsa_float_round_mode_16_64 0
		.amdhsa_float_denorm_mode_32 3
		.amdhsa_float_denorm_mode_16_64 3
		.amdhsa_dx10_clamp 1
		.amdhsa_ieee_mode 1
		.amdhsa_fp16_overflow 0
		.amdhsa_tg_split 0
		.amdhsa_exception_fp_ieee_invalid_op 0
		.amdhsa_exception_fp_denorm_src 0
		.amdhsa_exception_fp_ieee_div_zero 0
		.amdhsa_exception_fp_ieee_overflow 0
		.amdhsa_exception_fp_ieee_underflow 0
		.amdhsa_exception_fp_ieee_inexact 0
		.amdhsa_exception_int_div_zero 0
	.end_amdhsa_kernel
	.section	.text._ZN4vllm3moe10topkGatingILi4ELi4ELi4ELi8ELi32Ei6__halfLNS0_11ScoringFuncE0EEEvPKT5_PKbPfiPT4_PiiiibPKf,"axG",@progbits,_ZN4vllm3moe10topkGatingILi4ELi4ELi4ELi8ELi32Ei6__halfLNS0_11ScoringFuncE0EEEvPKT5_PKbPfiPT4_PiiiibPKf,comdat
.Lfunc_end71:
	.size	_ZN4vllm3moe10topkGatingILi4ELi4ELi4ELi8ELi32Ei6__halfLNS0_11ScoringFuncE0EEEvPKT5_PKbPfiPT4_PiiiibPKf, .Lfunc_end71-_ZN4vllm3moe10topkGatingILi4ELi4ELi4ELi8ELi32Ei6__halfLNS0_11ScoringFuncE0EEEvPKT5_PKbPfiPT4_PiiiibPKf
                                        ; -- End function
	.section	.AMDGPU.csdata,"",@progbits
; Kernel info:
; codeLenInByte = 1700
; NumSgprs: 28
; NumVgprs: 22
; NumAgprs: 0
; TotalNumVgprs: 22
; ScratchSize: 0
; MemoryBound: 1
; FloatMode: 240
; IeeeMode: 1
; LDSByteSize: 0 bytes/workgroup (compile time only)
; SGPRBlocks: 3
; VGPRBlocks: 2
; NumSGPRsForWavesPerEU: 28
; NumVGPRsForWavesPerEU: 22
; AccumOffset: 24
; Occupancy: 8
; WaveLimiterHint : 0
; COMPUTE_PGM_RSRC2:SCRATCH_EN: 0
; COMPUTE_PGM_RSRC2:USER_SGPR: 6
; COMPUTE_PGM_RSRC2:TRAP_HANDLER: 0
; COMPUTE_PGM_RSRC2:TGID_X_EN: 1
; COMPUTE_PGM_RSRC2:TGID_Y_EN: 0
; COMPUTE_PGM_RSRC2:TGID_Z_EN: 0
; COMPUTE_PGM_RSRC2:TIDIG_COMP_CNT: 1
; COMPUTE_PGM_RSRC3_GFX90A:ACCUM_OFFSET: 5
; COMPUTE_PGM_RSRC3_GFX90A:TG_SPLIT: 0
	.section	.text._ZN4vllm3moe10topkGatingILi8ELi8ELi4ELi16ELi64Ei6__halfLNS0_11ScoringFuncE0EEEvPKT5_PKbPfiPT4_PiiiibPKf,"axG",@progbits,_ZN4vllm3moe10topkGatingILi8ELi8ELi4ELi16ELi64Ei6__halfLNS0_11ScoringFuncE0EEEvPKT5_PKbPfiPT4_PiiiibPKf,comdat
	.protected	_ZN4vllm3moe10topkGatingILi8ELi8ELi4ELi16ELi64Ei6__halfLNS0_11ScoringFuncE0EEEvPKT5_PKbPfiPT4_PiiiibPKf ; -- Begin function _ZN4vllm3moe10topkGatingILi8ELi8ELi4ELi16ELi64Ei6__halfLNS0_11ScoringFuncE0EEEvPKT5_PKbPfiPT4_PiiiibPKf
	.globl	_ZN4vllm3moe10topkGatingILi8ELi8ELi4ELi16ELi64Ei6__halfLNS0_11ScoringFuncE0EEEvPKT5_PKbPfiPT4_PiiiibPKf
	.p2align	8
	.type	_ZN4vllm3moe10topkGatingILi8ELi8ELi4ELi16ELi64Ei6__halfLNS0_11ScoringFuncE0EEEvPKT5_PKbPfiPT4_PiiiibPKf,@function
_ZN4vllm3moe10topkGatingILi8ELi8ELi4ELi16ELi64Ei6__halfLNS0_11ScoringFuncE0EEEvPKT5_PKbPfiPT4_PiiiibPKf: ; @_ZN4vllm3moe10topkGatingILi8ELi8ELi4ELi16ELi64Ei6__halfLNS0_11ScoringFuncE0EEEvPKT5_PKbPfiPT4_PiiiibPKf
; %bb.0:
	s_load_dword s18, s[4:5], 0x18
	v_bfe_u32 v1, v0, 10, 10
	s_lshl_b32 s0, s6, 8
	v_lshlrev_b32_e32 v1, 6, v1
	v_and_b32_e32 v0, 0x3ff, v0
	v_add3_u32 v16, v1, v0, s0
	s_waitcnt lgkmcnt(0)
	v_cmp_gt_i32_e32 vcc, s18, v16
	s_and_saveexec_b64 s[0:1], vcc
	s_cbranch_execz .LBB72_20
; %bb.1:
	s_load_dwordx4 s[0:3], s[4:5], 0x0
	s_load_dwordx2 s[12:13], s[4:5], 0x10
	s_mov_b64 s[6:7], -1
	s_mov_b64 s[14:15], -1
	s_waitcnt lgkmcnt(0)
	s_cmp_eq_u64 s[2:3], 0
	s_cbranch_scc1 .LBB72_3
; %bb.2:
	v_ashrrev_i32_e32 v1, 31, v16
	v_mov_b32_e32 v2, s3
	v_add_co_u32_e32 v0, vcc, s2, v16
	v_addc_co_u32_e32 v1, vcc, v2, v1, vcc
	global_load_ubyte v0, v[0:1], off
	s_waitcnt vmcnt(0)
	v_and_b32_e32 v0, 1, v0
	v_cmp_eq_u32_e32 vcc, 1, v0
	s_xor_b64 s[2:3], vcc, -1
	s_orn2_b64 s[14:15], s[2:3], exec
.LBB72_3:
	v_lshlrev_b32_e32 v0, 3, v16
	v_ashrrev_i32_e32 v1, 31, v0
	v_lshlrev_b64 v[0:1], 1, v[0:1]
	v_mov_b32_e32 v2, s1
	v_add_co_u32_e32 v0, vcc, s0, v0
	v_addc_co_u32_e32 v1, vcc, v2, v1, vcc
	global_load_dwordx4 v[0:3], v[0:1], off
	v_mov_b32_e32 v9, 0x7f800000
	s_mov_b32 s2, 0x3fb8aa3b
	s_mov_b32 s0, 0xc2ce8ed0
	;; [unrolled: 1-line block ×3, first 2 shown]
	s_waitcnt vmcnt(0)
	v_cvt_f32_f16_e32 v4, v0
	v_cvt_f32_f16_sdwa v5, v0 dst_sel:DWORD dst_unused:UNUSED_PAD src0_sel:WORD_1
	v_cvt_f32_f16_e32 v0, v1
	v_cvt_f32_f16_sdwa v1, v1 dst_sel:DWORD dst_unused:UNUSED_PAD src0_sel:WORD_1
	;; [unrolled: 2-line block ×4, first 2 shown]
	v_max_f32_e32 v8, v4, v5
	v_max3_f32 v8, v8, v0, v1
	v_max3_f32 v8, v8, v6, v7
	v_max3_f32 v8, v8, v2, v3
	v_pk_add_f32 v[4:5], v[4:5], v[8:9] op_sel_hi:[1,0] neg_lo:[0,1] neg_hi:[0,1]
	v_pk_add_f32 v[0:1], v[0:1], v[8:9] op_sel_hi:[1,0] neg_lo:[0,1] neg_hi:[0,1]
	;; [unrolled: 1-line block ×4, first 2 shown]
	v_mul_f32_e32 v8, 0x3fb8aa3b, v5
	v_mul_f32_e32 v10, 0x3fb8aa3b, v4
	v_fma_f32 v17, v5, s2, -v8
	v_rndne_f32_e32 v18, v8
	v_mul_f32_e32 v11, 0x3fb8aa3b, v1
	v_fma_f32 v19, v4, s2, -v10
	v_rndne_f32_e32 v20, v10
	v_fmac_f32_e32 v17, 0x32a5705f, v5
	v_sub_f32_e32 v8, v8, v18
	v_mul_f32_e32 v12, 0x3fb8aa3b, v0
	v_fma_f32 v21, v1, s2, -v11
	v_rndne_f32_e32 v22, v11
	v_fmac_f32_e32 v19, 0x32a5705f, v4
	v_sub_f32_e32 v10, v10, v20
	v_add_f32_e32 v8, v8, v17
	v_mul_f32_e32 v13, 0x3fb8aa3b, v7
	v_fma_f32 v23, v0, s2, -v12
	v_rndne_f32_e32 v24, v12
	v_cvt_i32_f32_e32 v18, v18
	v_fmac_f32_e32 v21, 0x32a5705f, v1
	v_sub_f32_e32 v11, v11, v22
	v_add_f32_e32 v10, v10, v19
	v_exp_f32_e32 v8, v8
	v_fma_f32 v25, v7, s2, -v13
	v_rndne_f32_e32 v26, v13
	v_cvt_i32_f32_e32 v20, v20
	v_fmac_f32_e32 v23, 0x32a5705f, v0
	v_sub_f32_e32 v12, v12, v24
	v_add_f32_e32 v11, v11, v21
	v_exp_f32_e32 v10, v10
	v_cvt_i32_f32_e32 v22, v22
	v_fmac_f32_e32 v25, 0x32a5705f, v7
	v_sub_f32_e32 v13, v13, v26
	v_add_f32_e32 v12, v12, v23
	v_exp_f32_e32 v11, v11
	v_cvt_i32_f32_e32 v24, v24
	v_add_f32_e32 v13, v13, v25
	v_exp_f32_e32 v12, v12
	v_cvt_i32_f32_e32 v26, v26
	v_exp_f32_e32 v13, v13
	v_ldexp_f32 v8, v8, v18
	v_cmp_ngt_f32_e32 vcc, s0, v5
	v_ldexp_f32 v10, v10, v20
	v_cndmask_b32_e32 v8, 0, v8, vcc
	v_cmp_ngt_f32_e32 vcc, s0, v4
	v_ldexp_f32 v11, v11, v22
	v_cndmask_b32_e32 v10, 0, v10, vcc
	;; [unrolled: 3-line block ×4, first 2 shown]
	v_cmp_ngt_f32_e32 vcc, s0, v7
	v_mul_f32_e32 v14, 0x3fb8aa3b, v6
	v_cndmask_b32_e32 v13, 0, v13, vcc
	v_cmp_nlt_f32_e32 vcc, s1, v5
	v_mul_f32_e32 v15, 0x3fb8aa3b, v3
	v_fma_f32 v27, v6, s2, -v14
	v_rndne_f32_e32 v28, v14
	v_cndmask_b32_e32 v5, v9, v8, vcc
	v_cmp_nlt_f32_e32 vcc, s1, v4
	v_fmac_f32_e32 v27, 0x32a5705f, v6
	v_sub_f32_e32 v14, v14, v28
	v_cndmask_b32_e32 v4, v9, v10, vcc
	v_cmp_nlt_f32_e32 vcc, s1, v1
	v_fma_f32 v8, v3, s2, -v15
	v_rndne_f32_e32 v10, v15
	v_add_f32_e32 v14, v14, v27
	v_cndmask_b32_e32 v1, v9, v11, vcc
	v_fmac_f32_e32 v8, 0x32a5705f, v3
	v_sub_f32_e32 v11, v15, v10
	v_cvt_i32_f32_e32 v28, v28
	v_exp_f32_e32 v14, v14
	v_add_f32_e32 v8, v11, v8
	v_exp_f32_e32 v8, v8
	v_cvt_i32_f32_e32 v10, v10
	v_cmp_nlt_f32_e32 vcc, s1, v0
	v_cndmask_b32_e32 v0, v9, v12, vcc
	v_cmp_nlt_f32_e32 vcc, s1, v7
	v_ldexp_f32 v14, v14, v28
	v_cndmask_b32_e32 v7, v9, v13, vcc
	v_cmp_ngt_f32_e32 vcc, s0, v6
	v_cndmask_b32_e32 v11, 0, v14, vcc
	v_cmp_nlt_f32_e32 vcc, s1, v6
	v_ldexp_f32 v8, v8, v10
	v_mul_f32_e32 v10, 0x3fb8aa3b, v2
	v_cndmask_b32_e32 v6, v9, v11, vcc
	v_fma_f32 v11, v2, s2, -v10
	v_rndne_f32_e32 v12, v10
	v_fmac_f32_e32 v11, 0x32a5705f, v2
	v_sub_f32_e32 v10, v10, v12
	v_add_f32_e32 v10, v10, v11
	v_exp_f32_e32 v10, v10
	v_cvt_i32_f32_e32 v11, v12
	v_cmp_ngt_f32_e32 vcc, s0, v3
	v_cndmask_b32_e32 v8, 0, v8, vcc
	v_cmp_nlt_f32_e32 vcc, s1, v3
	v_cndmask_b32_e32 v3, v9, v8, vcc
	v_ldexp_f32 v8, v10, v11
	v_cmp_ngt_f32_e32 vcc, s0, v2
	v_cndmask_b32_e32 v8, 0, v8, vcc
	v_cmp_nlt_f32_e32 vcc, s1, v2
	v_cndmask_b32_e32 v2, v9, v8, vcc
	v_add_f32_e32 v8, v4, v5
	v_add_f32_e32 v8, v8, v0
	v_add_f32_e32 v8, v8, v1
	v_add_f32_e32 v8, v8, v6
	v_add_f32_e32 v8, v8, v7
	v_add_f32_e32 v8, v8, v2
	v_add_f32_e32 v8, v8, v3
	v_div_scale_f32 v9, s[0:1], v8, v8, 1.0
	v_rcp_f32_e32 v10, v9
	s_load_dwordx2 s[0:1], s[4:5], 0x40
	v_fma_f32 v11, -v9, v10, 1.0
	v_fmac_f32_e32 v10, v11, v10
	v_div_scale_f32 v11, vcc, 1.0, v8, 1.0
	v_mul_f32_e32 v12, v11, v10
	v_fma_f32 v13, -v9, v12, v11
	v_fmac_f32_e32 v12, v13, v10
	v_fma_f32 v9, -v9, v12, v11
	v_div_fmas_f32 v9, v9, v10, v12
	v_div_fixup_f32 v8, v9, v8, 1.0
	v_pk_mul_f32 v[4:5], v[8:9], v[4:5] op_sel_hi:[0,1]
	v_mov_b32_e32 v12, 0x207
	v_cmp_class_f32_e32 vcc, v5, v12
	v_pk_mul_f32 v[10:11], v[8:9], v[0:1] op_sel_hi:[0,1]
	v_cndmask_b32_e64 v1, v5, 0, vcc
	v_cmp_class_f32_e32 vcc, v4, v12
	v_cndmask_b32_e64 v0, v4, 0, vcc
	v_cmp_class_f32_e32 vcc, v11, v12
	v_pk_mul_f32 v[6:7], v[8:9], v[6:7] op_sel_hi:[0,1]
	v_pk_mul_f32 v[8:9], v[8:9], v[2:3] op_sel_hi:[0,1]
	v_cndmask_b32_e64 v3, v11, 0, vcc
	v_cmp_class_f32_e32 vcc, v10, v12
	v_cndmask_b32_e64 v2, v10, 0, vcc
	v_cmp_class_f32_e32 vcc, v7, v12
	;; [unrolled: 2-line block ×5, first 2 shown]
	s_waitcnt lgkmcnt(0)
	s_cmp_eq_u64 s[0:1], 0
	v_cndmask_b32_e64 v6, v8, 0, vcc
	s_cbranch_scc1 .LBB72_10
; %bb.4:
	s_load_dwordx8 s[20:27], s[0:1], 0x0
	s_waitcnt lgkmcnt(0)
	v_pk_add_f32 v[8:9], s[20:21], v[0:1]
	v_pk_add_f32 v[10:11], s[22:23], v[2:3]
	;; [unrolled: 1-line block ×4, first 2 shown]
	s_cbranch_execnz .LBB72_6
.LBB72_5:
	v_pk_mov_b32 v[14:15], v[6:7], v[6:7] op_sel:[0,1]
	v_pk_mov_b32 v[12:13], v[4:5], v[4:5] op_sel:[0,1]
	;; [unrolled: 1-line block ×4, first 2 shown]
.LBB72_6:
	s_load_dwordx4 s[8:11], s[4:5], 0x30
	s_waitcnt lgkmcnt(0)
	s_bitcmp1_b32 s11, 0
	s_cselect_b64 vcc, -1, 0
	s_cmp_gt_i32 s8, 0
	s_cselect_b64 s[16:17], -1, 0
	s_cmp_lt_i32 s8, 1
	s_mov_b32 s11, 0
	s_cbranch_scc1 .LBB72_11
; %bb.7:
	s_load_dwordx4 s[4:7], s[4:5], 0x20
	v_mul_lo_u32 v18, v16, s8
	v_mov_b32_e32 v17, 0
	v_mov_b32_e32 v19, s13
	;; [unrolled: 1-line block ×3, first 2 shown]
	s_waitcnt lgkmcnt(0)
	v_mov_b32_e32 v20, s5
	v_mov_b32_e32 v21, s7
	;; [unrolled: 1-line block ×3, first 2 shown]
.LBB72_8:                               ; =>This Inner Loop Header: Depth=1
	v_cmp_gt_f32_e64 s[0:1], v9, v8
	v_cndmask_b32_e64 v24, v8, v9, s[0:1]
	v_cndmask_b32_e64 v25, v0, v1, s[0:1]
	v_cndmask_b32_e64 v26, 0, 1, s[0:1]
	v_cmp_gt_f32_e64 s[0:1], v10, v24
	v_cndmask_b32_e64 v24, v24, v10, s[0:1]
	v_cndmask_b32_e64 v25, v25, v2, s[0:1]
	v_cndmask_b32_e64 v26, v26, 2, s[0:1]
	;; [unrolled: 4-line block ×6, first 2 shown]
	v_cmp_gt_f32_e64 s[0:1], v15, v24
	v_add_u32_e32 v24, s11, v18
	v_cndmask_b32_e64 v28, v25, v7, s[0:1]
	v_cndmask_b32_e64 v29, v26, 7, s[0:1]
	v_ashrrev_i32_e32 v25, 31, v24
	v_cmp_le_i32_e64 s[0:1], s9, v29
	v_cmp_gt_i32_e64 s[2:3], s10, v29
	v_lshlrev_b64 v[24:25], 2, v[24:25]
	s_and_b64 s[2:3], s[0:1], s[2:3]
	v_add_co_u32_e64 v26, s[0:1], s12, v24
	v_addc_co_u32_e64 v27, s[0:1], v19, v25, s[0:1]
	global_store_dword v[26:27], v28, off
	v_subrev_u32_e32 v26, s9, v29
	s_and_b64 s[0:1], s[14:15], s[2:3]
	v_cndmask_b32_e64 v30, 8, v26, s[0:1]
	v_add_co_u32_e64 v26, s[0:1], s4, v24
	v_addc_co_u32_e64 v27, s[0:1], v20, v25, s[0:1]
	v_add_co_u32_e64 v24, s[0:1], s6, v24
	v_addc_co_u32_e64 v25, s[0:1], v21, v25, s[0:1]
	global_store_dword v[26:27], v30, off
	global_store_dword v[24:25], v23, off
	v_add_f32_e32 v24, v17, v28
	v_cmp_ne_u32_e64 s[0:1], 0, v29
	v_cndmask_b32_e32 v17, v17, v24, vcc
	v_cndmask_b32_e64 v24, v22, v8, s[0:1]
	v_cmp_ne_u32_e64 s[0:1], 1, v29
	v_cndmask_b32_e64 v25, v22, v9, s[0:1]
	v_cmp_ne_u32_e64 s[0:1], 2, v29
	;; [unrolled: 2-line block ×5, first 2 shown]
	s_add_i32 s11, s11, 1
	v_cndmask_b32_e64 v30, v22, v13, s[0:1]
	v_cmp_ne_u32_e64 s[0:1], 6, v29
	s_cmp_lt_i32 s11, s8
	v_cndmask_b32_e64 v31, v22, v14, s[0:1]
	v_cmp_ne_u32_e64 s[0:1], 7, v29
	v_cndmask_b32_e64 v29, v22, v15, s[0:1]
	s_cselect_b64 s[0:1], -1, 0
	v_cndmask_b32_e64 v15, v15, v29, s[0:1]
	v_cndmask_b32_e64 v14, v14, v31, s[0:1]
	;; [unrolled: 1-line block ×8, first 2 shown]
	s_cmp_eq_u32 s8, s11
	v_add_u32_e32 v23, s18, v23
	s_cbranch_scc0 .LBB72_8
; %bb.9:
	s_and_b64 vcc, exec, vcc
	s_cbranch_vccnz .LBB72_12
	s_branch .LBB72_20
.LBB72_10:
                                        ; implicit-def: $vgpr8_vgpr9_vgpr10_vgpr11_vgpr12_vgpr13_vgpr14_vgpr15
	s_andn2_b64 vcc, exec, s[6:7]
	s_cbranch_vccz .LBB72_5
	s_branch .LBB72_6
.LBB72_11:
	v_mov_b32_e32 v17, 0
	s_and_b64 vcc, exec, vcc
	s_cbranch_vccz .LBB72_20
.LBB72_12:
	s_andn2_b64 vcc, exec, s[16:17]
	s_cbranch_vccnz .LBB72_20
; %bb.13:
	v_cmp_lt_f32_e32 vcc, 0, v17
	s_mov_b32 s2, 0
	v_cndmask_b32_e32 v0, 1.0, v17, vcc
	v_mul_lo_u32 v4, v16, s8
	s_cmp_eq_u32 s8, 1
	s_mov_b64 s[0:1], -1
	s_cbranch_scc1 .LBB72_17
; %bb.14:
	s_and_b32 s2, s8, 0x7ffffffe
	v_mov_b32_e32 v1, v0
	v_mov_b32_e32 v5, s13
	s_mov_b32 s3, s2
	v_mov_b32_e32 v2, v4
.LBB72_15:                              ; =>This Inner Loop Header: Depth=1
	v_ashrrev_i32_e32 v3, 31, v2
	v_lshlrev_b64 v[6:7], 2, v[2:3]
	v_add_co_u32_e32 v6, vcc, s12, v6
	v_addc_co_u32_e32 v7, vcc, v5, v7, vcc
	global_load_dwordx2 v[8:9], v[6:7], off
	s_add_i32 s3, s3, -2
	s_cmp_lg_u32 s3, 0
	v_add_u32_e32 v2, 2, v2
	s_waitcnt vmcnt(0)
	v_div_scale_f32 v3, s[0:1], v1, v1, v9
	v_div_scale_f32 v11, s[0:1], v0, v0, v8
	v_rcp_f32_e32 v12, v3
	v_rcp_f32_e32 v13, v11
	v_div_scale_f32 v10, vcc, v9, v1, v9
	v_fma_f32 v15, -v3, v12, 1.0
	v_fma_f32 v16, -v11, v13, 1.0
	v_fmac_f32_e32 v12, v15, v12
	v_div_scale_f32 v14, s[0:1], v8, v0, v8
	v_fmac_f32_e32 v13, v16, v13
	v_mul_f32_e32 v15, v10, v12
	v_mul_f32_e32 v16, v14, v13
	v_fma_f32 v17, -v3, v15, v10
	v_fma_f32 v18, -v11, v16, v14
	v_fmac_f32_e32 v15, v17, v12
	v_fmac_f32_e32 v16, v18, v13
	v_fma_f32 v3, -v3, v15, v10
	v_fma_f32 v10, -v11, v16, v14
	v_div_fmas_f32 v3, v3, v12, v15
	s_mov_b64 vcc, s[0:1]
	v_div_fixup_f32 v9, v3, v1, v9
	v_div_fmas_f32 v3, v10, v13, v16
	v_div_fixup_f32 v8, v3, v0, v8
	global_store_dwordx2 v[6:7], v[8:9], off
	s_cbranch_scc1 .LBB72_15
; %bb.16:
	s_cmp_lg_u32 s2, s8
	s_cselect_b64 s[0:1], -1, 0
.LBB72_17:
	s_and_b64 vcc, exec, s[0:1]
	s_cbranch_vccz .LBB72_20
; %bb.18:
	v_ashrrev_i32_e32 v1, 31, v4
	v_add_co_u32_e32 v2, vcc, s2, v4
	v_addc_co_u32_e32 v3, vcc, 0, v1, vcc
	v_lshlrev_b64 v[2:3], 2, v[2:3]
	v_mov_b32_e32 v1, s13
	v_add_co_u32_e32 v2, vcc, s12, v2
	s_sub_i32 s0, s8, s2
	v_addc_co_u32_e32 v3, vcc, v1, v3, vcc
.LBB72_19:                              ; =>This Inner Loop Header: Depth=1
	global_load_dword v1, v[2:3], off
	s_add_i32 s0, s0, -1
	s_cmp_lg_u32 s0, 0
	s_waitcnt vmcnt(0)
	v_div_scale_f32 v4, s[2:3], v0, v0, v1
	v_rcp_f32_e32 v5, v4
	v_div_scale_f32 v6, vcc, v1, v0, v1
	v_fma_f32 v7, -v4, v5, 1.0
	v_fmac_f32_e32 v5, v7, v5
	v_mul_f32_e32 v7, v6, v5
	v_fma_f32 v8, -v4, v7, v6
	v_fmac_f32_e32 v7, v8, v5
	v_fma_f32 v4, -v4, v7, v6
	v_div_fmas_f32 v4, v4, v5, v7
	v_div_fixup_f32 v1, v4, v0, v1
	global_store_dword v[2:3], v1, off
	v_add_co_u32_e32 v2, vcc, 4, v2
	v_addc_co_u32_e32 v3, vcc, 0, v3, vcc
	s_cbranch_scc1 .LBB72_19
.LBB72_20:
	s_endpgm
	.section	.rodata,"a",@progbits
	.p2align	6, 0x0
	.amdhsa_kernel _ZN4vllm3moe10topkGatingILi8ELi8ELi4ELi16ELi64Ei6__halfLNS0_11ScoringFuncE0EEEvPKT5_PKbPfiPT4_PiiiibPKf
		.amdhsa_group_segment_fixed_size 0
		.amdhsa_private_segment_fixed_size 0
		.amdhsa_kernarg_size 72
		.amdhsa_user_sgpr_count 6
		.amdhsa_user_sgpr_private_segment_buffer 1
		.amdhsa_user_sgpr_dispatch_ptr 0
		.amdhsa_user_sgpr_queue_ptr 0
		.amdhsa_user_sgpr_kernarg_segment_ptr 1
		.amdhsa_user_sgpr_dispatch_id 0
		.amdhsa_user_sgpr_flat_scratch_init 0
		.amdhsa_user_sgpr_kernarg_preload_length 0
		.amdhsa_user_sgpr_kernarg_preload_offset 0
		.amdhsa_user_sgpr_private_segment_size 0
		.amdhsa_uses_dynamic_stack 0
		.amdhsa_system_sgpr_private_segment_wavefront_offset 0
		.amdhsa_system_sgpr_workgroup_id_x 1
		.amdhsa_system_sgpr_workgroup_id_y 0
		.amdhsa_system_sgpr_workgroup_id_z 0
		.amdhsa_system_sgpr_workgroup_info 0
		.amdhsa_system_vgpr_workitem_id 1
		.amdhsa_next_free_vgpr 32
		.amdhsa_next_free_sgpr 28
		.amdhsa_accum_offset 32
		.amdhsa_reserve_vcc 1
		.amdhsa_reserve_flat_scratch 0
		.amdhsa_float_round_mode_32 0
		.amdhsa_float_round_mode_16_64 0
		.amdhsa_float_denorm_mode_32 3
		.amdhsa_float_denorm_mode_16_64 3
		.amdhsa_dx10_clamp 1
		.amdhsa_ieee_mode 1
		.amdhsa_fp16_overflow 0
		.amdhsa_tg_split 0
		.amdhsa_exception_fp_ieee_invalid_op 0
		.amdhsa_exception_fp_denorm_src 0
		.amdhsa_exception_fp_ieee_div_zero 0
		.amdhsa_exception_fp_ieee_overflow 0
		.amdhsa_exception_fp_ieee_underflow 0
		.amdhsa_exception_fp_ieee_inexact 0
		.amdhsa_exception_int_div_zero 0
	.end_amdhsa_kernel
	.section	.text._ZN4vllm3moe10topkGatingILi8ELi8ELi4ELi16ELi64Ei6__halfLNS0_11ScoringFuncE0EEEvPKT5_PKbPfiPT4_PiiiibPKf,"axG",@progbits,_ZN4vllm3moe10topkGatingILi8ELi8ELi4ELi16ELi64Ei6__halfLNS0_11ScoringFuncE0EEEvPKT5_PKbPfiPT4_PiiiibPKf,comdat
.Lfunc_end72:
	.size	_ZN4vllm3moe10topkGatingILi8ELi8ELi4ELi16ELi64Ei6__halfLNS0_11ScoringFuncE0EEEvPKT5_PKbPfiPT4_PiiiibPKf, .Lfunc_end72-_ZN4vllm3moe10topkGatingILi8ELi8ELi4ELi16ELi64Ei6__halfLNS0_11ScoringFuncE0EEEvPKT5_PKbPfiPT4_PiiiibPKf
                                        ; -- End function
	.section	.AMDGPU.csdata,"",@progbits
; Kernel info:
; codeLenInByte = 2320
; NumSgprs: 32
; NumVgprs: 32
; NumAgprs: 0
; TotalNumVgprs: 32
; ScratchSize: 0
; MemoryBound: 1
; FloatMode: 240
; IeeeMode: 1
; LDSByteSize: 0 bytes/workgroup (compile time only)
; SGPRBlocks: 3
; VGPRBlocks: 3
; NumSGPRsForWavesPerEU: 32
; NumVGPRsForWavesPerEU: 32
; AccumOffset: 32
; Occupancy: 8
; WaveLimiterHint : 0
; COMPUTE_PGM_RSRC2:SCRATCH_EN: 0
; COMPUTE_PGM_RSRC2:USER_SGPR: 6
; COMPUTE_PGM_RSRC2:TRAP_HANDLER: 0
; COMPUTE_PGM_RSRC2:TGID_X_EN: 1
; COMPUTE_PGM_RSRC2:TGID_Y_EN: 0
; COMPUTE_PGM_RSRC2:TGID_Z_EN: 0
; COMPUTE_PGM_RSRC2:TIDIG_COMP_CNT: 1
; COMPUTE_PGM_RSRC3_GFX90A:ACCUM_OFFSET: 7
; COMPUTE_PGM_RSRC3_GFX90A:TG_SPLIT: 0
	.section	.text._ZN4vllm3moe10topkGatingILi8ELi8ELi4ELi16ELi32Ei6__halfLNS0_11ScoringFuncE0EEEvPKT5_PKbPfiPT4_PiiiibPKf,"axG",@progbits,_ZN4vllm3moe10topkGatingILi8ELi8ELi4ELi16ELi32Ei6__halfLNS0_11ScoringFuncE0EEEvPKT5_PKbPfiPT4_PiiiibPKf,comdat
	.protected	_ZN4vllm3moe10topkGatingILi8ELi8ELi4ELi16ELi32Ei6__halfLNS0_11ScoringFuncE0EEEvPKT5_PKbPfiPT4_PiiiibPKf ; -- Begin function _ZN4vllm3moe10topkGatingILi8ELi8ELi4ELi16ELi32Ei6__halfLNS0_11ScoringFuncE0EEEvPKT5_PKbPfiPT4_PiiiibPKf
	.globl	_ZN4vllm3moe10topkGatingILi8ELi8ELi4ELi16ELi32Ei6__halfLNS0_11ScoringFuncE0EEEvPKT5_PKbPfiPT4_PiiiibPKf
	.p2align	8
	.type	_ZN4vllm3moe10topkGatingILi8ELi8ELi4ELi16ELi32Ei6__halfLNS0_11ScoringFuncE0EEEvPKT5_PKbPfiPT4_PiiiibPKf,@function
_ZN4vllm3moe10topkGatingILi8ELi8ELi4ELi16ELi32Ei6__halfLNS0_11ScoringFuncE0EEEvPKT5_PKbPfiPT4_PiiiibPKf: ; @_ZN4vllm3moe10topkGatingILi8ELi8ELi4ELi16ELi32Ei6__halfLNS0_11ScoringFuncE0EEEvPKT5_PKbPfiPT4_PiiiibPKf
; %bb.0:
	s_load_dword s18, s[4:5], 0x18
	v_bfe_u32 v1, v0, 10, 10
	s_lshl_b32 s0, s6, 7
	v_lshlrev_b32_e32 v1, 5, v1
	v_and_b32_e32 v0, 0x3ff, v0
	v_add3_u32 v16, v1, v0, s0
	s_waitcnt lgkmcnt(0)
	v_cmp_gt_i32_e32 vcc, s18, v16
	s_and_saveexec_b64 s[0:1], vcc
	s_cbranch_execz .LBB73_20
; %bb.1:
	s_load_dwordx4 s[0:3], s[4:5], 0x0
	s_load_dwordx2 s[12:13], s[4:5], 0x10
	s_mov_b64 s[6:7], -1
	s_mov_b64 s[14:15], -1
	s_waitcnt lgkmcnt(0)
	s_cmp_eq_u64 s[2:3], 0
	s_cbranch_scc1 .LBB73_3
; %bb.2:
	v_ashrrev_i32_e32 v1, 31, v16
	v_mov_b32_e32 v2, s3
	v_add_co_u32_e32 v0, vcc, s2, v16
	v_addc_co_u32_e32 v1, vcc, v2, v1, vcc
	global_load_ubyte v0, v[0:1], off
	s_waitcnt vmcnt(0)
	v_and_b32_e32 v0, 1, v0
	v_cmp_eq_u32_e32 vcc, 1, v0
	s_xor_b64 s[2:3], vcc, -1
	s_orn2_b64 s[14:15], s[2:3], exec
.LBB73_3:
	v_lshlrev_b32_e32 v0, 3, v16
	v_ashrrev_i32_e32 v1, 31, v0
	v_lshlrev_b64 v[0:1], 1, v[0:1]
	v_mov_b32_e32 v2, s1
	v_add_co_u32_e32 v0, vcc, s0, v0
	v_addc_co_u32_e32 v1, vcc, v2, v1, vcc
	global_load_dwordx4 v[0:3], v[0:1], off
	v_mov_b32_e32 v9, 0x7f800000
	s_mov_b32 s2, 0x3fb8aa3b
	s_mov_b32 s0, 0xc2ce8ed0
	;; [unrolled: 1-line block ×3, first 2 shown]
	s_waitcnt vmcnt(0)
	v_cvt_f32_f16_e32 v4, v0
	v_cvt_f32_f16_sdwa v5, v0 dst_sel:DWORD dst_unused:UNUSED_PAD src0_sel:WORD_1
	v_cvt_f32_f16_e32 v0, v1
	v_cvt_f32_f16_sdwa v1, v1 dst_sel:DWORD dst_unused:UNUSED_PAD src0_sel:WORD_1
	;; [unrolled: 2-line block ×4, first 2 shown]
	v_max_f32_e32 v8, v4, v5
	v_max3_f32 v8, v8, v0, v1
	v_max3_f32 v8, v8, v6, v7
	;; [unrolled: 1-line block ×3, first 2 shown]
	v_pk_add_f32 v[4:5], v[4:5], v[8:9] op_sel_hi:[1,0] neg_lo:[0,1] neg_hi:[0,1]
	v_pk_add_f32 v[0:1], v[0:1], v[8:9] op_sel_hi:[1,0] neg_lo:[0,1] neg_hi:[0,1]
	;; [unrolled: 1-line block ×4, first 2 shown]
	v_mul_f32_e32 v8, 0x3fb8aa3b, v5
	v_mul_f32_e32 v10, 0x3fb8aa3b, v4
	v_fma_f32 v17, v5, s2, -v8
	v_rndne_f32_e32 v18, v8
	v_mul_f32_e32 v11, 0x3fb8aa3b, v1
	v_fma_f32 v19, v4, s2, -v10
	v_rndne_f32_e32 v20, v10
	v_fmac_f32_e32 v17, 0x32a5705f, v5
	v_sub_f32_e32 v8, v8, v18
	v_mul_f32_e32 v12, 0x3fb8aa3b, v0
	v_fma_f32 v21, v1, s2, -v11
	v_rndne_f32_e32 v22, v11
	v_fmac_f32_e32 v19, 0x32a5705f, v4
	v_sub_f32_e32 v10, v10, v20
	v_add_f32_e32 v8, v8, v17
	v_mul_f32_e32 v13, 0x3fb8aa3b, v7
	v_fma_f32 v23, v0, s2, -v12
	v_rndne_f32_e32 v24, v12
	v_cvt_i32_f32_e32 v18, v18
	v_fmac_f32_e32 v21, 0x32a5705f, v1
	v_sub_f32_e32 v11, v11, v22
	v_add_f32_e32 v10, v10, v19
	v_exp_f32_e32 v8, v8
	v_fma_f32 v25, v7, s2, -v13
	v_rndne_f32_e32 v26, v13
	v_cvt_i32_f32_e32 v20, v20
	v_fmac_f32_e32 v23, 0x32a5705f, v0
	v_sub_f32_e32 v12, v12, v24
	v_add_f32_e32 v11, v11, v21
	v_exp_f32_e32 v10, v10
	v_cvt_i32_f32_e32 v22, v22
	v_fmac_f32_e32 v25, 0x32a5705f, v7
	v_sub_f32_e32 v13, v13, v26
	v_add_f32_e32 v12, v12, v23
	v_exp_f32_e32 v11, v11
	v_cvt_i32_f32_e32 v24, v24
	v_add_f32_e32 v13, v13, v25
	v_exp_f32_e32 v12, v12
	v_cvt_i32_f32_e32 v26, v26
	v_exp_f32_e32 v13, v13
	v_ldexp_f32 v8, v8, v18
	v_cmp_ngt_f32_e32 vcc, s0, v5
	v_ldexp_f32 v10, v10, v20
	v_cndmask_b32_e32 v8, 0, v8, vcc
	v_cmp_ngt_f32_e32 vcc, s0, v4
	v_ldexp_f32 v11, v11, v22
	v_cndmask_b32_e32 v10, 0, v10, vcc
	;; [unrolled: 3-line block ×4, first 2 shown]
	v_cmp_ngt_f32_e32 vcc, s0, v7
	v_mul_f32_e32 v14, 0x3fb8aa3b, v6
	v_cndmask_b32_e32 v13, 0, v13, vcc
	v_cmp_nlt_f32_e32 vcc, s1, v5
	v_mul_f32_e32 v15, 0x3fb8aa3b, v3
	v_fma_f32 v27, v6, s2, -v14
	v_rndne_f32_e32 v28, v14
	v_cndmask_b32_e32 v5, v9, v8, vcc
	v_cmp_nlt_f32_e32 vcc, s1, v4
	v_fmac_f32_e32 v27, 0x32a5705f, v6
	v_sub_f32_e32 v14, v14, v28
	v_cndmask_b32_e32 v4, v9, v10, vcc
	v_cmp_nlt_f32_e32 vcc, s1, v1
	v_fma_f32 v8, v3, s2, -v15
	v_rndne_f32_e32 v10, v15
	v_add_f32_e32 v14, v14, v27
	v_cndmask_b32_e32 v1, v9, v11, vcc
	v_fmac_f32_e32 v8, 0x32a5705f, v3
	v_sub_f32_e32 v11, v15, v10
	v_cvt_i32_f32_e32 v28, v28
	v_exp_f32_e32 v14, v14
	v_add_f32_e32 v8, v11, v8
	v_exp_f32_e32 v8, v8
	v_cvt_i32_f32_e32 v10, v10
	v_cmp_nlt_f32_e32 vcc, s1, v0
	v_cndmask_b32_e32 v0, v9, v12, vcc
	v_cmp_nlt_f32_e32 vcc, s1, v7
	v_ldexp_f32 v14, v14, v28
	v_cndmask_b32_e32 v7, v9, v13, vcc
	v_cmp_ngt_f32_e32 vcc, s0, v6
	v_cndmask_b32_e32 v11, 0, v14, vcc
	v_cmp_nlt_f32_e32 vcc, s1, v6
	v_ldexp_f32 v8, v8, v10
	v_mul_f32_e32 v10, 0x3fb8aa3b, v2
	v_cndmask_b32_e32 v6, v9, v11, vcc
	v_fma_f32 v11, v2, s2, -v10
	v_rndne_f32_e32 v12, v10
	v_fmac_f32_e32 v11, 0x32a5705f, v2
	v_sub_f32_e32 v10, v10, v12
	v_add_f32_e32 v10, v10, v11
	v_exp_f32_e32 v10, v10
	v_cvt_i32_f32_e32 v11, v12
	v_cmp_ngt_f32_e32 vcc, s0, v3
	v_cndmask_b32_e32 v8, 0, v8, vcc
	v_cmp_nlt_f32_e32 vcc, s1, v3
	v_cndmask_b32_e32 v3, v9, v8, vcc
	v_ldexp_f32 v8, v10, v11
	v_cmp_ngt_f32_e32 vcc, s0, v2
	v_cndmask_b32_e32 v8, 0, v8, vcc
	v_cmp_nlt_f32_e32 vcc, s1, v2
	v_cndmask_b32_e32 v2, v9, v8, vcc
	v_add_f32_e32 v8, v4, v5
	v_add_f32_e32 v8, v8, v0
	;; [unrolled: 1-line block ×7, first 2 shown]
	v_div_scale_f32 v9, s[0:1], v8, v8, 1.0
	v_rcp_f32_e32 v10, v9
	s_load_dwordx2 s[0:1], s[4:5], 0x40
	v_fma_f32 v11, -v9, v10, 1.0
	v_fmac_f32_e32 v10, v11, v10
	v_div_scale_f32 v11, vcc, 1.0, v8, 1.0
	v_mul_f32_e32 v12, v11, v10
	v_fma_f32 v13, -v9, v12, v11
	v_fmac_f32_e32 v12, v13, v10
	v_fma_f32 v9, -v9, v12, v11
	v_div_fmas_f32 v9, v9, v10, v12
	v_div_fixup_f32 v8, v9, v8, 1.0
	v_pk_mul_f32 v[4:5], v[8:9], v[4:5] op_sel_hi:[0,1]
	v_mov_b32_e32 v12, 0x207
	v_cmp_class_f32_e32 vcc, v5, v12
	v_pk_mul_f32 v[10:11], v[8:9], v[0:1] op_sel_hi:[0,1]
	v_cndmask_b32_e64 v1, v5, 0, vcc
	v_cmp_class_f32_e32 vcc, v4, v12
	v_cndmask_b32_e64 v0, v4, 0, vcc
	v_cmp_class_f32_e32 vcc, v11, v12
	v_pk_mul_f32 v[6:7], v[8:9], v[6:7] op_sel_hi:[0,1]
	v_pk_mul_f32 v[8:9], v[8:9], v[2:3] op_sel_hi:[0,1]
	v_cndmask_b32_e64 v3, v11, 0, vcc
	v_cmp_class_f32_e32 vcc, v10, v12
	v_cndmask_b32_e64 v2, v10, 0, vcc
	v_cmp_class_f32_e32 vcc, v7, v12
	;; [unrolled: 2-line block ×5, first 2 shown]
	s_waitcnt lgkmcnt(0)
	s_cmp_eq_u64 s[0:1], 0
	v_cndmask_b32_e64 v6, v8, 0, vcc
	s_cbranch_scc1 .LBB73_10
; %bb.4:
	s_load_dwordx8 s[20:27], s[0:1], 0x0
	s_waitcnt lgkmcnt(0)
	v_pk_add_f32 v[8:9], s[20:21], v[0:1]
	v_pk_add_f32 v[10:11], s[22:23], v[2:3]
	;; [unrolled: 1-line block ×4, first 2 shown]
	s_cbranch_execnz .LBB73_6
.LBB73_5:
	v_pk_mov_b32 v[14:15], v[6:7], v[6:7] op_sel:[0,1]
	v_pk_mov_b32 v[12:13], v[4:5], v[4:5] op_sel:[0,1]
	;; [unrolled: 1-line block ×4, first 2 shown]
.LBB73_6:
	s_load_dwordx4 s[8:11], s[4:5], 0x30
	s_waitcnt lgkmcnt(0)
	s_bitcmp1_b32 s11, 0
	s_cselect_b64 vcc, -1, 0
	s_cmp_gt_i32 s8, 0
	s_cselect_b64 s[16:17], -1, 0
	s_cmp_lt_i32 s8, 1
	s_mov_b32 s11, 0
	s_cbranch_scc1 .LBB73_11
; %bb.7:
	s_load_dwordx4 s[4:7], s[4:5], 0x20
	v_mul_lo_u32 v18, v16, s8
	v_mov_b32_e32 v17, 0
	v_mov_b32_e32 v19, s13
	;; [unrolled: 1-line block ×3, first 2 shown]
	s_waitcnt lgkmcnt(0)
	v_mov_b32_e32 v20, s5
	v_mov_b32_e32 v21, s7
	;; [unrolled: 1-line block ×3, first 2 shown]
.LBB73_8:                               ; =>This Inner Loop Header: Depth=1
	v_cmp_gt_f32_e64 s[0:1], v9, v8
	v_cndmask_b32_e64 v24, v8, v9, s[0:1]
	v_cndmask_b32_e64 v25, v0, v1, s[0:1]
	v_cndmask_b32_e64 v26, 0, 1, s[0:1]
	v_cmp_gt_f32_e64 s[0:1], v10, v24
	v_cndmask_b32_e64 v24, v24, v10, s[0:1]
	v_cndmask_b32_e64 v25, v25, v2, s[0:1]
	v_cndmask_b32_e64 v26, v26, 2, s[0:1]
	;; [unrolled: 4-line block ×6, first 2 shown]
	v_cmp_gt_f32_e64 s[0:1], v15, v24
	v_add_u32_e32 v24, s11, v18
	v_cndmask_b32_e64 v28, v25, v7, s[0:1]
	v_cndmask_b32_e64 v29, v26, 7, s[0:1]
	v_ashrrev_i32_e32 v25, 31, v24
	v_cmp_le_i32_e64 s[0:1], s9, v29
	v_cmp_gt_i32_e64 s[2:3], s10, v29
	v_lshlrev_b64 v[24:25], 2, v[24:25]
	s_and_b64 s[2:3], s[0:1], s[2:3]
	v_add_co_u32_e64 v26, s[0:1], s12, v24
	v_addc_co_u32_e64 v27, s[0:1], v19, v25, s[0:1]
	global_store_dword v[26:27], v28, off
	v_subrev_u32_e32 v26, s9, v29
	s_and_b64 s[0:1], s[14:15], s[2:3]
	v_cndmask_b32_e64 v30, 8, v26, s[0:1]
	v_add_co_u32_e64 v26, s[0:1], s4, v24
	v_addc_co_u32_e64 v27, s[0:1], v20, v25, s[0:1]
	v_add_co_u32_e64 v24, s[0:1], s6, v24
	v_addc_co_u32_e64 v25, s[0:1], v21, v25, s[0:1]
	global_store_dword v[26:27], v30, off
	global_store_dword v[24:25], v23, off
	v_add_f32_e32 v24, v17, v28
	v_cmp_ne_u32_e64 s[0:1], 0, v29
	v_cndmask_b32_e32 v17, v17, v24, vcc
	v_cndmask_b32_e64 v24, v22, v8, s[0:1]
	v_cmp_ne_u32_e64 s[0:1], 1, v29
	v_cndmask_b32_e64 v25, v22, v9, s[0:1]
	v_cmp_ne_u32_e64 s[0:1], 2, v29
	;; [unrolled: 2-line block ×5, first 2 shown]
	s_add_i32 s11, s11, 1
	v_cndmask_b32_e64 v30, v22, v13, s[0:1]
	v_cmp_ne_u32_e64 s[0:1], 6, v29
	s_cmp_lt_i32 s11, s8
	v_cndmask_b32_e64 v31, v22, v14, s[0:1]
	v_cmp_ne_u32_e64 s[0:1], 7, v29
	v_cndmask_b32_e64 v29, v22, v15, s[0:1]
	s_cselect_b64 s[0:1], -1, 0
	v_cndmask_b32_e64 v15, v15, v29, s[0:1]
	v_cndmask_b32_e64 v14, v14, v31, s[0:1]
	;; [unrolled: 1-line block ×8, first 2 shown]
	s_cmp_eq_u32 s8, s11
	v_add_u32_e32 v23, s18, v23
	s_cbranch_scc0 .LBB73_8
; %bb.9:
	s_and_b64 vcc, exec, vcc
	s_cbranch_vccnz .LBB73_12
	s_branch .LBB73_20
.LBB73_10:
                                        ; implicit-def: $vgpr8_vgpr9_vgpr10_vgpr11_vgpr12_vgpr13_vgpr14_vgpr15
	s_andn2_b64 vcc, exec, s[6:7]
	s_cbranch_vccz .LBB73_5
	s_branch .LBB73_6
.LBB73_11:
	v_mov_b32_e32 v17, 0
	s_and_b64 vcc, exec, vcc
	s_cbranch_vccz .LBB73_20
.LBB73_12:
	s_andn2_b64 vcc, exec, s[16:17]
	s_cbranch_vccnz .LBB73_20
; %bb.13:
	v_cmp_lt_f32_e32 vcc, 0, v17
	s_mov_b32 s2, 0
	v_cndmask_b32_e32 v0, 1.0, v17, vcc
	v_mul_lo_u32 v4, v16, s8
	s_cmp_eq_u32 s8, 1
	s_mov_b64 s[0:1], -1
	s_cbranch_scc1 .LBB73_17
; %bb.14:
	s_and_b32 s2, s8, 0x7ffffffe
	v_mov_b32_e32 v1, v0
	v_mov_b32_e32 v5, s13
	s_mov_b32 s3, s2
	v_mov_b32_e32 v2, v4
.LBB73_15:                              ; =>This Inner Loop Header: Depth=1
	v_ashrrev_i32_e32 v3, 31, v2
	v_lshlrev_b64 v[6:7], 2, v[2:3]
	v_add_co_u32_e32 v6, vcc, s12, v6
	v_addc_co_u32_e32 v7, vcc, v5, v7, vcc
	global_load_dwordx2 v[8:9], v[6:7], off
	s_add_i32 s3, s3, -2
	s_cmp_lg_u32 s3, 0
	v_add_u32_e32 v2, 2, v2
	s_waitcnt vmcnt(0)
	v_div_scale_f32 v3, s[0:1], v1, v1, v9
	v_div_scale_f32 v11, s[0:1], v0, v0, v8
	v_rcp_f32_e32 v12, v3
	v_rcp_f32_e32 v13, v11
	v_div_scale_f32 v10, vcc, v9, v1, v9
	v_fma_f32 v15, -v3, v12, 1.0
	v_fma_f32 v16, -v11, v13, 1.0
	v_fmac_f32_e32 v12, v15, v12
	v_div_scale_f32 v14, s[0:1], v8, v0, v8
	v_fmac_f32_e32 v13, v16, v13
	v_mul_f32_e32 v15, v10, v12
	v_mul_f32_e32 v16, v14, v13
	v_fma_f32 v17, -v3, v15, v10
	v_fma_f32 v18, -v11, v16, v14
	v_fmac_f32_e32 v15, v17, v12
	v_fmac_f32_e32 v16, v18, v13
	v_fma_f32 v3, -v3, v15, v10
	v_fma_f32 v10, -v11, v16, v14
	v_div_fmas_f32 v3, v3, v12, v15
	s_mov_b64 vcc, s[0:1]
	v_div_fixup_f32 v9, v3, v1, v9
	v_div_fmas_f32 v3, v10, v13, v16
	v_div_fixup_f32 v8, v3, v0, v8
	global_store_dwordx2 v[6:7], v[8:9], off
	s_cbranch_scc1 .LBB73_15
; %bb.16:
	s_cmp_lg_u32 s2, s8
	s_cselect_b64 s[0:1], -1, 0
.LBB73_17:
	s_and_b64 vcc, exec, s[0:1]
	s_cbranch_vccz .LBB73_20
; %bb.18:
	v_ashrrev_i32_e32 v1, 31, v4
	v_add_co_u32_e32 v2, vcc, s2, v4
	v_addc_co_u32_e32 v3, vcc, 0, v1, vcc
	v_lshlrev_b64 v[2:3], 2, v[2:3]
	v_mov_b32_e32 v1, s13
	v_add_co_u32_e32 v2, vcc, s12, v2
	s_sub_i32 s0, s8, s2
	v_addc_co_u32_e32 v3, vcc, v1, v3, vcc
.LBB73_19:                              ; =>This Inner Loop Header: Depth=1
	global_load_dword v1, v[2:3], off
	s_add_i32 s0, s0, -1
	s_cmp_lg_u32 s0, 0
	s_waitcnt vmcnt(0)
	v_div_scale_f32 v4, s[2:3], v0, v0, v1
	v_rcp_f32_e32 v5, v4
	v_div_scale_f32 v6, vcc, v1, v0, v1
	v_fma_f32 v7, -v4, v5, 1.0
	v_fmac_f32_e32 v5, v7, v5
	v_mul_f32_e32 v7, v6, v5
	v_fma_f32 v8, -v4, v7, v6
	v_fmac_f32_e32 v7, v8, v5
	v_fma_f32 v4, -v4, v7, v6
	v_div_fmas_f32 v4, v4, v5, v7
	v_div_fixup_f32 v1, v4, v0, v1
	global_store_dword v[2:3], v1, off
	v_add_co_u32_e32 v2, vcc, 4, v2
	v_addc_co_u32_e32 v3, vcc, 0, v3, vcc
	s_cbranch_scc1 .LBB73_19
.LBB73_20:
	s_endpgm
	.section	.rodata,"a",@progbits
	.p2align	6, 0x0
	.amdhsa_kernel _ZN4vllm3moe10topkGatingILi8ELi8ELi4ELi16ELi32Ei6__halfLNS0_11ScoringFuncE0EEEvPKT5_PKbPfiPT4_PiiiibPKf
		.amdhsa_group_segment_fixed_size 0
		.amdhsa_private_segment_fixed_size 0
		.amdhsa_kernarg_size 72
		.amdhsa_user_sgpr_count 6
		.amdhsa_user_sgpr_private_segment_buffer 1
		.amdhsa_user_sgpr_dispatch_ptr 0
		.amdhsa_user_sgpr_queue_ptr 0
		.amdhsa_user_sgpr_kernarg_segment_ptr 1
		.amdhsa_user_sgpr_dispatch_id 0
		.amdhsa_user_sgpr_flat_scratch_init 0
		.amdhsa_user_sgpr_kernarg_preload_length 0
		.amdhsa_user_sgpr_kernarg_preload_offset 0
		.amdhsa_user_sgpr_private_segment_size 0
		.amdhsa_uses_dynamic_stack 0
		.amdhsa_system_sgpr_private_segment_wavefront_offset 0
		.amdhsa_system_sgpr_workgroup_id_x 1
		.amdhsa_system_sgpr_workgroup_id_y 0
		.amdhsa_system_sgpr_workgroup_id_z 0
		.amdhsa_system_sgpr_workgroup_info 0
		.amdhsa_system_vgpr_workitem_id 1
		.amdhsa_next_free_vgpr 32
		.amdhsa_next_free_sgpr 28
		.amdhsa_accum_offset 32
		.amdhsa_reserve_vcc 1
		.amdhsa_reserve_flat_scratch 0
		.amdhsa_float_round_mode_32 0
		.amdhsa_float_round_mode_16_64 0
		.amdhsa_float_denorm_mode_32 3
		.amdhsa_float_denorm_mode_16_64 3
		.amdhsa_dx10_clamp 1
		.amdhsa_ieee_mode 1
		.amdhsa_fp16_overflow 0
		.amdhsa_tg_split 0
		.amdhsa_exception_fp_ieee_invalid_op 0
		.amdhsa_exception_fp_denorm_src 0
		.amdhsa_exception_fp_ieee_div_zero 0
		.amdhsa_exception_fp_ieee_overflow 0
		.amdhsa_exception_fp_ieee_underflow 0
		.amdhsa_exception_fp_ieee_inexact 0
		.amdhsa_exception_int_div_zero 0
	.end_amdhsa_kernel
	.section	.text._ZN4vllm3moe10topkGatingILi8ELi8ELi4ELi16ELi32Ei6__halfLNS0_11ScoringFuncE0EEEvPKT5_PKbPfiPT4_PiiiibPKf,"axG",@progbits,_ZN4vllm3moe10topkGatingILi8ELi8ELi4ELi16ELi32Ei6__halfLNS0_11ScoringFuncE0EEEvPKT5_PKbPfiPT4_PiiiibPKf,comdat
.Lfunc_end73:
	.size	_ZN4vllm3moe10topkGatingILi8ELi8ELi4ELi16ELi32Ei6__halfLNS0_11ScoringFuncE0EEEvPKT5_PKbPfiPT4_PiiiibPKf, .Lfunc_end73-_ZN4vllm3moe10topkGatingILi8ELi8ELi4ELi16ELi32Ei6__halfLNS0_11ScoringFuncE0EEEvPKT5_PKbPfiPT4_PiiiibPKf
                                        ; -- End function
	.section	.AMDGPU.csdata,"",@progbits
; Kernel info:
; codeLenInByte = 2320
; NumSgprs: 32
; NumVgprs: 32
; NumAgprs: 0
; TotalNumVgprs: 32
; ScratchSize: 0
; MemoryBound: 1
; FloatMode: 240
; IeeeMode: 1
; LDSByteSize: 0 bytes/workgroup (compile time only)
; SGPRBlocks: 3
; VGPRBlocks: 3
; NumSGPRsForWavesPerEU: 32
; NumVGPRsForWavesPerEU: 32
; AccumOffset: 32
; Occupancy: 8
; WaveLimiterHint : 0
; COMPUTE_PGM_RSRC2:SCRATCH_EN: 0
; COMPUTE_PGM_RSRC2:USER_SGPR: 6
; COMPUTE_PGM_RSRC2:TRAP_HANDLER: 0
; COMPUTE_PGM_RSRC2:TGID_X_EN: 1
; COMPUTE_PGM_RSRC2:TGID_Y_EN: 0
; COMPUTE_PGM_RSRC2:TGID_Z_EN: 0
; COMPUTE_PGM_RSRC2:TIDIG_COMP_CNT: 1
; COMPUTE_PGM_RSRC3_GFX90A:ACCUM_OFFSET: 7
; COMPUTE_PGM_RSRC3_GFX90A:TG_SPLIT: 0
	.section	.text._ZN4vllm3moe10topkGatingILi8ELi16ELi4ELi16ELi64Ei6__halfLNS0_11ScoringFuncE0EEEvPKT5_PKbPfiPT4_PiiiibPKf,"axG",@progbits,_ZN4vllm3moe10topkGatingILi8ELi16ELi4ELi16ELi64Ei6__halfLNS0_11ScoringFuncE0EEEvPKT5_PKbPfiPT4_PiiiibPKf,comdat
	.protected	_ZN4vllm3moe10topkGatingILi8ELi16ELi4ELi16ELi64Ei6__halfLNS0_11ScoringFuncE0EEEvPKT5_PKbPfiPT4_PiiiibPKf ; -- Begin function _ZN4vllm3moe10topkGatingILi8ELi16ELi4ELi16ELi64Ei6__halfLNS0_11ScoringFuncE0EEEvPKT5_PKbPfiPT4_PiiiibPKf
	.globl	_ZN4vllm3moe10topkGatingILi8ELi16ELi4ELi16ELi64Ei6__halfLNS0_11ScoringFuncE0EEEvPKT5_PKbPfiPT4_PiiiibPKf
	.p2align	8
	.type	_ZN4vllm3moe10topkGatingILi8ELi16ELi4ELi16ELi64Ei6__halfLNS0_11ScoringFuncE0EEEvPKT5_PKbPfiPT4_PiiiibPKf,@function
_ZN4vllm3moe10topkGatingILi8ELi16ELi4ELi16ELi64Ei6__halfLNS0_11ScoringFuncE0EEEvPKT5_PKbPfiPT4_PiiiibPKf: ; @_ZN4vllm3moe10topkGatingILi8ELi16ELi4ELi16ELi64Ei6__halfLNS0_11ScoringFuncE0EEEvPKT5_PKbPfiPT4_PiiiibPKf
; %bb.0:
	s_load_dword s24, s[4:5], 0x18
	v_bfe_u32 v1, v0, 10, 10
	v_and_b32_e32 v0, 0x3ff, v0
	s_lshl_b32 s0, s6, 7
	v_lshlrev_b32_e32 v1, 5, v1
	v_lshrrev_b32_e32 v2, 1, v0
	v_add3_u32 v16, s0, v1, v2
	s_waitcnt lgkmcnt(0)
	v_cmp_gt_i32_e32 vcc, s24, v16
	s_and_saveexec_b64 s[0:1], vcc
	s_cbranch_execz .LBB74_30
; %bb.1:
	s_load_dwordx4 s[0:3], s[4:5], 0x0
	s_load_dwordx2 s[6:7], s[4:5], 0x10
	s_mov_b64 s[8:9], -1
	s_mov_b64 s[16:17], -1
	s_waitcnt lgkmcnt(0)
	s_cmp_eq_u64 s[2:3], 0
	s_cbranch_scc1 .LBB74_3
; %bb.2:
	v_ashrrev_i32_e32 v1, 31, v16
	v_mov_b32_e32 v3, s3
	v_add_co_u32_e32 v2, vcc, s2, v16
	v_addc_co_u32_e32 v3, vcc, v3, v1, vcc
	global_load_ubyte v1, v[2:3], off
	s_waitcnt vmcnt(0)
	v_and_b32_e32 v1, 1, v1
	v_cmp_eq_u32_e32 vcc, 1, v1
	s_xor_b64 s[2:3], vcc, -1
	s_orn2_b64 s[16:17], s[2:3], exec
.LBB74_3:
	v_lshlrev_b32_e32 v2, 4, v16
	v_ashrrev_i32_e32 v3, 31, v2
	v_lshlrev_b64 v[2:3], 1, v[2:3]
	v_mov_b32_e32 v1, s1
	v_add_co_u32_e32 v2, vcc, s0, v2
	v_and_b32_e32 v17, 1, v0
	v_addc_co_u32_e32 v1, vcc, v1, v3, vcc
	v_lshlrev_b32_e32 v0, 4, v17
	v_add_co_u32_e32 v0, vcc, v2, v0
	v_addc_co_u32_e32 v1, vcc, 0, v1, vcc
	global_load_dwordx4 v[0:3], v[0:1], off
	v_mbcnt_lo_u32_b32 v4, -1, 0
	v_mbcnt_hi_u32_b32 v4, -1, v4
	v_and_b32_e32 v6, 0x7e, v4
	v_xor_b32_e32 v5, 1, v4
	v_add_u32_e32 v6, 2, v6
	v_cmp_lt_i32_e32 vcc, v5, v6
	v_cndmask_b32_e32 v4, v4, v5, vcc
	v_lshlrev_b32_e32 v18, 2, v4
	s_mov_b32 s2, 0x3fb8aa3b
	s_mov_b32 s0, 0xc2ce8ed0
	;; [unrolled: 1-line block ×3, first 2 shown]
	v_mov_b32_e32 v10, 0x7f800000
	s_waitcnt vmcnt(0)
	v_cvt_f32_f16_e32 v6, v0
	v_cvt_f32_f16_sdwa v7, v0 dst_sel:DWORD dst_unused:UNUSED_PAD src0_sel:WORD_1
	v_cvt_f32_f16_e32 v8, v1
	v_cvt_f32_f16_sdwa v4, v1 dst_sel:DWORD dst_unused:UNUSED_PAD src0_sel:WORD_1
	;; [unrolled: 2-line block ×3, first 2 shown]
	v_cvt_f32_f16_sdwa v9, v3 dst_sel:DWORD dst_unused:UNUSED_PAD src0_sel:WORD_1
	v_cvt_f32_f16_e32 v1, v3
	v_max_f32_e32 v2, v6, v7
	v_max3_f32 v2, v2, v8, v4
	v_max3_f32 v2, v2, v5, v0
	;; [unrolled: 1-line block ×3, first 2 shown]
	ds_bpermute_b32 v3, v18, v2
	s_waitcnt lgkmcnt(0)
	v_max_f32_e32 v3, v3, v3
	v_max_f32_e32 v2, v2, v3
	v_pk_add_f32 v[6:7], v[6:7], v[2:3] op_sel_hi:[1,0] neg_lo:[0,1] neg_hi:[0,1]
	v_sub_f32_e32 v3, v8, v2
	v_mul_f32_e32 v8, 0x3fb8aa3b, v7
	v_mul_f32_e32 v11, 0x3fb8aa3b, v6
	v_fma_f32 v19, v7, s2, -v8
	v_rndne_f32_e32 v20, v8
	v_pk_add_f32 v[4:5], v[4:5], v[2:3] op_sel_hi:[1,0] neg_lo:[0,1] neg_hi:[0,1]
	v_mul_f32_e32 v12, 0x3fb8aa3b, v3
	v_fma_f32 v21, v6, s2, -v11
	v_rndne_f32_e32 v22, v11
	v_fmac_f32_e32 v19, 0x32a5705f, v7
	v_sub_f32_e32 v8, v8, v20
	v_mul_f32_e32 v13, 0x3fb8aa3b, v5
	v_fma_f32 v23, v3, s2, -v12
	v_rndne_f32_e32 v24, v12
	v_fmac_f32_e32 v21, 0x32a5705f, v6
	v_sub_f32_e32 v11, v11, v22
	v_add_f32_e32 v8, v8, v19
	v_mul_f32_e32 v14, 0x3fb8aa3b, v4
	v_fma_f32 v25, v5, s2, -v13
	v_rndne_f32_e32 v26, v13
	v_cvt_i32_f32_e32 v20, v20
	v_fmac_f32_e32 v23, 0x32a5705f, v3
	v_sub_f32_e32 v12, v12, v24
	v_add_f32_e32 v11, v11, v21
	v_exp_f32_e32 v8, v8
	v_fma_f32 v27, v4, s2, -v14
	v_rndne_f32_e32 v28, v14
	v_cvt_i32_f32_e32 v22, v22
	v_fmac_f32_e32 v25, 0x32a5705f, v5
	v_sub_f32_e32 v13, v13, v26
	v_add_f32_e32 v12, v12, v23
	v_exp_f32_e32 v11, v11
	v_cvt_i32_f32_e32 v24, v24
	v_fmac_f32_e32 v27, 0x32a5705f, v4
	v_sub_f32_e32 v14, v14, v28
	v_add_f32_e32 v13, v13, v25
	v_exp_f32_e32 v12, v12
	v_cvt_i32_f32_e32 v26, v26
	v_add_f32_e32 v14, v14, v27
	v_exp_f32_e32 v13, v13
	v_cvt_i32_f32_e32 v28, v28
	v_exp_f32_e32 v14, v14
	v_ldexp_f32 v8, v8, v20
	v_cmp_ngt_f32_e32 vcc, s0, v7
	v_ldexp_f32 v11, v11, v22
	v_cndmask_b32_e32 v8, 0, v8, vcc
	v_cmp_ngt_f32_e32 vcc, s0, v6
	v_ldexp_f32 v12, v12, v24
	v_cndmask_b32_e32 v11, 0, v11, vcc
	;; [unrolled: 3-line block ×4, first 2 shown]
	v_cmp_ngt_f32_e32 vcc, s0, v4
	v_pk_add_f32 v[0:1], v[0:1], v[2:3] op_sel_hi:[1,0] neg_lo:[0,1] neg_hi:[0,1]
	v_cndmask_b32_e32 v14, 0, v14, vcc
	v_cmp_nlt_f32_e32 vcc, s1, v7
	v_mul_f32_e32 v15, 0x3fb8aa3b, v1
	v_cndmask_b32_e32 v7, v10, v8, vcc
	v_cmp_nlt_f32_e32 vcc, s1, v6
	v_fma_f32 v29, v1, s2, -v15
	v_cndmask_b32_e32 v6, v10, v11, vcc
	v_cmp_nlt_f32_e32 vcc, s1, v3
	v_rndne_f32_e32 v11, v15
	v_fmac_f32_e32 v29, 0x32a5705f, v1
	v_cndmask_b32_e32 v3, v10, v12, vcc
	v_sub_f32_e32 v12, v15, v11
	v_add_f32_e32 v12, v12, v29
	v_exp_f32_e32 v12, v12
	v_cvt_i32_f32_e32 v11, v11
	v_cmp_nlt_f32_e32 vcc, s1, v5
	v_cndmask_b32_e32 v5, v10, v13, vcc
	v_cmp_nlt_f32_e32 vcc, s1, v4
	v_ldexp_f32 v11, v12, v11
	v_mul_f32_e32 v12, 0x3fb8aa3b, v0
	v_cndmask_b32_e32 v4, v10, v14, vcc
	v_fma_f32 v13, v0, s2, -v12
	v_rndne_f32_e32 v14, v12
	v_fmac_f32_e32 v13, 0x32a5705f, v0
	v_sub_f32_e32 v12, v12, v14
	v_add_f32_e32 v12, v12, v13
	v_exp_f32_e32 v12, v12
	v_cvt_i32_f32_e32 v13, v14
	v_cmp_ngt_f32_e32 vcc, s0, v1
	v_sub_f32_e32 v2, v9, v2
	v_cndmask_b32_e32 v11, 0, v11, vcc
	v_cmp_nlt_f32_e32 vcc, s1, v1
	v_mul_f32_e32 v9, 0x3fb8aa3b, v2
	v_cndmask_b32_e32 v1, v10, v11, vcc
	v_ldexp_f32 v11, v12, v13
	v_fma_f32 v12, v2, s2, -v9
	v_rndne_f32_e32 v13, v9
	v_fmac_f32_e32 v12, 0x32a5705f, v2
	v_sub_f32_e32 v9, v9, v13
	v_add_f32_e32 v9, v9, v12
	v_exp_f32_e32 v9, v9
	v_cvt_i32_f32_e32 v12, v13
	v_add_f32_e32 v8, v6, v7
	v_add_f32_e32 v8, v8, v3
	v_cmp_ngt_f32_e32 vcc, s0, v0
	v_add_f32_e32 v8, v8, v4
	v_cndmask_b32_e32 v11, 0, v11, vcc
	v_cmp_nlt_f32_e32 vcc, s1, v0
	v_add_f32_e32 v8, v8, v5
	v_cndmask_b32_e32 v0, v10, v11, vcc
	v_ldexp_f32 v9, v9, v12
	v_cmp_ngt_f32_e32 vcc, s0, v2
	v_add_f32_e32 v8, v8, v0
	v_cndmask_b32_e32 v9, 0, v9, vcc
	v_cmp_nlt_f32_e32 vcc, s1, v2
	v_add_f32_e32 v8, v8, v1
	v_cndmask_b32_e32 v10, v10, v9, vcc
	v_add_f32_e32 v2, v8, v10
	ds_bpermute_b32 v8, v18, v2
	s_movk_i32 s2, 0x1f8
	v_lshlrev_b32_e32 v19, 3, v17
	s_waitcnt lgkmcnt(0)
	v_add_f32_e32 v2, v2, v8
	v_div_scale_f32 v8, s[0:1], v2, v2, 1.0
	v_rcp_f32_e32 v9, v8
	s_load_dwordx2 s[0:1], s[4:5], 0x40
	v_fma_f32 v11, -v8, v9, 1.0
	v_fmac_f32_e32 v9, v11, v9
	v_div_scale_f32 v11, vcc, 1.0, v2, 1.0
	v_mul_f32_e32 v12, v11, v9
	v_fma_f32 v13, -v8, v12, v11
	v_fmac_f32_e32 v12, v13, v9
	v_fma_f32 v8, -v8, v12, v11
	v_div_fmas_f32 v8, v8, v9, v12
	v_div_fixup_f32 v2, v8, v2, 1.0
	v_mul_f32_e32 v11, v2, v6
	v_mul_f32_e32 v12, v2, v7
	;; [unrolled: 1-line block ×3, first 2 shown]
	v_cmp_class_f32_e64 vcc, v11, s2
	v_pk_mul_f32 v[8:9], v[2:3], v[0:1] op_sel_hi:[0,1]
	v_cndmask_b32_e32 v0, 0, v11, vcc
	v_cmp_class_f32_e64 vcc, v12, s2
	v_pk_mul_f32 v[6:7], v[2:3], v[4:5] op_sel_hi:[0,1]
	v_cndmask_b32_e32 v1, 0, v12, vcc
	v_cmp_class_f32_e64 vcc, v3, s2
	v_mov_b32_e32 v5, 0x207
	v_mul_f32_e32 v10, v2, v10
	v_cndmask_b32_e32 v2, 0, v3, vcc
	v_cmp_class_f32_e32 vcc, v7, v5
	v_cndmask_b32_e64 v4, v7, 0, vcc
	v_cmp_class_f32_e32 vcc, v6, v5
	v_cndmask_b32_e64 v3, v6, 0, vcc
	;; [unrolled: 2-line block ×4, first 2 shown]
	v_cmp_class_f32_e64 vcc, v10, s2
	s_waitcnt lgkmcnt(0)
	s_cmp_eq_u64 s[0:1], 0
	v_cndmask_b32_e32 v7, 0, v10, vcc
	s_cbranch_scc1 .LBB74_19
; %bb.4:
	v_lshlrev_b32_e32 v20, 2, v19
	global_load_dwordx4 v[8:11], v20, s[0:1]
	global_load_dwordx4 v[12:15], v20, s[0:1] offset:16
	s_waitcnt vmcnt(1)
	v_pk_add_f32 v[8:9], v[8:9], v[0:1]
	v_pk_add_f32 v[10:11], v[10:11], v[2:3]
	s_waitcnt vmcnt(0)
	v_pk_add_f32 v[12:13], v[12:13], v[4:5]
	v_pk_add_f32 v[14:15], v[14:15], v[6:7]
	s_cbranch_execnz .LBB74_6
.LBB74_5:
	v_pk_mov_b32 v[14:15], v[6:7], v[6:7] op_sel:[0,1]
	v_pk_mov_b32 v[12:13], v[4:5], v[4:5] op_sel:[0,1]
	;; [unrolled: 1-line block ×4, first 2 shown]
.LBB74_6:
	s_load_dwordx4 s[8:11], s[4:5], 0x30
	s_mov_b32 s25, 0
	v_cmp_eq_u32_e64 s[0:1], 0, v17
	s_waitcnt lgkmcnt(0)
	s_bitcmp1_b32 s11, 0
	s_cselect_b64 vcc, -1, 0
	s_cmp_gt_i32 s8, 0
	s_cselect_b64 s[18:19], -1, 0
	s_cmp_lt_i32 s8, 1
	s_cbranch_scc1 .LBB74_20
; %bb.7:
	s_load_dwordx4 s[12:15], s[4:5], 0x20
	v_mul_lo_u32 v21, v16, s8
	v_mov_b32_e32 v20, 0
	v_mov_b32_e32 v22, 0xc61c4000
	;; [unrolled: 1-line block ×3, first 2 shown]
	s_branch .LBB74_10
.LBB74_8:                               ;   in Loop: Header=BB74_10 Depth=1
	s_or_b64 exec, exec, s[4:5]
.LBB74_9:                               ;   in Loop: Header=BB74_10 Depth=1
	s_cmp_eq_u32 s8, s25
	v_add_u32_e32 v23, s24, v23
	s_cbranch_scc1 .LBB74_21
.LBB74_10:                              ; =>This Inner Loop Header: Depth=1
	v_cmp_gt_f32_e64 s[2:3], v9, v8
	v_cndmask_b32_e64 v24, v8, v9, s[2:3]
	v_cndmask_b32_e64 v25, v0, v1, s[2:3]
	v_cndmask_b32_e64 v26, 0, 1, s[2:3]
	v_cmp_gt_f32_e64 s[2:3], v10, v24
	v_cndmask_b32_e64 v24, v24, v10, s[2:3]
	v_cndmask_b32_e64 v25, v25, v2, s[2:3]
	v_cndmask_b32_e64 v26, v26, 2, s[2:3]
	;; [unrolled: 4-line block ×7, first 2 shown]
	v_or_b32_e32 v24, v19, v24
	ds_bpermute_b32 v29, v18, v28
	ds_bpermute_b32 v27, v18, v25
	;; [unrolled: 1-line block ×3, first 2 shown]
	s_waitcnt lgkmcnt(0)
	v_cmp_lt_f32_e64 s[20:21], v28, v29
	v_cmp_nlt_f32_e64 s[2:3], v28, v29
	s_and_saveexec_b64 s[22:23], s[2:3]
	s_cbranch_execnz .LBB74_14
; %bb.11:                               ;   in Loop: Header=BB74_10 Depth=1
	s_or_b64 exec, exec, s[22:23]
	s_and_saveexec_b64 s[2:3], s[20:21]
	s_cbranch_execnz .LBB74_15
.LBB74_12:                              ;   in Loop: Header=BB74_10 Depth=1
	s_or_b64 exec, exec, s[2:3]
	s_and_saveexec_b64 s[20:21], s[0:1]
	s_cbranch_execnz .LBB74_16
.LBB74_13:                              ;   in Loop: Header=BB74_10 Depth=1
	s_or_b64 exec, exec, s[20:21]
	s_add_i32 s25, s25, 1
	s_cmp_ge_i32 s25, s8
	s_cbranch_scc1 .LBB74_9
	s_branch .LBB74_17
.LBB74_14:                              ;   in Loop: Header=BB74_10 Depth=1
	v_cmp_eq_f32_e64 s[2:3], v28, v29
	v_cmp_lt_i32_e64 s[4:5], v26, v24
	s_and_b64 s[2:3], s[2:3], s[4:5]
	s_andn2_b64 s[4:5], s[20:21], exec
	s_and_b64 s[2:3], s[2:3], exec
	s_or_b64 s[20:21], s[4:5], s[2:3]
	s_or_b64 exec, exec, s[22:23]
	s_and_saveexec_b64 s[2:3], s[20:21]
	s_cbranch_execz .LBB74_12
.LBB74_15:                              ;   in Loop: Header=BB74_10 Depth=1
	v_mov_b32_e32 v25, v27
	v_mov_b32_e32 v24, v26
	s_or_b64 exec, exec, s[2:3]
	s_and_saveexec_b64 s[20:21], s[0:1]
	s_cbranch_execz .LBB74_13
.LBB74_16:                              ;   in Loop: Header=BB74_10 Depth=1
	v_add_u32_e32 v26, s25, v21
	v_ashrrev_i32_e32 v27, 31, v26
	v_cmp_le_i32_e64 s[2:3], s9, v24
	v_cmp_gt_i32_e64 s[4:5], s10, v24
	v_lshlrev_b64 v[26:27], 2, v[26:27]
	s_and_b64 s[4:5], s[2:3], s[4:5]
	v_mov_b32_e32 v29, s7
	v_add_co_u32_e64 v28, s[2:3], s6, v26
	v_addc_co_u32_e64 v29, s[2:3], v29, v27, s[2:3]
	global_store_dword v[28:29], v25, off
	v_subrev_u32_e32 v28, s9, v24
	s_and_b64 s[2:3], s[16:17], s[4:5]
	v_cndmask_b32_e64 v30, 16, v28, s[2:3]
	v_mov_b32_e32 v29, s13
	v_add_co_u32_e64 v28, s[2:3], s12, v26
	v_addc_co_u32_e64 v29, s[2:3], v29, v27, s[2:3]
	global_store_dword v[28:29], v30, off
	v_mov_b32_e32 v28, s15
	v_add_co_u32_e64 v26, s[2:3], s14, v26
	v_add_f32_e32 v25, v20, v25
	v_addc_co_u32_e64 v27, s[2:3], v28, v27, s[2:3]
	v_cndmask_b32_e32 v20, v20, v25, vcc
	global_store_dword v[26:27], v23, off
	s_or_b64 exec, exec, s[20:21]
	s_add_i32 s25, s25, 1
	s_cmp_ge_i32 s25, s8
	s_cbranch_scc1 .LBB74_9
.LBB74_17:                              ;   in Loop: Header=BB74_10 Depth=1
	v_ashrrev_i32_e32 v26, 31, v24
	v_lshrrev_b32_e32 v25, 29, v26
	v_add_u32_e32 v27, v24, v25
	v_ashrrev_i32_e32 v25, 3, v27
	v_lshrrev_b32_e32 v27, 31, v27
	v_add_u32_e32 v27, v25, v27
	v_and_b32_e32 v27, -2, v27
	v_sub_u32_e32 v27, v25, v27
	v_cmp_eq_u32_e64 s[2:3], v17, v27
	s_and_saveexec_b64 s[4:5], s[2:3]
	s_cbranch_execz .LBB74_8
; %bb.18:                               ;   in Loop: Header=BB74_10 Depth=1
	v_lshrrev_b32_e32 v26, 28, v26
	v_add_u32_e32 v26, v24, v26
	v_lshlrev_b32_e32 v25, 3, v25
	v_ashrrev_i32_e32 v26, 4, v26
	v_sub_u32_e32 v24, v24, v25
	v_lshl_add_u32 v24, v26, 3, v24
	v_cmp_ne_u32_e64 s[2:3], 7, v24
	v_cndmask_b32_e64 v15, v22, v15, s[2:3]
	v_cmp_ne_u32_e64 s[2:3], 6, v24
	v_cndmask_b32_e64 v14, v22, v14, s[2:3]
	;; [unrolled: 2-line block ×8, first 2 shown]
	s_branch .LBB74_8
.LBB74_19:
                                        ; implicit-def: $vgpr8_vgpr9_vgpr10_vgpr11_vgpr12_vgpr13_vgpr14_vgpr15
	s_andn2_b64 vcc, exec, s[8:9]
	s_cbranch_vccz .LBB74_5
	s_branch .LBB74_6
.LBB74_20:
	v_mov_b32_e32 v20, 0
.LBB74_21:
	v_cmp_eq_u32_e64 s[0:1], 0, v17
	s_and_b64 s[0:1], s[0:1], vcc
	s_and_b64 exec, exec, s[0:1]
	s_cbranch_execz .LBB74_30
; %bb.22:
	s_andn2_b64 vcc, exec, s[18:19]
	s_cbranch_vccnz .LBB74_30
; %bb.23:
	v_cmp_lt_f32_e32 vcc, 0, v20
	s_mov_b32 s2, 0
	v_cndmask_b32_e32 v0, 1.0, v20, vcc
	v_mul_lo_u32 v4, v16, s8
	s_cmp_eq_u32 s8, 1
	s_mov_b64 s[0:1], -1
	s_cbranch_scc1 .LBB74_27
; %bb.24:
	s_and_b32 s2, s8, 0x7ffffffe
	v_mov_b32_e32 v1, v0
	v_mov_b32_e32 v5, s7
	s_mov_b32 s3, s2
	v_mov_b32_e32 v2, v4
.LBB74_25:                              ; =>This Inner Loop Header: Depth=1
	v_ashrrev_i32_e32 v3, 31, v2
	v_lshlrev_b64 v[6:7], 2, v[2:3]
	v_add_co_u32_e32 v6, vcc, s6, v6
	v_addc_co_u32_e32 v7, vcc, v5, v7, vcc
	global_load_dwordx2 v[8:9], v[6:7], off
	s_add_i32 s3, s3, -2
	s_cmp_lg_u32 s3, 0
	v_add_u32_e32 v2, 2, v2
	s_waitcnt vmcnt(0)
	v_div_scale_f32 v3, s[0:1], v1, v1, v9
	v_div_scale_f32 v11, s[0:1], v0, v0, v8
	v_rcp_f32_e32 v12, v3
	v_rcp_f32_e32 v13, v11
	v_div_scale_f32 v10, vcc, v9, v1, v9
	v_fma_f32 v15, -v3, v12, 1.0
	v_fma_f32 v16, -v11, v13, 1.0
	v_fmac_f32_e32 v12, v15, v12
	v_div_scale_f32 v14, s[0:1], v8, v0, v8
	v_fmac_f32_e32 v13, v16, v13
	v_mul_f32_e32 v15, v10, v12
	v_mul_f32_e32 v16, v14, v13
	v_fma_f32 v17, -v3, v15, v10
	v_fma_f32 v18, -v11, v16, v14
	v_fmac_f32_e32 v15, v17, v12
	v_fmac_f32_e32 v16, v18, v13
	v_fma_f32 v3, -v3, v15, v10
	v_fma_f32 v10, -v11, v16, v14
	v_div_fmas_f32 v3, v3, v12, v15
	s_mov_b64 vcc, s[0:1]
	v_div_fixup_f32 v9, v3, v1, v9
	v_div_fmas_f32 v3, v10, v13, v16
	v_div_fixup_f32 v8, v3, v0, v8
	global_store_dwordx2 v[6:7], v[8:9], off
	s_cbranch_scc1 .LBB74_25
; %bb.26:
	s_cmp_lg_u32 s2, s8
	s_cselect_b64 s[0:1], -1, 0
.LBB74_27:
	s_and_b64 vcc, exec, s[0:1]
	s_cbranch_vccz .LBB74_30
; %bb.28:
	v_ashrrev_i32_e32 v1, 31, v4
	v_add_co_u32_e32 v2, vcc, s2, v4
	v_addc_co_u32_e32 v3, vcc, 0, v1, vcc
	v_lshlrev_b64 v[2:3], 2, v[2:3]
	v_mov_b32_e32 v1, s7
	v_add_co_u32_e32 v2, vcc, s6, v2
	s_sub_i32 s0, s8, s2
	v_addc_co_u32_e32 v3, vcc, v1, v3, vcc
.LBB74_29:                              ; =>This Inner Loop Header: Depth=1
	global_load_dword v1, v[2:3], off
	s_add_i32 s0, s0, -1
	s_cmp_lg_u32 s0, 0
	s_waitcnt vmcnt(0)
	v_div_scale_f32 v4, s[2:3], v0, v0, v1
	v_rcp_f32_e32 v5, v4
	v_div_scale_f32 v6, vcc, v1, v0, v1
	v_fma_f32 v7, -v4, v5, 1.0
	v_fmac_f32_e32 v5, v7, v5
	v_mul_f32_e32 v7, v6, v5
	v_fma_f32 v8, -v4, v7, v6
	v_fmac_f32_e32 v7, v8, v5
	v_fma_f32 v4, -v4, v7, v6
	v_div_fmas_f32 v4, v4, v5, v7
	v_div_fixup_f32 v1, v4, v0, v1
	global_store_dword v[2:3], v1, off
	v_add_co_u32_e32 v2, vcc, 4, v2
	v_addc_co_u32_e32 v3, vcc, 0, v3, vcc
	s_cbranch_scc1 .LBB74_29
.LBB74_30:
	s_endpgm
	.section	.rodata,"a",@progbits
	.p2align	6, 0x0
	.amdhsa_kernel _ZN4vllm3moe10topkGatingILi8ELi16ELi4ELi16ELi64Ei6__halfLNS0_11ScoringFuncE0EEEvPKT5_PKbPfiPT4_PiiiibPKf
		.amdhsa_group_segment_fixed_size 0
		.amdhsa_private_segment_fixed_size 0
		.amdhsa_kernarg_size 72
		.amdhsa_user_sgpr_count 6
		.amdhsa_user_sgpr_private_segment_buffer 1
		.amdhsa_user_sgpr_dispatch_ptr 0
		.amdhsa_user_sgpr_queue_ptr 0
		.amdhsa_user_sgpr_kernarg_segment_ptr 1
		.amdhsa_user_sgpr_dispatch_id 0
		.amdhsa_user_sgpr_flat_scratch_init 0
		.amdhsa_user_sgpr_kernarg_preload_length 0
		.amdhsa_user_sgpr_kernarg_preload_offset 0
		.amdhsa_user_sgpr_private_segment_size 0
		.amdhsa_uses_dynamic_stack 0
		.amdhsa_system_sgpr_private_segment_wavefront_offset 0
		.amdhsa_system_sgpr_workgroup_id_x 1
		.amdhsa_system_sgpr_workgroup_id_y 0
		.amdhsa_system_sgpr_workgroup_id_z 0
		.amdhsa_system_sgpr_workgroup_info 0
		.amdhsa_system_vgpr_workitem_id 1
		.amdhsa_next_free_vgpr 31
		.amdhsa_next_free_sgpr 26
		.amdhsa_accum_offset 32
		.amdhsa_reserve_vcc 1
		.amdhsa_reserve_flat_scratch 0
		.amdhsa_float_round_mode_32 0
		.amdhsa_float_round_mode_16_64 0
		.amdhsa_float_denorm_mode_32 3
		.amdhsa_float_denorm_mode_16_64 3
		.amdhsa_dx10_clamp 1
		.amdhsa_ieee_mode 1
		.amdhsa_fp16_overflow 0
		.amdhsa_tg_split 0
		.amdhsa_exception_fp_ieee_invalid_op 0
		.amdhsa_exception_fp_denorm_src 0
		.amdhsa_exception_fp_ieee_div_zero 0
		.amdhsa_exception_fp_ieee_overflow 0
		.amdhsa_exception_fp_ieee_underflow 0
		.amdhsa_exception_fp_ieee_inexact 0
		.amdhsa_exception_int_div_zero 0
	.end_amdhsa_kernel
	.section	.text._ZN4vllm3moe10topkGatingILi8ELi16ELi4ELi16ELi64Ei6__halfLNS0_11ScoringFuncE0EEEvPKT5_PKbPfiPT4_PiiiibPKf,"axG",@progbits,_ZN4vllm3moe10topkGatingILi8ELi16ELi4ELi16ELi64Ei6__halfLNS0_11ScoringFuncE0EEEvPKT5_PKbPfiPT4_PiiiibPKf,comdat
.Lfunc_end74:
	.size	_ZN4vllm3moe10topkGatingILi8ELi16ELi4ELi16ELi64Ei6__halfLNS0_11ScoringFuncE0EEEvPKT5_PKbPfiPT4_PiiiibPKf, .Lfunc_end74-_ZN4vllm3moe10topkGatingILi8ELi16ELi4ELi16ELi64Ei6__halfLNS0_11ScoringFuncE0EEEvPKT5_PKbPfiPT4_PiiiibPKf
                                        ; -- End function
	.section	.AMDGPU.csdata,"",@progbits
; Kernel info:
; codeLenInByte = 2648
; NumSgprs: 30
; NumVgprs: 31
; NumAgprs: 0
; TotalNumVgprs: 31
; ScratchSize: 0
; MemoryBound: 0
; FloatMode: 240
; IeeeMode: 1
; LDSByteSize: 0 bytes/workgroup (compile time only)
; SGPRBlocks: 3
; VGPRBlocks: 3
; NumSGPRsForWavesPerEU: 30
; NumVGPRsForWavesPerEU: 31
; AccumOffset: 32
; Occupancy: 8
; WaveLimiterHint : 0
; COMPUTE_PGM_RSRC2:SCRATCH_EN: 0
; COMPUTE_PGM_RSRC2:USER_SGPR: 6
; COMPUTE_PGM_RSRC2:TRAP_HANDLER: 0
; COMPUTE_PGM_RSRC2:TGID_X_EN: 1
; COMPUTE_PGM_RSRC2:TGID_Y_EN: 0
; COMPUTE_PGM_RSRC2:TGID_Z_EN: 0
; COMPUTE_PGM_RSRC2:TIDIG_COMP_CNT: 1
; COMPUTE_PGM_RSRC3_GFX90A:ACCUM_OFFSET: 7
; COMPUTE_PGM_RSRC3_GFX90A:TG_SPLIT: 0
	.section	.text._ZN4vllm3moe10topkGatingILi8ELi16ELi4ELi16ELi32Ei6__halfLNS0_11ScoringFuncE0EEEvPKT5_PKbPfiPT4_PiiiibPKf,"axG",@progbits,_ZN4vllm3moe10topkGatingILi8ELi16ELi4ELi16ELi32Ei6__halfLNS0_11ScoringFuncE0EEEvPKT5_PKbPfiPT4_PiiiibPKf,comdat
	.protected	_ZN4vllm3moe10topkGatingILi8ELi16ELi4ELi16ELi32Ei6__halfLNS0_11ScoringFuncE0EEEvPKT5_PKbPfiPT4_PiiiibPKf ; -- Begin function _ZN4vllm3moe10topkGatingILi8ELi16ELi4ELi16ELi32Ei6__halfLNS0_11ScoringFuncE0EEEvPKT5_PKbPfiPT4_PiiiibPKf
	.globl	_ZN4vllm3moe10topkGatingILi8ELi16ELi4ELi16ELi32Ei6__halfLNS0_11ScoringFuncE0EEEvPKT5_PKbPfiPT4_PiiiibPKf
	.p2align	8
	.type	_ZN4vllm3moe10topkGatingILi8ELi16ELi4ELi16ELi32Ei6__halfLNS0_11ScoringFuncE0EEEvPKT5_PKbPfiPT4_PiiiibPKf,@function
_ZN4vllm3moe10topkGatingILi8ELi16ELi4ELi16ELi32Ei6__halfLNS0_11ScoringFuncE0EEEvPKT5_PKbPfiPT4_PiiiibPKf: ; @_ZN4vllm3moe10topkGatingILi8ELi16ELi4ELi16ELi32Ei6__halfLNS0_11ScoringFuncE0EEEvPKT5_PKbPfiPT4_PiiiibPKf
; %bb.0:
	s_load_dword s24, s[4:5], 0x18
	v_bfe_u32 v1, v0, 10, 10
	v_and_b32_e32 v0, 0x3ff, v0
	s_lshl_b32 s0, s6, 6
	v_lshlrev_b32_e32 v1, 4, v1
	v_lshrrev_b32_e32 v2, 1, v0
	v_add3_u32 v16, s0, v1, v2
	s_waitcnt lgkmcnt(0)
	v_cmp_gt_i32_e32 vcc, s24, v16
	s_and_saveexec_b64 s[0:1], vcc
	s_cbranch_execz .LBB75_30
; %bb.1:
	s_load_dwordx4 s[0:3], s[4:5], 0x0
	s_load_dwordx2 s[6:7], s[4:5], 0x10
	s_mov_b64 s[8:9], -1
	s_mov_b64 s[16:17], -1
	s_waitcnt lgkmcnt(0)
	s_cmp_eq_u64 s[2:3], 0
	s_cbranch_scc1 .LBB75_3
; %bb.2:
	v_ashrrev_i32_e32 v1, 31, v16
	v_mov_b32_e32 v3, s3
	v_add_co_u32_e32 v2, vcc, s2, v16
	v_addc_co_u32_e32 v3, vcc, v3, v1, vcc
	global_load_ubyte v1, v[2:3], off
	s_waitcnt vmcnt(0)
	v_and_b32_e32 v1, 1, v1
	v_cmp_eq_u32_e32 vcc, 1, v1
	s_xor_b64 s[2:3], vcc, -1
	s_orn2_b64 s[16:17], s[2:3], exec
.LBB75_3:
	v_lshlrev_b32_e32 v2, 4, v16
	v_ashrrev_i32_e32 v3, 31, v2
	v_lshlrev_b64 v[2:3], 1, v[2:3]
	v_mov_b32_e32 v1, s1
	v_add_co_u32_e32 v2, vcc, s0, v2
	v_and_b32_e32 v17, 1, v0
	v_addc_co_u32_e32 v1, vcc, v1, v3, vcc
	v_lshlrev_b32_e32 v0, 4, v17
	v_add_co_u32_e32 v0, vcc, v2, v0
	v_addc_co_u32_e32 v1, vcc, 0, v1, vcc
	global_load_dwordx4 v[0:3], v[0:1], off
	v_mbcnt_lo_u32_b32 v4, -1, 0
	v_mbcnt_hi_u32_b32 v4, -1, v4
	v_and_b32_e32 v6, 0x7e, v4
	v_xor_b32_e32 v5, 1, v4
	v_add_u32_e32 v6, 2, v6
	v_cmp_lt_i32_e32 vcc, v5, v6
	v_cndmask_b32_e32 v4, v4, v5, vcc
	v_lshlrev_b32_e32 v18, 2, v4
	s_mov_b32 s2, 0x3fb8aa3b
	s_mov_b32 s0, 0xc2ce8ed0
	;; [unrolled: 1-line block ×3, first 2 shown]
	v_mov_b32_e32 v10, 0x7f800000
	s_waitcnt vmcnt(0)
	v_cvt_f32_f16_e32 v6, v0
	v_cvt_f32_f16_sdwa v7, v0 dst_sel:DWORD dst_unused:UNUSED_PAD src0_sel:WORD_1
	v_cvt_f32_f16_e32 v8, v1
	v_cvt_f32_f16_sdwa v4, v1 dst_sel:DWORD dst_unused:UNUSED_PAD src0_sel:WORD_1
	;; [unrolled: 2-line block ×3, first 2 shown]
	v_cvt_f32_f16_sdwa v9, v3 dst_sel:DWORD dst_unused:UNUSED_PAD src0_sel:WORD_1
	v_cvt_f32_f16_e32 v1, v3
	v_max_f32_e32 v2, v6, v7
	v_max3_f32 v2, v2, v8, v4
	v_max3_f32 v2, v2, v5, v0
	v_max3_f32 v2, v2, v1, v9
	ds_bpermute_b32 v3, v18, v2
	s_waitcnt lgkmcnt(0)
	v_max_f32_e32 v3, v3, v3
	v_max_f32_e32 v2, v2, v3
	v_pk_add_f32 v[6:7], v[6:7], v[2:3] op_sel_hi:[1,0] neg_lo:[0,1] neg_hi:[0,1]
	v_sub_f32_e32 v3, v8, v2
	v_mul_f32_e32 v8, 0x3fb8aa3b, v7
	v_mul_f32_e32 v11, 0x3fb8aa3b, v6
	v_fma_f32 v19, v7, s2, -v8
	v_rndne_f32_e32 v20, v8
	v_pk_add_f32 v[4:5], v[4:5], v[2:3] op_sel_hi:[1,0] neg_lo:[0,1] neg_hi:[0,1]
	v_mul_f32_e32 v12, 0x3fb8aa3b, v3
	v_fma_f32 v21, v6, s2, -v11
	v_rndne_f32_e32 v22, v11
	v_fmac_f32_e32 v19, 0x32a5705f, v7
	v_sub_f32_e32 v8, v8, v20
	v_mul_f32_e32 v13, 0x3fb8aa3b, v5
	v_fma_f32 v23, v3, s2, -v12
	v_rndne_f32_e32 v24, v12
	v_fmac_f32_e32 v21, 0x32a5705f, v6
	v_sub_f32_e32 v11, v11, v22
	v_add_f32_e32 v8, v8, v19
	v_mul_f32_e32 v14, 0x3fb8aa3b, v4
	v_fma_f32 v25, v5, s2, -v13
	v_rndne_f32_e32 v26, v13
	v_cvt_i32_f32_e32 v20, v20
	v_fmac_f32_e32 v23, 0x32a5705f, v3
	v_sub_f32_e32 v12, v12, v24
	v_add_f32_e32 v11, v11, v21
	v_exp_f32_e32 v8, v8
	v_fma_f32 v27, v4, s2, -v14
	v_rndne_f32_e32 v28, v14
	v_cvt_i32_f32_e32 v22, v22
	v_fmac_f32_e32 v25, 0x32a5705f, v5
	v_sub_f32_e32 v13, v13, v26
	v_add_f32_e32 v12, v12, v23
	v_exp_f32_e32 v11, v11
	v_cvt_i32_f32_e32 v24, v24
	v_fmac_f32_e32 v27, 0x32a5705f, v4
	v_sub_f32_e32 v14, v14, v28
	v_add_f32_e32 v13, v13, v25
	v_exp_f32_e32 v12, v12
	v_cvt_i32_f32_e32 v26, v26
	v_add_f32_e32 v14, v14, v27
	v_exp_f32_e32 v13, v13
	v_cvt_i32_f32_e32 v28, v28
	v_exp_f32_e32 v14, v14
	v_ldexp_f32 v8, v8, v20
	v_cmp_ngt_f32_e32 vcc, s0, v7
	v_ldexp_f32 v11, v11, v22
	v_cndmask_b32_e32 v8, 0, v8, vcc
	v_cmp_ngt_f32_e32 vcc, s0, v6
	v_ldexp_f32 v12, v12, v24
	v_cndmask_b32_e32 v11, 0, v11, vcc
	;; [unrolled: 3-line block ×4, first 2 shown]
	v_cmp_ngt_f32_e32 vcc, s0, v4
	v_pk_add_f32 v[0:1], v[0:1], v[2:3] op_sel_hi:[1,0] neg_lo:[0,1] neg_hi:[0,1]
	v_cndmask_b32_e32 v14, 0, v14, vcc
	v_cmp_nlt_f32_e32 vcc, s1, v7
	v_mul_f32_e32 v15, 0x3fb8aa3b, v1
	v_cndmask_b32_e32 v7, v10, v8, vcc
	v_cmp_nlt_f32_e32 vcc, s1, v6
	v_fma_f32 v29, v1, s2, -v15
	v_cndmask_b32_e32 v6, v10, v11, vcc
	v_cmp_nlt_f32_e32 vcc, s1, v3
	v_rndne_f32_e32 v11, v15
	v_fmac_f32_e32 v29, 0x32a5705f, v1
	v_cndmask_b32_e32 v3, v10, v12, vcc
	v_sub_f32_e32 v12, v15, v11
	v_add_f32_e32 v12, v12, v29
	v_exp_f32_e32 v12, v12
	v_cvt_i32_f32_e32 v11, v11
	v_cmp_nlt_f32_e32 vcc, s1, v5
	v_cndmask_b32_e32 v5, v10, v13, vcc
	v_cmp_nlt_f32_e32 vcc, s1, v4
	v_ldexp_f32 v11, v12, v11
	v_mul_f32_e32 v12, 0x3fb8aa3b, v0
	v_cndmask_b32_e32 v4, v10, v14, vcc
	v_fma_f32 v13, v0, s2, -v12
	v_rndne_f32_e32 v14, v12
	v_fmac_f32_e32 v13, 0x32a5705f, v0
	v_sub_f32_e32 v12, v12, v14
	v_add_f32_e32 v12, v12, v13
	v_exp_f32_e32 v12, v12
	v_cvt_i32_f32_e32 v13, v14
	v_cmp_ngt_f32_e32 vcc, s0, v1
	v_sub_f32_e32 v2, v9, v2
	v_cndmask_b32_e32 v11, 0, v11, vcc
	v_cmp_nlt_f32_e32 vcc, s1, v1
	v_mul_f32_e32 v9, 0x3fb8aa3b, v2
	v_cndmask_b32_e32 v1, v10, v11, vcc
	v_ldexp_f32 v11, v12, v13
	v_fma_f32 v12, v2, s2, -v9
	v_rndne_f32_e32 v13, v9
	v_fmac_f32_e32 v12, 0x32a5705f, v2
	v_sub_f32_e32 v9, v9, v13
	v_add_f32_e32 v9, v9, v12
	v_exp_f32_e32 v9, v9
	v_cvt_i32_f32_e32 v12, v13
	v_add_f32_e32 v8, v6, v7
	v_add_f32_e32 v8, v8, v3
	v_cmp_ngt_f32_e32 vcc, s0, v0
	v_add_f32_e32 v8, v8, v4
	v_cndmask_b32_e32 v11, 0, v11, vcc
	v_cmp_nlt_f32_e32 vcc, s1, v0
	v_add_f32_e32 v8, v8, v5
	v_cndmask_b32_e32 v0, v10, v11, vcc
	v_ldexp_f32 v9, v9, v12
	v_cmp_ngt_f32_e32 vcc, s0, v2
	v_add_f32_e32 v8, v8, v0
	v_cndmask_b32_e32 v9, 0, v9, vcc
	v_cmp_nlt_f32_e32 vcc, s1, v2
	v_add_f32_e32 v8, v8, v1
	v_cndmask_b32_e32 v10, v10, v9, vcc
	v_add_f32_e32 v2, v8, v10
	ds_bpermute_b32 v8, v18, v2
	s_movk_i32 s2, 0x1f8
	v_lshlrev_b32_e32 v19, 3, v17
	s_waitcnt lgkmcnt(0)
	v_add_f32_e32 v2, v2, v8
	v_div_scale_f32 v8, s[0:1], v2, v2, 1.0
	v_rcp_f32_e32 v9, v8
	s_load_dwordx2 s[0:1], s[4:5], 0x40
	v_fma_f32 v11, -v8, v9, 1.0
	v_fmac_f32_e32 v9, v11, v9
	v_div_scale_f32 v11, vcc, 1.0, v2, 1.0
	v_mul_f32_e32 v12, v11, v9
	v_fma_f32 v13, -v8, v12, v11
	v_fmac_f32_e32 v12, v13, v9
	v_fma_f32 v8, -v8, v12, v11
	v_div_fmas_f32 v8, v8, v9, v12
	v_div_fixup_f32 v2, v8, v2, 1.0
	v_mul_f32_e32 v11, v2, v6
	v_mul_f32_e32 v12, v2, v7
	;; [unrolled: 1-line block ×3, first 2 shown]
	v_cmp_class_f32_e64 vcc, v11, s2
	v_pk_mul_f32 v[8:9], v[2:3], v[0:1] op_sel_hi:[0,1]
	v_cndmask_b32_e32 v0, 0, v11, vcc
	v_cmp_class_f32_e64 vcc, v12, s2
	v_pk_mul_f32 v[6:7], v[2:3], v[4:5] op_sel_hi:[0,1]
	v_cndmask_b32_e32 v1, 0, v12, vcc
	v_cmp_class_f32_e64 vcc, v3, s2
	v_mov_b32_e32 v5, 0x207
	v_mul_f32_e32 v10, v2, v10
	v_cndmask_b32_e32 v2, 0, v3, vcc
	v_cmp_class_f32_e32 vcc, v7, v5
	v_cndmask_b32_e64 v4, v7, 0, vcc
	v_cmp_class_f32_e32 vcc, v6, v5
	v_cndmask_b32_e64 v3, v6, 0, vcc
	;; [unrolled: 2-line block ×4, first 2 shown]
	v_cmp_class_f32_e64 vcc, v10, s2
	s_waitcnt lgkmcnt(0)
	s_cmp_eq_u64 s[0:1], 0
	v_cndmask_b32_e32 v7, 0, v10, vcc
	s_cbranch_scc1 .LBB75_19
; %bb.4:
	v_lshlrev_b32_e32 v20, 2, v19
	global_load_dwordx4 v[8:11], v20, s[0:1]
	global_load_dwordx4 v[12:15], v20, s[0:1] offset:16
	s_waitcnt vmcnt(1)
	v_pk_add_f32 v[8:9], v[8:9], v[0:1]
	v_pk_add_f32 v[10:11], v[10:11], v[2:3]
	s_waitcnt vmcnt(0)
	v_pk_add_f32 v[12:13], v[12:13], v[4:5]
	v_pk_add_f32 v[14:15], v[14:15], v[6:7]
	s_cbranch_execnz .LBB75_6
.LBB75_5:
	v_pk_mov_b32 v[14:15], v[6:7], v[6:7] op_sel:[0,1]
	v_pk_mov_b32 v[12:13], v[4:5], v[4:5] op_sel:[0,1]
	;; [unrolled: 1-line block ×4, first 2 shown]
.LBB75_6:
	s_load_dwordx4 s[8:11], s[4:5], 0x30
	s_mov_b32 s25, 0
	v_cmp_eq_u32_e64 s[0:1], 0, v17
	s_waitcnt lgkmcnt(0)
	s_bitcmp1_b32 s11, 0
	s_cselect_b64 vcc, -1, 0
	s_cmp_gt_i32 s8, 0
	s_cselect_b64 s[18:19], -1, 0
	s_cmp_lt_i32 s8, 1
	s_cbranch_scc1 .LBB75_20
; %bb.7:
	s_load_dwordx4 s[12:15], s[4:5], 0x20
	v_mul_lo_u32 v21, v16, s8
	v_mov_b32_e32 v20, 0
	v_mov_b32_e32 v22, 0xc61c4000
	;; [unrolled: 1-line block ×3, first 2 shown]
	s_branch .LBB75_10
.LBB75_8:                               ;   in Loop: Header=BB75_10 Depth=1
	s_or_b64 exec, exec, s[4:5]
.LBB75_9:                               ;   in Loop: Header=BB75_10 Depth=1
	s_cmp_eq_u32 s8, s25
	v_add_u32_e32 v23, s24, v23
	s_cbranch_scc1 .LBB75_21
.LBB75_10:                              ; =>This Inner Loop Header: Depth=1
	v_cmp_gt_f32_e64 s[2:3], v9, v8
	v_cndmask_b32_e64 v24, v8, v9, s[2:3]
	v_cndmask_b32_e64 v25, v0, v1, s[2:3]
	v_cndmask_b32_e64 v26, 0, 1, s[2:3]
	v_cmp_gt_f32_e64 s[2:3], v10, v24
	v_cndmask_b32_e64 v24, v24, v10, s[2:3]
	v_cndmask_b32_e64 v25, v25, v2, s[2:3]
	v_cndmask_b32_e64 v26, v26, 2, s[2:3]
	;; [unrolled: 4-line block ×7, first 2 shown]
	v_or_b32_e32 v24, v19, v24
	ds_bpermute_b32 v29, v18, v28
	ds_bpermute_b32 v27, v18, v25
	;; [unrolled: 1-line block ×3, first 2 shown]
	s_waitcnt lgkmcnt(0)
	v_cmp_lt_f32_e64 s[20:21], v28, v29
	v_cmp_nlt_f32_e64 s[2:3], v28, v29
	s_and_saveexec_b64 s[22:23], s[2:3]
	s_cbranch_execnz .LBB75_14
; %bb.11:                               ;   in Loop: Header=BB75_10 Depth=1
	s_or_b64 exec, exec, s[22:23]
	s_and_saveexec_b64 s[2:3], s[20:21]
	s_cbranch_execnz .LBB75_15
.LBB75_12:                              ;   in Loop: Header=BB75_10 Depth=1
	s_or_b64 exec, exec, s[2:3]
	s_and_saveexec_b64 s[20:21], s[0:1]
	s_cbranch_execnz .LBB75_16
.LBB75_13:                              ;   in Loop: Header=BB75_10 Depth=1
	s_or_b64 exec, exec, s[20:21]
	s_add_i32 s25, s25, 1
	s_cmp_ge_i32 s25, s8
	s_cbranch_scc1 .LBB75_9
	s_branch .LBB75_17
.LBB75_14:                              ;   in Loop: Header=BB75_10 Depth=1
	v_cmp_eq_f32_e64 s[2:3], v28, v29
	v_cmp_lt_i32_e64 s[4:5], v26, v24
	s_and_b64 s[2:3], s[2:3], s[4:5]
	s_andn2_b64 s[4:5], s[20:21], exec
	s_and_b64 s[2:3], s[2:3], exec
	s_or_b64 s[20:21], s[4:5], s[2:3]
	s_or_b64 exec, exec, s[22:23]
	s_and_saveexec_b64 s[2:3], s[20:21]
	s_cbranch_execz .LBB75_12
.LBB75_15:                              ;   in Loop: Header=BB75_10 Depth=1
	v_mov_b32_e32 v25, v27
	v_mov_b32_e32 v24, v26
	s_or_b64 exec, exec, s[2:3]
	s_and_saveexec_b64 s[20:21], s[0:1]
	s_cbranch_execz .LBB75_13
.LBB75_16:                              ;   in Loop: Header=BB75_10 Depth=1
	v_add_u32_e32 v26, s25, v21
	v_ashrrev_i32_e32 v27, 31, v26
	v_cmp_le_i32_e64 s[2:3], s9, v24
	v_cmp_gt_i32_e64 s[4:5], s10, v24
	v_lshlrev_b64 v[26:27], 2, v[26:27]
	s_and_b64 s[4:5], s[2:3], s[4:5]
	v_mov_b32_e32 v29, s7
	v_add_co_u32_e64 v28, s[2:3], s6, v26
	v_addc_co_u32_e64 v29, s[2:3], v29, v27, s[2:3]
	global_store_dword v[28:29], v25, off
	v_subrev_u32_e32 v28, s9, v24
	s_and_b64 s[2:3], s[16:17], s[4:5]
	v_cndmask_b32_e64 v30, 16, v28, s[2:3]
	v_mov_b32_e32 v29, s13
	v_add_co_u32_e64 v28, s[2:3], s12, v26
	v_addc_co_u32_e64 v29, s[2:3], v29, v27, s[2:3]
	global_store_dword v[28:29], v30, off
	v_mov_b32_e32 v28, s15
	v_add_co_u32_e64 v26, s[2:3], s14, v26
	v_add_f32_e32 v25, v20, v25
	v_addc_co_u32_e64 v27, s[2:3], v28, v27, s[2:3]
	v_cndmask_b32_e32 v20, v20, v25, vcc
	global_store_dword v[26:27], v23, off
	s_or_b64 exec, exec, s[20:21]
	s_add_i32 s25, s25, 1
	s_cmp_ge_i32 s25, s8
	s_cbranch_scc1 .LBB75_9
.LBB75_17:                              ;   in Loop: Header=BB75_10 Depth=1
	v_ashrrev_i32_e32 v26, 31, v24
	v_lshrrev_b32_e32 v25, 29, v26
	v_add_u32_e32 v27, v24, v25
	v_ashrrev_i32_e32 v25, 3, v27
	v_lshrrev_b32_e32 v27, 31, v27
	v_add_u32_e32 v27, v25, v27
	v_and_b32_e32 v27, -2, v27
	v_sub_u32_e32 v27, v25, v27
	v_cmp_eq_u32_e64 s[2:3], v17, v27
	s_and_saveexec_b64 s[4:5], s[2:3]
	s_cbranch_execz .LBB75_8
; %bb.18:                               ;   in Loop: Header=BB75_10 Depth=1
	v_lshrrev_b32_e32 v26, 28, v26
	v_add_u32_e32 v26, v24, v26
	v_lshlrev_b32_e32 v25, 3, v25
	v_ashrrev_i32_e32 v26, 4, v26
	v_sub_u32_e32 v24, v24, v25
	v_lshl_add_u32 v24, v26, 3, v24
	v_cmp_ne_u32_e64 s[2:3], 7, v24
	v_cndmask_b32_e64 v15, v22, v15, s[2:3]
	v_cmp_ne_u32_e64 s[2:3], 6, v24
	v_cndmask_b32_e64 v14, v22, v14, s[2:3]
	;; [unrolled: 2-line block ×8, first 2 shown]
	s_branch .LBB75_8
.LBB75_19:
                                        ; implicit-def: $vgpr8_vgpr9_vgpr10_vgpr11_vgpr12_vgpr13_vgpr14_vgpr15
	s_andn2_b64 vcc, exec, s[8:9]
	s_cbranch_vccz .LBB75_5
	s_branch .LBB75_6
.LBB75_20:
	v_mov_b32_e32 v20, 0
.LBB75_21:
	v_cmp_eq_u32_e64 s[0:1], 0, v17
	s_and_b64 s[0:1], s[0:1], vcc
	s_and_b64 exec, exec, s[0:1]
	s_cbranch_execz .LBB75_30
; %bb.22:
	s_andn2_b64 vcc, exec, s[18:19]
	s_cbranch_vccnz .LBB75_30
; %bb.23:
	v_cmp_lt_f32_e32 vcc, 0, v20
	s_mov_b32 s2, 0
	v_cndmask_b32_e32 v0, 1.0, v20, vcc
	v_mul_lo_u32 v4, v16, s8
	s_cmp_eq_u32 s8, 1
	s_mov_b64 s[0:1], -1
	s_cbranch_scc1 .LBB75_27
; %bb.24:
	s_and_b32 s2, s8, 0x7ffffffe
	v_mov_b32_e32 v1, v0
	v_mov_b32_e32 v5, s7
	s_mov_b32 s3, s2
	v_mov_b32_e32 v2, v4
.LBB75_25:                              ; =>This Inner Loop Header: Depth=1
	v_ashrrev_i32_e32 v3, 31, v2
	v_lshlrev_b64 v[6:7], 2, v[2:3]
	v_add_co_u32_e32 v6, vcc, s6, v6
	v_addc_co_u32_e32 v7, vcc, v5, v7, vcc
	global_load_dwordx2 v[8:9], v[6:7], off
	s_add_i32 s3, s3, -2
	s_cmp_lg_u32 s3, 0
	v_add_u32_e32 v2, 2, v2
	s_waitcnt vmcnt(0)
	v_div_scale_f32 v3, s[0:1], v1, v1, v9
	v_div_scale_f32 v11, s[0:1], v0, v0, v8
	v_rcp_f32_e32 v12, v3
	v_rcp_f32_e32 v13, v11
	v_div_scale_f32 v10, vcc, v9, v1, v9
	v_fma_f32 v15, -v3, v12, 1.0
	v_fma_f32 v16, -v11, v13, 1.0
	v_fmac_f32_e32 v12, v15, v12
	v_div_scale_f32 v14, s[0:1], v8, v0, v8
	v_fmac_f32_e32 v13, v16, v13
	v_mul_f32_e32 v15, v10, v12
	v_mul_f32_e32 v16, v14, v13
	v_fma_f32 v17, -v3, v15, v10
	v_fma_f32 v18, -v11, v16, v14
	v_fmac_f32_e32 v15, v17, v12
	v_fmac_f32_e32 v16, v18, v13
	v_fma_f32 v3, -v3, v15, v10
	v_fma_f32 v10, -v11, v16, v14
	v_div_fmas_f32 v3, v3, v12, v15
	s_mov_b64 vcc, s[0:1]
	v_div_fixup_f32 v9, v3, v1, v9
	v_div_fmas_f32 v3, v10, v13, v16
	v_div_fixup_f32 v8, v3, v0, v8
	global_store_dwordx2 v[6:7], v[8:9], off
	s_cbranch_scc1 .LBB75_25
; %bb.26:
	s_cmp_lg_u32 s2, s8
	s_cselect_b64 s[0:1], -1, 0
.LBB75_27:
	s_and_b64 vcc, exec, s[0:1]
	s_cbranch_vccz .LBB75_30
; %bb.28:
	v_ashrrev_i32_e32 v1, 31, v4
	v_add_co_u32_e32 v2, vcc, s2, v4
	v_addc_co_u32_e32 v3, vcc, 0, v1, vcc
	v_lshlrev_b64 v[2:3], 2, v[2:3]
	v_mov_b32_e32 v1, s7
	v_add_co_u32_e32 v2, vcc, s6, v2
	s_sub_i32 s0, s8, s2
	v_addc_co_u32_e32 v3, vcc, v1, v3, vcc
.LBB75_29:                              ; =>This Inner Loop Header: Depth=1
	global_load_dword v1, v[2:3], off
	s_add_i32 s0, s0, -1
	s_cmp_lg_u32 s0, 0
	s_waitcnt vmcnt(0)
	v_div_scale_f32 v4, s[2:3], v0, v0, v1
	v_rcp_f32_e32 v5, v4
	v_div_scale_f32 v6, vcc, v1, v0, v1
	v_fma_f32 v7, -v4, v5, 1.0
	v_fmac_f32_e32 v5, v7, v5
	v_mul_f32_e32 v7, v6, v5
	v_fma_f32 v8, -v4, v7, v6
	v_fmac_f32_e32 v7, v8, v5
	v_fma_f32 v4, -v4, v7, v6
	v_div_fmas_f32 v4, v4, v5, v7
	v_div_fixup_f32 v1, v4, v0, v1
	global_store_dword v[2:3], v1, off
	v_add_co_u32_e32 v2, vcc, 4, v2
	v_addc_co_u32_e32 v3, vcc, 0, v3, vcc
	s_cbranch_scc1 .LBB75_29
.LBB75_30:
	s_endpgm
	.section	.rodata,"a",@progbits
	.p2align	6, 0x0
	.amdhsa_kernel _ZN4vllm3moe10topkGatingILi8ELi16ELi4ELi16ELi32Ei6__halfLNS0_11ScoringFuncE0EEEvPKT5_PKbPfiPT4_PiiiibPKf
		.amdhsa_group_segment_fixed_size 0
		.amdhsa_private_segment_fixed_size 0
		.amdhsa_kernarg_size 72
		.amdhsa_user_sgpr_count 6
		.amdhsa_user_sgpr_private_segment_buffer 1
		.amdhsa_user_sgpr_dispatch_ptr 0
		.amdhsa_user_sgpr_queue_ptr 0
		.amdhsa_user_sgpr_kernarg_segment_ptr 1
		.amdhsa_user_sgpr_dispatch_id 0
		.amdhsa_user_sgpr_flat_scratch_init 0
		.amdhsa_user_sgpr_kernarg_preload_length 0
		.amdhsa_user_sgpr_kernarg_preload_offset 0
		.amdhsa_user_sgpr_private_segment_size 0
		.amdhsa_uses_dynamic_stack 0
		.amdhsa_system_sgpr_private_segment_wavefront_offset 0
		.amdhsa_system_sgpr_workgroup_id_x 1
		.amdhsa_system_sgpr_workgroup_id_y 0
		.amdhsa_system_sgpr_workgroup_id_z 0
		.amdhsa_system_sgpr_workgroup_info 0
		.amdhsa_system_vgpr_workitem_id 1
		.amdhsa_next_free_vgpr 31
		.amdhsa_next_free_sgpr 26
		.amdhsa_accum_offset 32
		.amdhsa_reserve_vcc 1
		.amdhsa_reserve_flat_scratch 0
		.amdhsa_float_round_mode_32 0
		.amdhsa_float_round_mode_16_64 0
		.amdhsa_float_denorm_mode_32 3
		.amdhsa_float_denorm_mode_16_64 3
		.amdhsa_dx10_clamp 1
		.amdhsa_ieee_mode 1
		.amdhsa_fp16_overflow 0
		.amdhsa_tg_split 0
		.amdhsa_exception_fp_ieee_invalid_op 0
		.amdhsa_exception_fp_denorm_src 0
		.amdhsa_exception_fp_ieee_div_zero 0
		.amdhsa_exception_fp_ieee_overflow 0
		.amdhsa_exception_fp_ieee_underflow 0
		.amdhsa_exception_fp_ieee_inexact 0
		.amdhsa_exception_int_div_zero 0
	.end_amdhsa_kernel
	.section	.text._ZN4vllm3moe10topkGatingILi8ELi16ELi4ELi16ELi32Ei6__halfLNS0_11ScoringFuncE0EEEvPKT5_PKbPfiPT4_PiiiibPKf,"axG",@progbits,_ZN4vllm3moe10topkGatingILi8ELi16ELi4ELi16ELi32Ei6__halfLNS0_11ScoringFuncE0EEEvPKT5_PKbPfiPT4_PiiiibPKf,comdat
.Lfunc_end75:
	.size	_ZN4vllm3moe10topkGatingILi8ELi16ELi4ELi16ELi32Ei6__halfLNS0_11ScoringFuncE0EEEvPKT5_PKbPfiPT4_PiiiibPKf, .Lfunc_end75-_ZN4vllm3moe10topkGatingILi8ELi16ELi4ELi16ELi32Ei6__halfLNS0_11ScoringFuncE0EEEvPKT5_PKbPfiPT4_PiiiibPKf
                                        ; -- End function
	.section	.AMDGPU.csdata,"",@progbits
; Kernel info:
; codeLenInByte = 2648
; NumSgprs: 30
; NumVgprs: 31
; NumAgprs: 0
; TotalNumVgprs: 31
; ScratchSize: 0
; MemoryBound: 0
; FloatMode: 240
; IeeeMode: 1
; LDSByteSize: 0 bytes/workgroup (compile time only)
; SGPRBlocks: 3
; VGPRBlocks: 3
; NumSGPRsForWavesPerEU: 30
; NumVGPRsForWavesPerEU: 31
; AccumOffset: 32
; Occupancy: 8
; WaveLimiterHint : 0
; COMPUTE_PGM_RSRC2:SCRATCH_EN: 0
; COMPUTE_PGM_RSRC2:USER_SGPR: 6
; COMPUTE_PGM_RSRC2:TRAP_HANDLER: 0
; COMPUTE_PGM_RSRC2:TGID_X_EN: 1
; COMPUTE_PGM_RSRC2:TGID_Y_EN: 0
; COMPUTE_PGM_RSRC2:TGID_Z_EN: 0
; COMPUTE_PGM_RSRC2:TIDIG_COMP_CNT: 1
; COMPUTE_PGM_RSRC3_GFX90A:ACCUM_OFFSET: 7
; COMPUTE_PGM_RSRC3_GFX90A:TG_SPLIT: 0
	.section	.text._ZN4vllm3moe10topkGatingILi8ELi32ELi4ELi16ELi64Ei6__halfLNS0_11ScoringFuncE0EEEvPKT5_PKbPfiPT4_PiiiibPKf,"axG",@progbits,_ZN4vllm3moe10topkGatingILi8ELi32ELi4ELi16ELi64Ei6__halfLNS0_11ScoringFuncE0EEEvPKT5_PKbPfiPT4_PiiiibPKf,comdat
	.protected	_ZN4vllm3moe10topkGatingILi8ELi32ELi4ELi16ELi64Ei6__halfLNS0_11ScoringFuncE0EEEvPKT5_PKbPfiPT4_PiiiibPKf ; -- Begin function _ZN4vllm3moe10topkGatingILi8ELi32ELi4ELi16ELi64Ei6__halfLNS0_11ScoringFuncE0EEEvPKT5_PKbPfiPT4_PiiiibPKf
	.globl	_ZN4vllm3moe10topkGatingILi8ELi32ELi4ELi16ELi64Ei6__halfLNS0_11ScoringFuncE0EEEvPKT5_PKbPfiPT4_PiiiibPKf
	.p2align	8
	.type	_ZN4vllm3moe10topkGatingILi8ELi32ELi4ELi16ELi64Ei6__halfLNS0_11ScoringFuncE0EEEvPKT5_PKbPfiPT4_PiiiibPKf,@function
_ZN4vllm3moe10topkGatingILi8ELi32ELi4ELi16ELi64Ei6__halfLNS0_11ScoringFuncE0EEEvPKT5_PKbPfiPT4_PiiiibPKf: ; @_ZN4vllm3moe10topkGatingILi8ELi32ELi4ELi16ELi64Ei6__halfLNS0_11ScoringFuncE0EEEvPKT5_PKbPfiPT4_PiiiibPKf
; %bb.0:
	s_load_dword s22, s[4:5], 0x18
	v_bfe_u32 v1, v0, 10, 10
	v_and_b32_e32 v0, 0x3ff, v0
	s_lshl_b32 s0, s6, 6
	v_lshlrev_b32_e32 v1, 4, v1
	v_lshrrev_b32_e32 v2, 2, v0
	v_add3_u32 v16, s0, v1, v2
	s_waitcnt lgkmcnt(0)
	v_cmp_gt_i32_e32 vcc, s22, v16
	s_and_saveexec_b64 s[0:1], vcc
	s_cbranch_execz .LBB76_26
; %bb.1:
	s_load_dwordx4 s[0:3], s[4:5], 0x0
	s_load_dwordx2 s[16:17], s[4:5], 0x10
	s_mov_b64 s[6:7], -1
	s_mov_b64 s[18:19], -1
	s_waitcnt lgkmcnt(0)
	s_cmp_eq_u64 s[2:3], 0
	s_cbranch_scc1 .LBB76_3
; %bb.2:
	v_ashrrev_i32_e32 v1, 31, v16
	v_mov_b32_e32 v3, s3
	v_add_co_u32_e32 v2, vcc, s2, v16
	v_addc_co_u32_e32 v3, vcc, v3, v1, vcc
	global_load_ubyte v1, v[2:3], off
	s_waitcnt vmcnt(0)
	v_and_b32_e32 v1, 1, v1
	v_cmp_eq_u32_e32 vcc, 1, v1
	s_xor_b64 s[2:3], vcc, -1
	s_orn2_b64 s[18:19], s[2:3], exec
.LBB76_3:
	v_lshlrev_b32_e32 v2, 5, v16
	v_ashrrev_i32_e32 v3, 31, v2
	v_lshlrev_b64 v[2:3], 1, v[2:3]
	v_mov_b32_e32 v1, s1
	v_add_co_u32_e32 v2, vcc, s0, v2
	v_and_b32_e32 v17, 3, v0
	v_addc_co_u32_e32 v1, vcc, v1, v3, vcc
	v_lshlrev_b32_e32 v0, 4, v17
	v_add_co_u32_e32 v0, vcc, v2, v0
	v_addc_co_u32_e32 v1, vcc, 0, v1, vcc
	global_load_dwordx4 v[0:3], v[0:1], off
	v_mbcnt_lo_u32_b32 v4, -1, 0
	v_mbcnt_hi_u32_b32 v8, -1, v4
	v_and_b32_e32 v4, 0x7c, v8
	v_xor_b32_e32 v5, 2, v8
	v_add_u32_e32 v9, 4, v4
	v_cmp_lt_i32_e32 vcc, v5, v9
	v_cndmask_b32_e32 v4, v8, v5, vcc
	v_lshlrev_b32_e32 v18, 2, v4
	v_xor_b32_e32 v12, 1, v8
	v_cmp_lt_i32_e32 vcc, v12, v9
	v_cndmask_b32_e32 v8, v8, v12, vcc
	v_lshlrev_b32_e32 v19, 2, v8
	s_mov_b32 s2, 0x3fb8aa3b
	s_mov_b32 s0, 0xc2ce8ed0
	;; [unrolled: 1-line block ×3, first 2 shown]
	v_mov_b32_e32 v8, 0x7f800000
	s_waitcnt vmcnt(0)
	v_cvt_f32_f16_e32 v6, v0
	v_cvt_f32_f16_sdwa v7, v0 dst_sel:DWORD dst_unused:UNUSED_PAD src0_sel:WORD_1
	v_cvt_f32_f16_e32 v10, v1
	v_cvt_f32_f16_sdwa v4, v1 dst_sel:DWORD dst_unused:UNUSED_PAD src0_sel:WORD_1
	;; [unrolled: 2-line block ×3, first 2 shown]
	v_cvt_f32_f16_sdwa v11, v3 dst_sel:DWORD dst_unused:UNUSED_PAD src0_sel:WORD_1
	v_cvt_f32_f16_e32 v1, v3
	v_max_f32_e32 v2, v6, v7
	v_max3_f32 v2, v2, v10, v4
	v_max3_f32 v2, v2, v5, v0
	;; [unrolled: 1-line block ×3, first 2 shown]
	ds_bpermute_b32 v3, v18, v2
	s_waitcnt lgkmcnt(0)
	v_max_f32_e32 v3, v3, v3
	v_max_f32_e32 v2, v2, v3
	ds_bpermute_b32 v3, v19, v2
	s_waitcnt lgkmcnt(0)
	v_max_f32_e32 v3, v3, v3
	v_max_f32_e32 v2, v2, v3
	v_pk_add_f32 v[6:7], v[6:7], v[2:3] op_sel_hi:[1,0] neg_lo:[0,1] neg_hi:[0,1]
	v_mul_f32_e32 v9, 0x3fb8aa3b, v7
	v_sub_f32_e32 v3, v10, v2
	v_mul_f32_e32 v10, 0x3fb8aa3b, v6
	v_fma_f32 v20, v7, s2, -v9
	v_rndne_f32_e32 v21, v9
	v_pk_add_f32 v[4:5], v[4:5], v[2:3] op_sel_hi:[1,0] neg_lo:[0,1] neg_hi:[0,1]
	v_mul_f32_e32 v12, 0x3fb8aa3b, v3
	v_fma_f32 v22, v6, s2, -v10
	v_rndne_f32_e32 v23, v10
	v_fmac_f32_e32 v20, 0x32a5705f, v7
	v_sub_f32_e32 v9, v9, v21
	v_mul_f32_e32 v13, 0x3fb8aa3b, v5
	v_fma_f32 v24, v3, s2, -v12
	v_rndne_f32_e32 v25, v12
	v_fmac_f32_e32 v22, 0x32a5705f, v6
	v_sub_f32_e32 v10, v10, v23
	v_add_f32_e32 v9, v9, v20
	v_mul_f32_e32 v14, 0x3fb8aa3b, v4
	v_fma_f32 v26, v5, s2, -v13
	v_rndne_f32_e32 v27, v13
	v_cvt_i32_f32_e32 v21, v21
	v_fmac_f32_e32 v24, 0x32a5705f, v3
	v_sub_f32_e32 v12, v12, v25
	v_add_f32_e32 v10, v10, v22
	v_exp_f32_e32 v9, v9
	v_fma_f32 v28, v4, s2, -v14
	v_rndne_f32_e32 v29, v14
	v_cvt_i32_f32_e32 v23, v23
	v_fmac_f32_e32 v26, 0x32a5705f, v5
	v_sub_f32_e32 v13, v13, v27
	v_add_f32_e32 v12, v12, v24
	v_exp_f32_e32 v10, v10
	v_cvt_i32_f32_e32 v25, v25
	v_fmac_f32_e32 v28, 0x32a5705f, v4
	v_sub_f32_e32 v14, v14, v29
	v_add_f32_e32 v13, v13, v26
	v_exp_f32_e32 v12, v12
	v_cvt_i32_f32_e32 v27, v27
	v_add_f32_e32 v14, v14, v28
	v_exp_f32_e32 v13, v13
	v_cvt_i32_f32_e32 v29, v29
	v_exp_f32_e32 v14, v14
	v_ldexp_f32 v9, v9, v21
	v_cmp_ngt_f32_e32 vcc, s0, v7
	v_ldexp_f32 v10, v10, v23
	v_cndmask_b32_e32 v9, 0, v9, vcc
	v_cmp_ngt_f32_e32 vcc, s0, v6
	v_ldexp_f32 v12, v12, v25
	v_cndmask_b32_e32 v10, 0, v10, vcc
	;; [unrolled: 3-line block ×4, first 2 shown]
	v_cmp_ngt_f32_e32 vcc, s0, v4
	v_pk_add_f32 v[0:1], v[0:1], v[2:3] op_sel_hi:[1,0] neg_lo:[0,1] neg_hi:[0,1]
	v_cndmask_b32_e32 v14, 0, v14, vcc
	v_cmp_nlt_f32_e32 vcc, s1, v7
	v_mul_f32_e32 v15, 0x3fb8aa3b, v1
	v_cndmask_b32_e32 v7, v8, v9, vcc
	v_cmp_nlt_f32_e32 vcc, s1, v6
	v_fma_f32 v30, v1, s2, -v15
	v_cndmask_b32_e32 v6, v8, v10, vcc
	v_cmp_nlt_f32_e32 vcc, s1, v3
	v_rndne_f32_e32 v10, v15
	v_fmac_f32_e32 v30, 0x32a5705f, v1
	v_cndmask_b32_e32 v3, v8, v12, vcc
	v_sub_f32_e32 v12, v15, v10
	v_add_f32_e32 v12, v12, v30
	v_exp_f32_e32 v12, v12
	v_cvt_i32_f32_e32 v10, v10
	v_cmp_nlt_f32_e32 vcc, s1, v5
	v_cndmask_b32_e32 v5, v8, v13, vcc
	v_cmp_nlt_f32_e32 vcc, s1, v4
	v_ldexp_f32 v10, v12, v10
	v_mul_f32_e32 v12, 0x3fb8aa3b, v0
	v_cndmask_b32_e32 v4, v8, v14, vcc
	v_fma_f32 v13, v0, s2, -v12
	v_rndne_f32_e32 v14, v12
	v_fmac_f32_e32 v13, 0x32a5705f, v0
	v_sub_f32_e32 v12, v12, v14
	v_add_f32_e32 v12, v12, v13
	v_exp_f32_e32 v12, v12
	v_cvt_i32_f32_e32 v13, v14
	v_cmp_ngt_f32_e32 vcc, s0, v1
	v_sub_f32_e32 v2, v11, v2
	v_cndmask_b32_e32 v10, 0, v10, vcc
	v_cmp_nlt_f32_e32 vcc, s1, v1
	v_mul_f32_e32 v11, 0x3fb8aa3b, v2
	v_cndmask_b32_e32 v1, v8, v10, vcc
	v_ldexp_f32 v10, v12, v13
	v_fma_f32 v12, v2, s2, -v11
	v_rndne_f32_e32 v13, v11
	v_fmac_f32_e32 v12, 0x32a5705f, v2
	v_sub_f32_e32 v11, v11, v13
	v_add_f32_e32 v11, v11, v12
	v_exp_f32_e32 v11, v11
	v_cvt_i32_f32_e32 v12, v13
	v_add_f32_e32 v9, v6, v7
	v_add_f32_e32 v9, v9, v3
	v_cmp_ngt_f32_e32 vcc, s0, v0
	v_add_f32_e32 v9, v9, v4
	v_cndmask_b32_e32 v10, 0, v10, vcc
	v_cmp_nlt_f32_e32 vcc, s1, v0
	v_add_f32_e32 v9, v9, v5
	v_cndmask_b32_e32 v0, v8, v10, vcc
	v_ldexp_f32 v10, v11, v12
	v_cmp_ngt_f32_e32 vcc, s0, v2
	v_add_f32_e32 v9, v9, v0
	v_cndmask_b32_e32 v10, 0, v10, vcc
	v_cmp_nlt_f32_e32 vcc, s1, v2
	v_add_f32_e32 v9, v9, v1
	v_cndmask_b32_e32 v10, v8, v10, vcc
	v_add_f32_e32 v2, v9, v10
	ds_bpermute_b32 v8, v18, v2
	s_movk_i32 s2, 0x1f8
	v_lshlrev_b32_e32 v20, 3, v17
	s_waitcnt lgkmcnt(0)
	v_add_f32_e32 v2, v2, v8
	ds_bpermute_b32 v8, v19, v2
	s_waitcnt lgkmcnt(0)
	v_add_f32_e32 v2, v2, v8
	v_div_scale_f32 v8, s[0:1], v2, v2, 1.0
	v_rcp_f32_e32 v9, v8
	s_load_dwordx2 s[0:1], s[4:5], 0x40
	v_fma_f32 v11, -v8, v9, 1.0
	v_fmac_f32_e32 v9, v11, v9
	v_div_scale_f32 v11, vcc, 1.0, v2, 1.0
	v_mul_f32_e32 v12, v11, v9
	v_fma_f32 v13, -v8, v12, v11
	v_fmac_f32_e32 v12, v13, v9
	v_fma_f32 v8, -v8, v12, v11
	v_div_fmas_f32 v8, v8, v9, v12
	v_div_fixup_f32 v2, v8, v2, 1.0
	v_mul_f32_e32 v11, v2, v6
	v_mul_f32_e32 v12, v2, v7
	;; [unrolled: 1-line block ×3, first 2 shown]
	v_cmp_class_f32_e64 vcc, v11, s2
	v_pk_mul_f32 v[8:9], v[2:3], v[0:1] op_sel_hi:[0,1]
	v_cndmask_b32_e32 v0, 0, v11, vcc
	v_cmp_class_f32_e64 vcc, v12, s2
	v_pk_mul_f32 v[6:7], v[2:3], v[4:5] op_sel_hi:[0,1]
	v_cndmask_b32_e32 v1, 0, v12, vcc
	v_cmp_class_f32_e64 vcc, v3, s2
	v_mov_b32_e32 v5, 0x207
	v_mul_f32_e32 v10, v2, v10
	v_cndmask_b32_e32 v2, 0, v3, vcc
	v_cmp_class_f32_e32 vcc, v7, v5
	v_cndmask_b32_e64 v4, v7, 0, vcc
	v_cmp_class_f32_e32 vcc, v6, v5
	v_cndmask_b32_e64 v3, v6, 0, vcc
	;; [unrolled: 2-line block ×4, first 2 shown]
	v_cmp_class_f32_e64 vcc, v10, s2
	s_waitcnt lgkmcnt(0)
	s_cmp_eq_u64 s[0:1], 0
	v_cndmask_b32_e32 v7, 0, v10, vcc
	s_cbranch_scc1 .LBB76_15
; %bb.4:
	v_lshlrev_b32_e32 v21, 2, v20
	global_load_dwordx4 v[8:11], v21, s[0:1]
	global_load_dwordx4 v[12:15], v21, s[0:1] offset:16
	s_waitcnt vmcnt(1)
	v_pk_add_f32 v[8:9], v[8:9], v[0:1]
	v_pk_add_f32 v[10:11], v[10:11], v[2:3]
	s_waitcnt vmcnt(0)
	v_pk_add_f32 v[12:13], v[12:13], v[4:5]
	v_pk_add_f32 v[14:15], v[14:15], v[6:7]
	s_cbranch_execnz .LBB76_6
.LBB76_5:
	v_pk_mov_b32 v[14:15], v[6:7], v[6:7] op_sel:[0,1]
	v_pk_mov_b32 v[12:13], v[4:5], v[4:5] op_sel:[0,1]
	;; [unrolled: 1-line block ×4, first 2 shown]
.LBB76_6:
	s_load_dwordx4 s[8:11], s[4:5], 0x30
	s_mov_b32 s23, 0
	v_cmp_eq_u32_e64 s[0:1], 0, v17
	s_waitcnt lgkmcnt(0)
	s_bitcmp1_b32 s11, 0
	s_cselect_b64 vcc, -1, 0
	s_cmp_gt_i32 s8, 0
	s_cselect_b64 s[20:21], -1, 0
	s_cmp_lt_i32 s8, 1
	s_cbranch_scc1 .LBB76_16
; %bb.7:
	s_load_dwordx4 s[12:15], s[4:5], 0x20
	v_mul_lo_u32 v22, v16, s8
	v_mov_b32_e32 v21, 0
	v_mov_b32_e32 v23, 0xc61c4000
	;; [unrolled: 1-line block ×3, first 2 shown]
	s_branch .LBB76_10
.LBB76_8:                               ;   in Loop: Header=BB76_10 Depth=1
	s_or_b64 exec, exec, s[4:5]
.LBB76_9:                               ;   in Loop: Header=BB76_10 Depth=1
	s_cmp_eq_u32 s8, s23
	v_add_u32_e32 v24, s22, v24
	s_cbranch_scc1 .LBB76_17
.LBB76_10:                              ; =>This Inner Loop Header: Depth=1
	v_cmp_gt_f32_e64 s[2:3], v9, v8
	v_cndmask_b32_e64 v25, v8, v9, s[2:3]
	v_cndmask_b32_e64 v26, v0, v1, s[2:3]
	s_waitcnt lgkmcnt(0)
	v_cndmask_b32_e64 v27, 0, 1, s[2:3]
	v_cmp_gt_f32_e64 s[2:3], v10, v25
	v_cndmask_b32_e64 v25, v25, v10, s[2:3]
	v_cndmask_b32_e64 v26, v26, v2, s[2:3]
	v_cndmask_b32_e64 v27, v27, 2, s[2:3]
	v_cmp_gt_f32_e64 s[2:3], v11, v25
	v_cndmask_b32_e64 v25, v25, v11, s[2:3]
	v_cndmask_b32_e64 v26, v26, v3, s[2:3]
	;; [unrolled: 4-line block ×6, first 2 shown]
	v_or_b32_e32 v27, v20, v27
	ds_bpermute_b32 v28, v18, v25
	ds_bpermute_b32 v29, v18, v27
	v_cndmask_b32_e64 v26, v26, v7, s[2:3]
	ds_bpermute_b32 v30, v18, v26
	s_waitcnt lgkmcnt(0)
	v_cmp_eq_f32_e64 s[4:5], v25, v28
	v_cmp_lt_i32_e64 s[6:7], v29, v27
	v_cmp_lt_f32_e64 s[2:3], v25, v28
	s_and_b64 s[4:5], s[4:5], s[6:7]
	s_or_b64 s[2:3], s[2:3], s[4:5]
	v_cndmask_b32_e64 v29, v27, v29, s[2:3]
	v_cndmask_b32_e64 v25, v25, v28, s[2:3]
	ds_bpermute_b32 v28, v19, v25
	ds_bpermute_b32 v31, v19, v29
	v_cndmask_b32_e64 v26, v26, v30, s[2:3]
	ds_bpermute_b32 v27, v19, v26
	s_waitcnt lgkmcnt(2)
	v_cmp_eq_f32_e64 s[4:5], v25, v28
	s_waitcnt lgkmcnt(1)
	v_cmp_lt_i32_e64 s[6:7], v31, v29
	v_cmp_lt_f32_e64 s[2:3], v25, v28
	s_and_b64 s[4:5], s[4:5], s[6:7]
	s_or_b64 s[2:3], s[2:3], s[4:5]
	v_cndmask_b32_e64 v25, v29, v31, s[2:3]
	s_and_saveexec_b64 s[6:7], s[0:1]
	s_cbranch_execnz .LBB76_12
; %bb.11:                               ;   in Loop: Header=BB76_10 Depth=1
	s_or_b64 exec, exec, s[6:7]
	s_add_i32 s23, s23, 1
	s_cmp_ge_i32 s23, s8
	s_cbranch_scc1 .LBB76_9
	s_branch .LBB76_13
.LBB76_12:                              ;   in Loop: Header=BB76_10 Depth=1
	s_waitcnt lgkmcnt(0)
	v_cndmask_b32_e64 v30, v26, v27, s[2:3]
	v_add_u32_e32 v26, s23, v22
	v_ashrrev_i32_e32 v27, 31, v26
	v_cmp_le_i32_e64 s[2:3], s9, v25
	v_cmp_gt_i32_e64 s[4:5], s10, v25
	v_lshlrev_b64 v[26:27], 2, v[26:27]
	s_and_b64 s[4:5], s[2:3], s[4:5]
	v_mov_b32_e32 v29, s17
	v_add_co_u32_e64 v28, s[2:3], s16, v26
	v_addc_co_u32_e64 v29, s[2:3], v29, v27, s[2:3]
	global_store_dword v[28:29], v30, off
	v_subrev_u32_e32 v28, s9, v25
	s_and_b64 s[2:3], s[18:19], s[4:5]
	v_cndmask_b32_e64 v31, 32, v28, s[2:3]
	v_mov_b32_e32 v29, s13
	v_add_co_u32_e64 v28, s[2:3], s12, v26
	v_addc_co_u32_e64 v29, s[2:3], v29, v27, s[2:3]
	global_store_dword v[28:29], v31, off
	v_mov_b32_e32 v28, s15
	v_add_co_u32_e64 v26, s[2:3], s14, v26
	v_addc_co_u32_e64 v27, s[2:3], v28, v27, s[2:3]
	global_store_dword v[26:27], v24, off
	v_add_f32_e32 v26, v21, v30
	v_cndmask_b32_e32 v21, v21, v26, vcc
	s_or_b64 exec, exec, s[6:7]
	s_add_i32 s23, s23, 1
	s_cmp_ge_i32 s23, s8
	s_cbranch_scc1 .LBB76_9
.LBB76_13:                              ;   in Loop: Header=BB76_10 Depth=1
	s_waitcnt lgkmcnt(0)
	v_ashrrev_i32_e32 v27, 31, v25
	v_lshrrev_b32_e32 v26, 29, v27
	v_add_u32_e32 v26, v25, v26
	v_ashrrev_i32_e32 v26, 3, v26
	v_lshrrev_b32_e32 v28, 30, v26
	v_add_u32_e32 v28, v26, v28
	v_and_b32_e32 v28, -4, v28
	v_sub_u32_e32 v28, v26, v28
	v_cmp_eq_u32_e64 s[2:3], v17, v28
	s_and_saveexec_b64 s[4:5], s[2:3]
	s_cbranch_execz .LBB76_8
; %bb.14:                               ;   in Loop: Header=BB76_10 Depth=1
	v_lshrrev_b32_e32 v27, 27, v27
	v_add_u32_e32 v27, v25, v27
	v_lshlrev_b32_e32 v26, 3, v26
	v_ashrrev_i32_e32 v27, 5, v27
	v_sub_u32_e32 v25, v25, v26
	v_lshl_add_u32 v25, v27, 3, v25
	v_cmp_ne_u32_e64 s[2:3], 7, v25
	v_cndmask_b32_e64 v15, v23, v15, s[2:3]
	v_cmp_ne_u32_e64 s[2:3], 6, v25
	v_cndmask_b32_e64 v14, v23, v14, s[2:3]
	;; [unrolled: 2-line block ×8, first 2 shown]
	s_branch .LBB76_8
.LBB76_15:
                                        ; implicit-def: $vgpr8_vgpr9_vgpr10_vgpr11_vgpr12_vgpr13_vgpr14_vgpr15
	s_andn2_b64 vcc, exec, s[6:7]
	s_cbranch_vccz .LBB76_5
	s_branch .LBB76_6
.LBB76_16:
	v_mov_b32_e32 v21, 0
.LBB76_17:
	v_cmp_eq_u32_e64 s[0:1], 0, v17
	s_and_b64 s[0:1], s[0:1], vcc
	s_and_b64 exec, exec, s[0:1]
	s_cbranch_execz .LBB76_26
; %bb.18:
	s_andn2_b64 vcc, exec, s[20:21]
	s_cbranch_vccnz .LBB76_26
; %bb.19:
	v_cmp_lt_f32_e32 vcc, 0, v21
	s_mov_b32 s2, 0
	v_cndmask_b32_e32 v0, 1.0, v21, vcc
	v_mul_lo_u32 v4, v16, s8
	s_cmp_eq_u32 s8, 1
	s_mov_b64 s[0:1], -1
	s_cbranch_scc1 .LBB76_23
; %bb.20:
	s_and_b32 s2, s8, 0x7ffffffe
	v_mov_b32_e32 v1, v0
	v_mov_b32_e32 v5, s17
	s_mov_b32 s3, s2
	v_mov_b32_e32 v2, v4
.LBB76_21:                              ; =>This Inner Loop Header: Depth=1
	v_ashrrev_i32_e32 v3, 31, v2
	v_lshlrev_b64 v[6:7], 2, v[2:3]
	v_add_co_u32_e32 v6, vcc, s16, v6
	v_addc_co_u32_e32 v7, vcc, v5, v7, vcc
	global_load_dwordx2 v[8:9], v[6:7], off
	s_add_i32 s3, s3, -2
	s_cmp_lg_u32 s3, 0
	v_add_u32_e32 v2, 2, v2
	s_waitcnt vmcnt(0)
	v_div_scale_f32 v3, s[0:1], v1, v1, v9
	v_div_scale_f32 v11, s[0:1], v0, v0, v8
	v_rcp_f32_e32 v12, v3
	v_rcp_f32_e32 v13, v11
	v_div_scale_f32 v10, vcc, v9, v1, v9
	v_fma_f32 v15, -v3, v12, 1.0
	v_fma_f32 v16, -v11, v13, 1.0
	v_fmac_f32_e32 v12, v15, v12
	v_div_scale_f32 v14, s[0:1], v8, v0, v8
	v_fmac_f32_e32 v13, v16, v13
	v_mul_f32_e32 v15, v10, v12
	v_mul_f32_e32 v16, v14, v13
	v_fma_f32 v17, -v3, v15, v10
	v_fma_f32 v18, -v11, v16, v14
	v_fmac_f32_e32 v15, v17, v12
	v_fmac_f32_e32 v16, v18, v13
	v_fma_f32 v3, -v3, v15, v10
	v_fma_f32 v10, -v11, v16, v14
	v_div_fmas_f32 v3, v3, v12, v15
	s_mov_b64 vcc, s[0:1]
	v_div_fixup_f32 v9, v3, v1, v9
	v_div_fmas_f32 v3, v10, v13, v16
	v_div_fixup_f32 v8, v3, v0, v8
	global_store_dwordx2 v[6:7], v[8:9], off
	s_cbranch_scc1 .LBB76_21
; %bb.22:
	s_cmp_lg_u32 s2, s8
	s_cselect_b64 s[0:1], -1, 0
.LBB76_23:
	s_and_b64 vcc, exec, s[0:1]
	s_cbranch_vccz .LBB76_26
; %bb.24:
	v_ashrrev_i32_e32 v1, 31, v4
	v_add_co_u32_e32 v2, vcc, s2, v4
	v_addc_co_u32_e32 v3, vcc, 0, v1, vcc
	v_lshlrev_b64 v[2:3], 2, v[2:3]
	v_mov_b32_e32 v1, s17
	v_add_co_u32_e32 v2, vcc, s16, v2
	s_sub_i32 s0, s8, s2
	v_addc_co_u32_e32 v3, vcc, v1, v3, vcc
.LBB76_25:                              ; =>This Inner Loop Header: Depth=1
	global_load_dword v1, v[2:3], off
	s_add_i32 s0, s0, -1
	s_cmp_lg_u32 s0, 0
	s_waitcnt vmcnt(0)
	v_div_scale_f32 v4, s[2:3], v0, v0, v1
	v_rcp_f32_e32 v5, v4
	v_div_scale_f32 v6, vcc, v1, v0, v1
	v_fma_f32 v7, -v4, v5, 1.0
	v_fmac_f32_e32 v5, v7, v5
	v_mul_f32_e32 v7, v6, v5
	v_fma_f32 v8, -v4, v7, v6
	v_fmac_f32_e32 v7, v8, v5
	v_fma_f32 v4, -v4, v7, v6
	v_div_fmas_f32 v4, v4, v5, v7
	v_div_fixup_f32 v1, v4, v0, v1
	global_store_dword v[2:3], v1, off
	v_add_co_u32_e32 v2, vcc, 4, v2
	v_addc_co_u32_e32 v3, vcc, 0, v3, vcc
	s_cbranch_scc1 .LBB76_25
.LBB76_26:
	s_endpgm
	.section	.rodata,"a",@progbits
	.p2align	6, 0x0
	.amdhsa_kernel _ZN4vllm3moe10topkGatingILi8ELi32ELi4ELi16ELi64Ei6__halfLNS0_11ScoringFuncE0EEEvPKT5_PKbPfiPT4_PiiiibPKf
		.amdhsa_group_segment_fixed_size 0
		.amdhsa_private_segment_fixed_size 0
		.amdhsa_kernarg_size 72
		.amdhsa_user_sgpr_count 6
		.amdhsa_user_sgpr_private_segment_buffer 1
		.amdhsa_user_sgpr_dispatch_ptr 0
		.amdhsa_user_sgpr_queue_ptr 0
		.amdhsa_user_sgpr_kernarg_segment_ptr 1
		.amdhsa_user_sgpr_dispatch_id 0
		.amdhsa_user_sgpr_flat_scratch_init 0
		.amdhsa_user_sgpr_kernarg_preload_length 0
		.amdhsa_user_sgpr_kernarg_preload_offset 0
		.amdhsa_user_sgpr_private_segment_size 0
		.amdhsa_uses_dynamic_stack 0
		.amdhsa_system_sgpr_private_segment_wavefront_offset 0
		.amdhsa_system_sgpr_workgroup_id_x 1
		.amdhsa_system_sgpr_workgroup_id_y 0
		.amdhsa_system_sgpr_workgroup_id_z 0
		.amdhsa_system_sgpr_workgroup_info 0
		.amdhsa_system_vgpr_workitem_id 1
		.amdhsa_next_free_vgpr 32
		.amdhsa_next_free_sgpr 24
		.amdhsa_accum_offset 32
		.amdhsa_reserve_vcc 1
		.amdhsa_reserve_flat_scratch 0
		.amdhsa_float_round_mode_32 0
		.amdhsa_float_round_mode_16_64 0
		.amdhsa_float_denorm_mode_32 3
		.amdhsa_float_denorm_mode_16_64 3
		.amdhsa_dx10_clamp 1
		.amdhsa_ieee_mode 1
		.amdhsa_fp16_overflow 0
		.amdhsa_tg_split 0
		.amdhsa_exception_fp_ieee_invalid_op 0
		.amdhsa_exception_fp_denorm_src 0
		.amdhsa_exception_fp_ieee_div_zero 0
		.amdhsa_exception_fp_ieee_overflow 0
		.amdhsa_exception_fp_ieee_underflow 0
		.amdhsa_exception_fp_ieee_inexact 0
		.amdhsa_exception_int_div_zero 0
	.end_amdhsa_kernel
	.section	.text._ZN4vllm3moe10topkGatingILi8ELi32ELi4ELi16ELi64Ei6__halfLNS0_11ScoringFuncE0EEEvPKT5_PKbPfiPT4_PiiiibPKf,"axG",@progbits,_ZN4vllm3moe10topkGatingILi8ELi32ELi4ELi16ELi64Ei6__halfLNS0_11ScoringFuncE0EEEvPKT5_PKbPfiPT4_PiiiibPKf,comdat
.Lfunc_end76:
	.size	_ZN4vllm3moe10topkGatingILi8ELi32ELi4ELi16ELi64Ei6__halfLNS0_11ScoringFuncE0EEEvPKT5_PKbPfiPT4_PiiiibPKf, .Lfunc_end76-_ZN4vllm3moe10topkGatingILi8ELi32ELi4ELi16ELi64Ei6__halfLNS0_11ScoringFuncE0EEEvPKT5_PKbPfiPT4_PiiiibPKf
                                        ; -- End function
	.section	.AMDGPU.csdata,"",@progbits
; Kernel info:
; codeLenInByte = 2744
; NumSgprs: 28
; NumVgprs: 32
; NumAgprs: 0
; TotalNumVgprs: 32
; ScratchSize: 0
; MemoryBound: 0
; FloatMode: 240
; IeeeMode: 1
; LDSByteSize: 0 bytes/workgroup (compile time only)
; SGPRBlocks: 3
; VGPRBlocks: 3
; NumSGPRsForWavesPerEU: 28
; NumVGPRsForWavesPerEU: 32
; AccumOffset: 32
; Occupancy: 8
; WaveLimiterHint : 0
; COMPUTE_PGM_RSRC2:SCRATCH_EN: 0
; COMPUTE_PGM_RSRC2:USER_SGPR: 6
; COMPUTE_PGM_RSRC2:TRAP_HANDLER: 0
; COMPUTE_PGM_RSRC2:TGID_X_EN: 1
; COMPUTE_PGM_RSRC2:TGID_Y_EN: 0
; COMPUTE_PGM_RSRC2:TGID_Z_EN: 0
; COMPUTE_PGM_RSRC2:TIDIG_COMP_CNT: 1
; COMPUTE_PGM_RSRC3_GFX90A:ACCUM_OFFSET: 7
; COMPUTE_PGM_RSRC3_GFX90A:TG_SPLIT: 0
	.section	.text._ZN4vllm3moe10topkGatingILi8ELi32ELi4ELi16ELi32Ei6__halfLNS0_11ScoringFuncE0EEEvPKT5_PKbPfiPT4_PiiiibPKf,"axG",@progbits,_ZN4vllm3moe10topkGatingILi8ELi32ELi4ELi16ELi32Ei6__halfLNS0_11ScoringFuncE0EEEvPKT5_PKbPfiPT4_PiiiibPKf,comdat
	.protected	_ZN4vllm3moe10topkGatingILi8ELi32ELi4ELi16ELi32Ei6__halfLNS0_11ScoringFuncE0EEEvPKT5_PKbPfiPT4_PiiiibPKf ; -- Begin function _ZN4vllm3moe10topkGatingILi8ELi32ELi4ELi16ELi32Ei6__halfLNS0_11ScoringFuncE0EEEvPKT5_PKbPfiPT4_PiiiibPKf
	.globl	_ZN4vllm3moe10topkGatingILi8ELi32ELi4ELi16ELi32Ei6__halfLNS0_11ScoringFuncE0EEEvPKT5_PKbPfiPT4_PiiiibPKf
	.p2align	8
	.type	_ZN4vllm3moe10topkGatingILi8ELi32ELi4ELi16ELi32Ei6__halfLNS0_11ScoringFuncE0EEEvPKT5_PKbPfiPT4_PiiiibPKf,@function
_ZN4vllm3moe10topkGatingILi8ELi32ELi4ELi16ELi32Ei6__halfLNS0_11ScoringFuncE0EEEvPKT5_PKbPfiPT4_PiiiibPKf: ; @_ZN4vllm3moe10topkGatingILi8ELi32ELi4ELi16ELi32Ei6__halfLNS0_11ScoringFuncE0EEEvPKT5_PKbPfiPT4_PiiiibPKf
; %bb.0:
	s_load_dword s22, s[4:5], 0x18
	v_bfe_u32 v1, v0, 10, 10
	v_and_b32_e32 v0, 0x3ff, v0
	s_lshl_b32 s0, s6, 5
	v_lshlrev_b32_e32 v1, 3, v1
	v_lshrrev_b32_e32 v2, 2, v0
	v_add3_u32 v16, s0, v1, v2
	s_waitcnt lgkmcnt(0)
	v_cmp_gt_i32_e32 vcc, s22, v16
	s_and_saveexec_b64 s[0:1], vcc
	s_cbranch_execz .LBB77_26
; %bb.1:
	s_load_dwordx4 s[0:3], s[4:5], 0x0
	s_load_dwordx2 s[16:17], s[4:5], 0x10
	s_mov_b64 s[6:7], -1
	s_mov_b64 s[18:19], -1
	s_waitcnt lgkmcnt(0)
	s_cmp_eq_u64 s[2:3], 0
	s_cbranch_scc1 .LBB77_3
; %bb.2:
	v_ashrrev_i32_e32 v1, 31, v16
	v_mov_b32_e32 v3, s3
	v_add_co_u32_e32 v2, vcc, s2, v16
	v_addc_co_u32_e32 v3, vcc, v3, v1, vcc
	global_load_ubyte v1, v[2:3], off
	s_waitcnt vmcnt(0)
	v_and_b32_e32 v1, 1, v1
	v_cmp_eq_u32_e32 vcc, 1, v1
	s_xor_b64 s[2:3], vcc, -1
	s_orn2_b64 s[18:19], s[2:3], exec
.LBB77_3:
	v_lshlrev_b32_e32 v2, 5, v16
	v_ashrrev_i32_e32 v3, 31, v2
	v_lshlrev_b64 v[2:3], 1, v[2:3]
	v_mov_b32_e32 v1, s1
	v_add_co_u32_e32 v2, vcc, s0, v2
	v_and_b32_e32 v17, 3, v0
	v_addc_co_u32_e32 v1, vcc, v1, v3, vcc
	v_lshlrev_b32_e32 v0, 4, v17
	v_add_co_u32_e32 v0, vcc, v2, v0
	v_addc_co_u32_e32 v1, vcc, 0, v1, vcc
	global_load_dwordx4 v[0:3], v[0:1], off
	v_mbcnt_lo_u32_b32 v4, -1, 0
	v_mbcnt_hi_u32_b32 v8, -1, v4
	v_and_b32_e32 v4, 0x7c, v8
	v_xor_b32_e32 v5, 2, v8
	v_add_u32_e32 v9, 4, v4
	v_cmp_lt_i32_e32 vcc, v5, v9
	v_cndmask_b32_e32 v4, v8, v5, vcc
	v_lshlrev_b32_e32 v18, 2, v4
	v_xor_b32_e32 v12, 1, v8
	v_cmp_lt_i32_e32 vcc, v12, v9
	v_cndmask_b32_e32 v8, v8, v12, vcc
	v_lshlrev_b32_e32 v19, 2, v8
	s_mov_b32 s2, 0x3fb8aa3b
	s_mov_b32 s0, 0xc2ce8ed0
	;; [unrolled: 1-line block ×3, first 2 shown]
	v_mov_b32_e32 v8, 0x7f800000
	s_waitcnt vmcnt(0)
	v_cvt_f32_f16_e32 v6, v0
	v_cvt_f32_f16_sdwa v7, v0 dst_sel:DWORD dst_unused:UNUSED_PAD src0_sel:WORD_1
	v_cvt_f32_f16_e32 v10, v1
	v_cvt_f32_f16_sdwa v4, v1 dst_sel:DWORD dst_unused:UNUSED_PAD src0_sel:WORD_1
	;; [unrolled: 2-line block ×3, first 2 shown]
	v_cvt_f32_f16_sdwa v11, v3 dst_sel:DWORD dst_unused:UNUSED_PAD src0_sel:WORD_1
	v_cvt_f32_f16_e32 v1, v3
	v_max_f32_e32 v2, v6, v7
	v_max3_f32 v2, v2, v10, v4
	v_max3_f32 v2, v2, v5, v0
	;; [unrolled: 1-line block ×3, first 2 shown]
	ds_bpermute_b32 v3, v18, v2
	s_waitcnt lgkmcnt(0)
	v_max_f32_e32 v3, v3, v3
	v_max_f32_e32 v2, v2, v3
	ds_bpermute_b32 v3, v19, v2
	s_waitcnt lgkmcnt(0)
	v_max_f32_e32 v3, v3, v3
	v_max_f32_e32 v2, v2, v3
	v_pk_add_f32 v[6:7], v[6:7], v[2:3] op_sel_hi:[1,0] neg_lo:[0,1] neg_hi:[0,1]
	v_mul_f32_e32 v9, 0x3fb8aa3b, v7
	v_sub_f32_e32 v3, v10, v2
	v_mul_f32_e32 v10, 0x3fb8aa3b, v6
	v_fma_f32 v20, v7, s2, -v9
	v_rndne_f32_e32 v21, v9
	v_pk_add_f32 v[4:5], v[4:5], v[2:3] op_sel_hi:[1,0] neg_lo:[0,1] neg_hi:[0,1]
	v_mul_f32_e32 v12, 0x3fb8aa3b, v3
	v_fma_f32 v22, v6, s2, -v10
	v_rndne_f32_e32 v23, v10
	v_fmac_f32_e32 v20, 0x32a5705f, v7
	v_sub_f32_e32 v9, v9, v21
	v_mul_f32_e32 v13, 0x3fb8aa3b, v5
	v_fma_f32 v24, v3, s2, -v12
	v_rndne_f32_e32 v25, v12
	v_fmac_f32_e32 v22, 0x32a5705f, v6
	v_sub_f32_e32 v10, v10, v23
	v_add_f32_e32 v9, v9, v20
	v_mul_f32_e32 v14, 0x3fb8aa3b, v4
	v_fma_f32 v26, v5, s2, -v13
	v_rndne_f32_e32 v27, v13
	v_cvt_i32_f32_e32 v21, v21
	v_fmac_f32_e32 v24, 0x32a5705f, v3
	v_sub_f32_e32 v12, v12, v25
	v_add_f32_e32 v10, v10, v22
	v_exp_f32_e32 v9, v9
	v_fma_f32 v28, v4, s2, -v14
	v_rndne_f32_e32 v29, v14
	v_cvt_i32_f32_e32 v23, v23
	v_fmac_f32_e32 v26, 0x32a5705f, v5
	v_sub_f32_e32 v13, v13, v27
	v_add_f32_e32 v12, v12, v24
	v_exp_f32_e32 v10, v10
	v_cvt_i32_f32_e32 v25, v25
	v_fmac_f32_e32 v28, 0x32a5705f, v4
	v_sub_f32_e32 v14, v14, v29
	v_add_f32_e32 v13, v13, v26
	v_exp_f32_e32 v12, v12
	v_cvt_i32_f32_e32 v27, v27
	v_add_f32_e32 v14, v14, v28
	v_exp_f32_e32 v13, v13
	v_cvt_i32_f32_e32 v29, v29
	v_exp_f32_e32 v14, v14
	v_ldexp_f32 v9, v9, v21
	v_cmp_ngt_f32_e32 vcc, s0, v7
	v_ldexp_f32 v10, v10, v23
	v_cndmask_b32_e32 v9, 0, v9, vcc
	v_cmp_ngt_f32_e32 vcc, s0, v6
	v_ldexp_f32 v12, v12, v25
	v_cndmask_b32_e32 v10, 0, v10, vcc
	;; [unrolled: 3-line block ×4, first 2 shown]
	v_cmp_ngt_f32_e32 vcc, s0, v4
	v_pk_add_f32 v[0:1], v[0:1], v[2:3] op_sel_hi:[1,0] neg_lo:[0,1] neg_hi:[0,1]
	v_cndmask_b32_e32 v14, 0, v14, vcc
	v_cmp_nlt_f32_e32 vcc, s1, v7
	v_mul_f32_e32 v15, 0x3fb8aa3b, v1
	v_cndmask_b32_e32 v7, v8, v9, vcc
	v_cmp_nlt_f32_e32 vcc, s1, v6
	v_fma_f32 v30, v1, s2, -v15
	v_cndmask_b32_e32 v6, v8, v10, vcc
	v_cmp_nlt_f32_e32 vcc, s1, v3
	v_rndne_f32_e32 v10, v15
	v_fmac_f32_e32 v30, 0x32a5705f, v1
	v_cndmask_b32_e32 v3, v8, v12, vcc
	v_sub_f32_e32 v12, v15, v10
	v_add_f32_e32 v12, v12, v30
	v_exp_f32_e32 v12, v12
	v_cvt_i32_f32_e32 v10, v10
	v_cmp_nlt_f32_e32 vcc, s1, v5
	v_cndmask_b32_e32 v5, v8, v13, vcc
	v_cmp_nlt_f32_e32 vcc, s1, v4
	v_ldexp_f32 v10, v12, v10
	v_mul_f32_e32 v12, 0x3fb8aa3b, v0
	v_cndmask_b32_e32 v4, v8, v14, vcc
	v_fma_f32 v13, v0, s2, -v12
	v_rndne_f32_e32 v14, v12
	v_fmac_f32_e32 v13, 0x32a5705f, v0
	v_sub_f32_e32 v12, v12, v14
	v_add_f32_e32 v12, v12, v13
	v_exp_f32_e32 v12, v12
	v_cvt_i32_f32_e32 v13, v14
	v_cmp_ngt_f32_e32 vcc, s0, v1
	v_sub_f32_e32 v2, v11, v2
	v_cndmask_b32_e32 v10, 0, v10, vcc
	v_cmp_nlt_f32_e32 vcc, s1, v1
	v_mul_f32_e32 v11, 0x3fb8aa3b, v2
	v_cndmask_b32_e32 v1, v8, v10, vcc
	v_ldexp_f32 v10, v12, v13
	v_fma_f32 v12, v2, s2, -v11
	v_rndne_f32_e32 v13, v11
	v_fmac_f32_e32 v12, 0x32a5705f, v2
	v_sub_f32_e32 v11, v11, v13
	v_add_f32_e32 v11, v11, v12
	v_exp_f32_e32 v11, v11
	v_cvt_i32_f32_e32 v12, v13
	v_add_f32_e32 v9, v6, v7
	v_add_f32_e32 v9, v9, v3
	v_cmp_ngt_f32_e32 vcc, s0, v0
	v_add_f32_e32 v9, v9, v4
	v_cndmask_b32_e32 v10, 0, v10, vcc
	v_cmp_nlt_f32_e32 vcc, s1, v0
	v_add_f32_e32 v9, v9, v5
	v_cndmask_b32_e32 v0, v8, v10, vcc
	v_ldexp_f32 v10, v11, v12
	v_cmp_ngt_f32_e32 vcc, s0, v2
	v_add_f32_e32 v9, v9, v0
	v_cndmask_b32_e32 v10, 0, v10, vcc
	v_cmp_nlt_f32_e32 vcc, s1, v2
	v_add_f32_e32 v9, v9, v1
	v_cndmask_b32_e32 v10, v8, v10, vcc
	v_add_f32_e32 v2, v9, v10
	ds_bpermute_b32 v8, v18, v2
	s_movk_i32 s2, 0x1f8
	v_lshlrev_b32_e32 v20, 3, v17
	s_waitcnt lgkmcnt(0)
	v_add_f32_e32 v2, v2, v8
	ds_bpermute_b32 v8, v19, v2
	s_waitcnt lgkmcnt(0)
	v_add_f32_e32 v2, v2, v8
	v_div_scale_f32 v8, s[0:1], v2, v2, 1.0
	v_rcp_f32_e32 v9, v8
	s_load_dwordx2 s[0:1], s[4:5], 0x40
	v_fma_f32 v11, -v8, v9, 1.0
	v_fmac_f32_e32 v9, v11, v9
	v_div_scale_f32 v11, vcc, 1.0, v2, 1.0
	v_mul_f32_e32 v12, v11, v9
	v_fma_f32 v13, -v8, v12, v11
	v_fmac_f32_e32 v12, v13, v9
	v_fma_f32 v8, -v8, v12, v11
	v_div_fmas_f32 v8, v8, v9, v12
	v_div_fixup_f32 v2, v8, v2, 1.0
	v_mul_f32_e32 v11, v2, v6
	v_mul_f32_e32 v12, v2, v7
	;; [unrolled: 1-line block ×3, first 2 shown]
	v_cmp_class_f32_e64 vcc, v11, s2
	v_pk_mul_f32 v[8:9], v[2:3], v[0:1] op_sel_hi:[0,1]
	v_cndmask_b32_e32 v0, 0, v11, vcc
	v_cmp_class_f32_e64 vcc, v12, s2
	v_pk_mul_f32 v[6:7], v[2:3], v[4:5] op_sel_hi:[0,1]
	v_cndmask_b32_e32 v1, 0, v12, vcc
	v_cmp_class_f32_e64 vcc, v3, s2
	v_mov_b32_e32 v5, 0x207
	v_mul_f32_e32 v10, v2, v10
	v_cndmask_b32_e32 v2, 0, v3, vcc
	v_cmp_class_f32_e32 vcc, v7, v5
	v_cndmask_b32_e64 v4, v7, 0, vcc
	v_cmp_class_f32_e32 vcc, v6, v5
	v_cndmask_b32_e64 v3, v6, 0, vcc
	;; [unrolled: 2-line block ×4, first 2 shown]
	v_cmp_class_f32_e64 vcc, v10, s2
	s_waitcnt lgkmcnt(0)
	s_cmp_eq_u64 s[0:1], 0
	v_cndmask_b32_e32 v7, 0, v10, vcc
	s_cbranch_scc1 .LBB77_15
; %bb.4:
	v_lshlrev_b32_e32 v21, 2, v20
	global_load_dwordx4 v[8:11], v21, s[0:1]
	global_load_dwordx4 v[12:15], v21, s[0:1] offset:16
	s_waitcnt vmcnt(1)
	v_pk_add_f32 v[8:9], v[8:9], v[0:1]
	v_pk_add_f32 v[10:11], v[10:11], v[2:3]
	s_waitcnt vmcnt(0)
	v_pk_add_f32 v[12:13], v[12:13], v[4:5]
	v_pk_add_f32 v[14:15], v[14:15], v[6:7]
	s_cbranch_execnz .LBB77_6
.LBB77_5:
	v_pk_mov_b32 v[14:15], v[6:7], v[6:7] op_sel:[0,1]
	v_pk_mov_b32 v[12:13], v[4:5], v[4:5] op_sel:[0,1]
	v_pk_mov_b32 v[10:11], v[2:3], v[2:3] op_sel:[0,1]
	v_pk_mov_b32 v[8:9], v[0:1], v[0:1] op_sel:[0,1]
.LBB77_6:
	s_load_dwordx4 s[8:11], s[4:5], 0x30
	s_mov_b32 s23, 0
	v_cmp_eq_u32_e64 s[0:1], 0, v17
	s_waitcnt lgkmcnt(0)
	s_bitcmp1_b32 s11, 0
	s_cselect_b64 vcc, -1, 0
	s_cmp_gt_i32 s8, 0
	s_cselect_b64 s[20:21], -1, 0
	s_cmp_lt_i32 s8, 1
	s_cbranch_scc1 .LBB77_16
; %bb.7:
	s_load_dwordx4 s[12:15], s[4:5], 0x20
	v_mul_lo_u32 v22, v16, s8
	v_mov_b32_e32 v21, 0
	v_mov_b32_e32 v23, 0xc61c4000
	;; [unrolled: 1-line block ×3, first 2 shown]
	s_branch .LBB77_10
.LBB77_8:                               ;   in Loop: Header=BB77_10 Depth=1
	s_or_b64 exec, exec, s[4:5]
.LBB77_9:                               ;   in Loop: Header=BB77_10 Depth=1
	s_cmp_eq_u32 s8, s23
	v_add_u32_e32 v24, s22, v24
	s_cbranch_scc1 .LBB77_17
.LBB77_10:                              ; =>This Inner Loop Header: Depth=1
	v_cmp_gt_f32_e64 s[2:3], v9, v8
	v_cndmask_b32_e64 v25, v8, v9, s[2:3]
	v_cndmask_b32_e64 v26, v0, v1, s[2:3]
	s_waitcnt lgkmcnt(0)
	v_cndmask_b32_e64 v27, 0, 1, s[2:3]
	v_cmp_gt_f32_e64 s[2:3], v10, v25
	v_cndmask_b32_e64 v25, v25, v10, s[2:3]
	v_cndmask_b32_e64 v26, v26, v2, s[2:3]
	v_cndmask_b32_e64 v27, v27, 2, s[2:3]
	v_cmp_gt_f32_e64 s[2:3], v11, v25
	v_cndmask_b32_e64 v25, v25, v11, s[2:3]
	v_cndmask_b32_e64 v26, v26, v3, s[2:3]
	;; [unrolled: 4-line block ×6, first 2 shown]
	v_or_b32_e32 v27, v20, v27
	ds_bpermute_b32 v28, v18, v25
	ds_bpermute_b32 v29, v18, v27
	v_cndmask_b32_e64 v26, v26, v7, s[2:3]
	ds_bpermute_b32 v30, v18, v26
	s_waitcnt lgkmcnt(0)
	v_cmp_eq_f32_e64 s[4:5], v25, v28
	v_cmp_lt_i32_e64 s[6:7], v29, v27
	v_cmp_lt_f32_e64 s[2:3], v25, v28
	s_and_b64 s[4:5], s[4:5], s[6:7]
	s_or_b64 s[2:3], s[2:3], s[4:5]
	v_cndmask_b32_e64 v29, v27, v29, s[2:3]
	v_cndmask_b32_e64 v25, v25, v28, s[2:3]
	ds_bpermute_b32 v28, v19, v25
	ds_bpermute_b32 v31, v19, v29
	v_cndmask_b32_e64 v26, v26, v30, s[2:3]
	ds_bpermute_b32 v27, v19, v26
	s_waitcnt lgkmcnt(2)
	v_cmp_eq_f32_e64 s[4:5], v25, v28
	s_waitcnt lgkmcnt(1)
	v_cmp_lt_i32_e64 s[6:7], v31, v29
	v_cmp_lt_f32_e64 s[2:3], v25, v28
	s_and_b64 s[4:5], s[4:5], s[6:7]
	s_or_b64 s[2:3], s[2:3], s[4:5]
	v_cndmask_b32_e64 v25, v29, v31, s[2:3]
	s_and_saveexec_b64 s[6:7], s[0:1]
	s_cbranch_execnz .LBB77_12
; %bb.11:                               ;   in Loop: Header=BB77_10 Depth=1
	s_or_b64 exec, exec, s[6:7]
	s_add_i32 s23, s23, 1
	s_cmp_ge_i32 s23, s8
	s_cbranch_scc1 .LBB77_9
	s_branch .LBB77_13
.LBB77_12:                              ;   in Loop: Header=BB77_10 Depth=1
	s_waitcnt lgkmcnt(0)
	v_cndmask_b32_e64 v30, v26, v27, s[2:3]
	v_add_u32_e32 v26, s23, v22
	v_ashrrev_i32_e32 v27, 31, v26
	v_cmp_le_i32_e64 s[2:3], s9, v25
	v_cmp_gt_i32_e64 s[4:5], s10, v25
	v_lshlrev_b64 v[26:27], 2, v[26:27]
	s_and_b64 s[4:5], s[2:3], s[4:5]
	v_mov_b32_e32 v29, s17
	v_add_co_u32_e64 v28, s[2:3], s16, v26
	v_addc_co_u32_e64 v29, s[2:3], v29, v27, s[2:3]
	global_store_dword v[28:29], v30, off
	v_subrev_u32_e32 v28, s9, v25
	s_and_b64 s[2:3], s[18:19], s[4:5]
	v_cndmask_b32_e64 v31, 32, v28, s[2:3]
	v_mov_b32_e32 v29, s13
	v_add_co_u32_e64 v28, s[2:3], s12, v26
	v_addc_co_u32_e64 v29, s[2:3], v29, v27, s[2:3]
	global_store_dword v[28:29], v31, off
	v_mov_b32_e32 v28, s15
	v_add_co_u32_e64 v26, s[2:3], s14, v26
	v_addc_co_u32_e64 v27, s[2:3], v28, v27, s[2:3]
	global_store_dword v[26:27], v24, off
	v_add_f32_e32 v26, v21, v30
	v_cndmask_b32_e32 v21, v21, v26, vcc
	s_or_b64 exec, exec, s[6:7]
	s_add_i32 s23, s23, 1
	s_cmp_ge_i32 s23, s8
	s_cbranch_scc1 .LBB77_9
.LBB77_13:                              ;   in Loop: Header=BB77_10 Depth=1
	s_waitcnt lgkmcnt(0)
	v_ashrrev_i32_e32 v27, 31, v25
	v_lshrrev_b32_e32 v26, 29, v27
	v_add_u32_e32 v26, v25, v26
	v_ashrrev_i32_e32 v26, 3, v26
	v_lshrrev_b32_e32 v28, 30, v26
	v_add_u32_e32 v28, v26, v28
	v_and_b32_e32 v28, -4, v28
	v_sub_u32_e32 v28, v26, v28
	v_cmp_eq_u32_e64 s[2:3], v17, v28
	s_and_saveexec_b64 s[4:5], s[2:3]
	s_cbranch_execz .LBB77_8
; %bb.14:                               ;   in Loop: Header=BB77_10 Depth=1
	v_lshrrev_b32_e32 v27, 27, v27
	v_add_u32_e32 v27, v25, v27
	v_lshlrev_b32_e32 v26, 3, v26
	v_ashrrev_i32_e32 v27, 5, v27
	v_sub_u32_e32 v25, v25, v26
	v_lshl_add_u32 v25, v27, 3, v25
	v_cmp_ne_u32_e64 s[2:3], 7, v25
	v_cndmask_b32_e64 v15, v23, v15, s[2:3]
	v_cmp_ne_u32_e64 s[2:3], 6, v25
	v_cndmask_b32_e64 v14, v23, v14, s[2:3]
	;; [unrolled: 2-line block ×8, first 2 shown]
	s_branch .LBB77_8
.LBB77_15:
                                        ; implicit-def: $vgpr8_vgpr9_vgpr10_vgpr11_vgpr12_vgpr13_vgpr14_vgpr15
	s_andn2_b64 vcc, exec, s[6:7]
	s_cbranch_vccz .LBB77_5
	s_branch .LBB77_6
.LBB77_16:
	v_mov_b32_e32 v21, 0
.LBB77_17:
	v_cmp_eq_u32_e64 s[0:1], 0, v17
	s_and_b64 s[0:1], s[0:1], vcc
	s_and_b64 exec, exec, s[0:1]
	s_cbranch_execz .LBB77_26
; %bb.18:
	s_andn2_b64 vcc, exec, s[20:21]
	s_cbranch_vccnz .LBB77_26
; %bb.19:
	v_cmp_lt_f32_e32 vcc, 0, v21
	s_mov_b32 s2, 0
	v_cndmask_b32_e32 v0, 1.0, v21, vcc
	v_mul_lo_u32 v4, v16, s8
	s_cmp_eq_u32 s8, 1
	s_mov_b64 s[0:1], -1
	s_cbranch_scc1 .LBB77_23
; %bb.20:
	s_and_b32 s2, s8, 0x7ffffffe
	v_mov_b32_e32 v1, v0
	v_mov_b32_e32 v5, s17
	s_mov_b32 s3, s2
	v_mov_b32_e32 v2, v4
.LBB77_21:                              ; =>This Inner Loop Header: Depth=1
	v_ashrrev_i32_e32 v3, 31, v2
	v_lshlrev_b64 v[6:7], 2, v[2:3]
	v_add_co_u32_e32 v6, vcc, s16, v6
	v_addc_co_u32_e32 v7, vcc, v5, v7, vcc
	global_load_dwordx2 v[8:9], v[6:7], off
	s_add_i32 s3, s3, -2
	s_cmp_lg_u32 s3, 0
	v_add_u32_e32 v2, 2, v2
	s_waitcnt vmcnt(0)
	v_div_scale_f32 v3, s[0:1], v1, v1, v9
	v_div_scale_f32 v11, s[0:1], v0, v0, v8
	v_rcp_f32_e32 v12, v3
	v_rcp_f32_e32 v13, v11
	v_div_scale_f32 v10, vcc, v9, v1, v9
	v_fma_f32 v15, -v3, v12, 1.0
	v_fma_f32 v16, -v11, v13, 1.0
	v_fmac_f32_e32 v12, v15, v12
	v_div_scale_f32 v14, s[0:1], v8, v0, v8
	v_fmac_f32_e32 v13, v16, v13
	v_mul_f32_e32 v15, v10, v12
	v_mul_f32_e32 v16, v14, v13
	v_fma_f32 v17, -v3, v15, v10
	v_fma_f32 v18, -v11, v16, v14
	v_fmac_f32_e32 v15, v17, v12
	v_fmac_f32_e32 v16, v18, v13
	v_fma_f32 v3, -v3, v15, v10
	v_fma_f32 v10, -v11, v16, v14
	v_div_fmas_f32 v3, v3, v12, v15
	s_mov_b64 vcc, s[0:1]
	v_div_fixup_f32 v9, v3, v1, v9
	v_div_fmas_f32 v3, v10, v13, v16
	v_div_fixup_f32 v8, v3, v0, v8
	global_store_dwordx2 v[6:7], v[8:9], off
	s_cbranch_scc1 .LBB77_21
; %bb.22:
	s_cmp_lg_u32 s2, s8
	s_cselect_b64 s[0:1], -1, 0
.LBB77_23:
	s_and_b64 vcc, exec, s[0:1]
	s_cbranch_vccz .LBB77_26
; %bb.24:
	v_ashrrev_i32_e32 v1, 31, v4
	v_add_co_u32_e32 v2, vcc, s2, v4
	v_addc_co_u32_e32 v3, vcc, 0, v1, vcc
	v_lshlrev_b64 v[2:3], 2, v[2:3]
	v_mov_b32_e32 v1, s17
	v_add_co_u32_e32 v2, vcc, s16, v2
	s_sub_i32 s0, s8, s2
	v_addc_co_u32_e32 v3, vcc, v1, v3, vcc
.LBB77_25:                              ; =>This Inner Loop Header: Depth=1
	global_load_dword v1, v[2:3], off
	s_add_i32 s0, s0, -1
	s_cmp_lg_u32 s0, 0
	s_waitcnt vmcnt(0)
	v_div_scale_f32 v4, s[2:3], v0, v0, v1
	v_rcp_f32_e32 v5, v4
	v_div_scale_f32 v6, vcc, v1, v0, v1
	v_fma_f32 v7, -v4, v5, 1.0
	v_fmac_f32_e32 v5, v7, v5
	v_mul_f32_e32 v7, v6, v5
	v_fma_f32 v8, -v4, v7, v6
	v_fmac_f32_e32 v7, v8, v5
	v_fma_f32 v4, -v4, v7, v6
	v_div_fmas_f32 v4, v4, v5, v7
	v_div_fixup_f32 v1, v4, v0, v1
	global_store_dword v[2:3], v1, off
	v_add_co_u32_e32 v2, vcc, 4, v2
	v_addc_co_u32_e32 v3, vcc, 0, v3, vcc
	s_cbranch_scc1 .LBB77_25
.LBB77_26:
	s_endpgm
	.section	.rodata,"a",@progbits
	.p2align	6, 0x0
	.amdhsa_kernel _ZN4vllm3moe10topkGatingILi8ELi32ELi4ELi16ELi32Ei6__halfLNS0_11ScoringFuncE0EEEvPKT5_PKbPfiPT4_PiiiibPKf
		.amdhsa_group_segment_fixed_size 0
		.amdhsa_private_segment_fixed_size 0
		.amdhsa_kernarg_size 72
		.amdhsa_user_sgpr_count 6
		.amdhsa_user_sgpr_private_segment_buffer 1
		.amdhsa_user_sgpr_dispatch_ptr 0
		.amdhsa_user_sgpr_queue_ptr 0
		.amdhsa_user_sgpr_kernarg_segment_ptr 1
		.amdhsa_user_sgpr_dispatch_id 0
		.amdhsa_user_sgpr_flat_scratch_init 0
		.amdhsa_user_sgpr_kernarg_preload_length 0
		.amdhsa_user_sgpr_kernarg_preload_offset 0
		.amdhsa_user_sgpr_private_segment_size 0
		.amdhsa_uses_dynamic_stack 0
		.amdhsa_system_sgpr_private_segment_wavefront_offset 0
		.amdhsa_system_sgpr_workgroup_id_x 1
		.amdhsa_system_sgpr_workgroup_id_y 0
		.amdhsa_system_sgpr_workgroup_id_z 0
		.amdhsa_system_sgpr_workgroup_info 0
		.amdhsa_system_vgpr_workitem_id 1
		.amdhsa_next_free_vgpr 32
		.amdhsa_next_free_sgpr 24
		.amdhsa_accum_offset 32
		.amdhsa_reserve_vcc 1
		.amdhsa_reserve_flat_scratch 0
		.amdhsa_float_round_mode_32 0
		.amdhsa_float_round_mode_16_64 0
		.amdhsa_float_denorm_mode_32 3
		.amdhsa_float_denorm_mode_16_64 3
		.amdhsa_dx10_clamp 1
		.amdhsa_ieee_mode 1
		.amdhsa_fp16_overflow 0
		.amdhsa_tg_split 0
		.amdhsa_exception_fp_ieee_invalid_op 0
		.amdhsa_exception_fp_denorm_src 0
		.amdhsa_exception_fp_ieee_div_zero 0
		.amdhsa_exception_fp_ieee_overflow 0
		.amdhsa_exception_fp_ieee_underflow 0
		.amdhsa_exception_fp_ieee_inexact 0
		.amdhsa_exception_int_div_zero 0
	.end_amdhsa_kernel
	.section	.text._ZN4vllm3moe10topkGatingILi8ELi32ELi4ELi16ELi32Ei6__halfLNS0_11ScoringFuncE0EEEvPKT5_PKbPfiPT4_PiiiibPKf,"axG",@progbits,_ZN4vllm3moe10topkGatingILi8ELi32ELi4ELi16ELi32Ei6__halfLNS0_11ScoringFuncE0EEEvPKT5_PKbPfiPT4_PiiiibPKf,comdat
.Lfunc_end77:
	.size	_ZN4vllm3moe10topkGatingILi8ELi32ELi4ELi16ELi32Ei6__halfLNS0_11ScoringFuncE0EEEvPKT5_PKbPfiPT4_PiiiibPKf, .Lfunc_end77-_ZN4vllm3moe10topkGatingILi8ELi32ELi4ELi16ELi32Ei6__halfLNS0_11ScoringFuncE0EEEvPKT5_PKbPfiPT4_PiiiibPKf
                                        ; -- End function
	.section	.AMDGPU.csdata,"",@progbits
; Kernel info:
; codeLenInByte = 2744
; NumSgprs: 28
; NumVgprs: 32
; NumAgprs: 0
; TotalNumVgprs: 32
; ScratchSize: 0
; MemoryBound: 0
; FloatMode: 240
; IeeeMode: 1
; LDSByteSize: 0 bytes/workgroup (compile time only)
; SGPRBlocks: 3
; VGPRBlocks: 3
; NumSGPRsForWavesPerEU: 28
; NumVGPRsForWavesPerEU: 32
; AccumOffset: 32
; Occupancy: 8
; WaveLimiterHint : 0
; COMPUTE_PGM_RSRC2:SCRATCH_EN: 0
; COMPUTE_PGM_RSRC2:USER_SGPR: 6
; COMPUTE_PGM_RSRC2:TRAP_HANDLER: 0
; COMPUTE_PGM_RSRC2:TGID_X_EN: 1
; COMPUTE_PGM_RSRC2:TGID_Y_EN: 0
; COMPUTE_PGM_RSRC2:TGID_Z_EN: 0
; COMPUTE_PGM_RSRC2:TIDIG_COMP_CNT: 1
; COMPUTE_PGM_RSRC3_GFX90A:ACCUM_OFFSET: 7
; COMPUTE_PGM_RSRC3_GFX90A:TG_SPLIT: 0
	.section	.text._ZN4vllm3moe10topkGatingILi8ELi64ELi4ELi16ELi64Ei6__halfLNS0_11ScoringFuncE0EEEvPKT5_PKbPfiPT4_PiiiibPKf,"axG",@progbits,_ZN4vllm3moe10topkGatingILi8ELi64ELi4ELi16ELi64Ei6__halfLNS0_11ScoringFuncE0EEEvPKT5_PKbPfiPT4_PiiiibPKf,comdat
	.protected	_ZN4vllm3moe10topkGatingILi8ELi64ELi4ELi16ELi64Ei6__halfLNS0_11ScoringFuncE0EEEvPKT5_PKbPfiPT4_PiiiibPKf ; -- Begin function _ZN4vllm3moe10topkGatingILi8ELi64ELi4ELi16ELi64Ei6__halfLNS0_11ScoringFuncE0EEEvPKT5_PKbPfiPT4_PiiiibPKf
	.globl	_ZN4vllm3moe10topkGatingILi8ELi64ELi4ELi16ELi64Ei6__halfLNS0_11ScoringFuncE0EEEvPKT5_PKbPfiPT4_PiiiibPKf
	.p2align	8
	.type	_ZN4vllm3moe10topkGatingILi8ELi64ELi4ELi16ELi64Ei6__halfLNS0_11ScoringFuncE0EEEvPKT5_PKbPfiPT4_PiiiibPKf,@function
_ZN4vllm3moe10topkGatingILi8ELi64ELi4ELi16ELi64Ei6__halfLNS0_11ScoringFuncE0EEEvPKT5_PKbPfiPT4_PiiiibPKf: ; @_ZN4vllm3moe10topkGatingILi8ELi64ELi4ELi16ELi64Ei6__halfLNS0_11ScoringFuncE0EEEvPKT5_PKbPfiPT4_PiiiibPKf
; %bb.0:
	s_load_dword s24, s[4:5], 0x18
	v_bfe_u32 v1, v0, 10, 10
	v_and_b32_e32 v0, 0x3ff, v0
	s_lshl_b32 s0, s6, 5
	v_lshlrev_b32_e32 v1, 3, v1
	v_lshrrev_b32_e32 v2, 3, v0
	v_add3_u32 v17, s0, v1, v2
	s_waitcnt lgkmcnt(0)
	v_cmp_gt_i32_e32 vcc, s24, v17
	s_and_saveexec_b64 s[0:1], vcc
	s_cbranch_execz .LBB78_30
; %bb.1:
	s_load_dwordx4 s[0:3], s[4:5], 0x0
	s_load_dwordx2 s[16:17], s[4:5], 0x10
	s_mov_b64 s[6:7], -1
	s_mov_b64 s[18:19], -1
	s_waitcnt lgkmcnt(0)
	s_cmp_eq_u64 s[2:3], 0
	s_cbranch_scc1 .LBB78_3
; %bb.2:
	v_ashrrev_i32_e32 v1, 31, v17
	v_mov_b32_e32 v3, s3
	v_add_co_u32_e32 v2, vcc, s2, v17
	v_addc_co_u32_e32 v3, vcc, v3, v1, vcc
	global_load_ubyte v1, v[2:3], off
	s_waitcnt vmcnt(0)
	v_and_b32_e32 v1, 1, v1
	v_cmp_eq_u32_e32 vcc, 1, v1
	s_xor_b64 s[2:3], vcc, -1
	s_orn2_b64 s[18:19], s[2:3], exec
.LBB78_3:
	v_lshlrev_b32_e32 v2, 6, v17
	v_ashrrev_i32_e32 v3, 31, v2
	v_lshlrev_b64 v[2:3], 1, v[2:3]
	v_mov_b32_e32 v1, s1
	v_add_co_u32_e32 v2, vcc, s0, v2
	v_and_b32_e32 v21, 7, v0
	v_addc_co_u32_e32 v1, vcc, v1, v3, vcc
	v_lshlrev_b32_e32 v0, 4, v21
	v_add_co_u32_e32 v0, vcc, v2, v0
	v_addc_co_u32_e32 v1, vcc, 0, v1, vcc
	global_load_dwordx4 v[0:3], v[0:1], off
	v_mbcnt_lo_u32_b32 v4, -1, 0
	v_mbcnt_hi_u32_b32 v8, -1, v4
	v_and_b32_e32 v4, 0x78, v8
	v_xor_b32_e32 v5, 4, v8
	v_add_u32_e32 v9, 8, v4
	v_cmp_lt_i32_e32 vcc, v5, v9
	v_cndmask_b32_e32 v4, v8, v5, vcc
	v_lshlrev_b32_e32 v22, 2, v4
	v_xor_b32_e32 v12, 2, v8
	v_cmp_lt_i32_e32 vcc, v12, v9
	v_cndmask_b32_e32 v12, v8, v12, vcc
	v_lshlrev_b32_e32 v23, 2, v12
	v_xor_b32_e32 v12, 1, v8
	v_cmp_lt_i32_e32 vcc, v12, v9
	v_cndmask_b32_e32 v8, v8, v12, vcc
	v_lshlrev_b32_e32 v24, 2, v8
	s_mov_b32 s2, 0x3fb8aa3b
	s_mov_b32 s0, 0xc2ce8ed0
	;; [unrolled: 1-line block ×3, first 2 shown]
	v_mov_b32_e32 v8, 0x7f800000
	s_waitcnt vmcnt(0)
	v_cvt_f32_f16_e32 v6, v0
	v_cvt_f32_f16_sdwa v7, v0 dst_sel:DWORD dst_unused:UNUSED_PAD src0_sel:WORD_1
	v_cvt_f32_f16_e32 v10, v1
	v_cvt_f32_f16_sdwa v4, v1 dst_sel:DWORD dst_unused:UNUSED_PAD src0_sel:WORD_1
	;; [unrolled: 2-line block ×3, first 2 shown]
	v_cvt_f32_f16_sdwa v11, v3 dst_sel:DWORD dst_unused:UNUSED_PAD src0_sel:WORD_1
	v_cvt_f32_f16_e32 v1, v3
	v_max_f32_e32 v2, v6, v7
	v_max3_f32 v2, v2, v10, v4
	v_max3_f32 v2, v2, v5, v0
	;; [unrolled: 1-line block ×3, first 2 shown]
	ds_bpermute_b32 v3, v22, v2
	s_waitcnt lgkmcnt(0)
	v_max_f32_e32 v3, v3, v3
	v_max_f32_e32 v2, v2, v3
	ds_bpermute_b32 v3, v23, v2
	s_waitcnt lgkmcnt(0)
	v_max_f32_e32 v3, v3, v3
	v_max_f32_e32 v2, v2, v3
	;; [unrolled: 4-line block ×3, first 2 shown]
	v_pk_add_f32 v[6:7], v[6:7], v[2:3] op_sel_hi:[1,0] neg_lo:[0,1] neg_hi:[0,1]
	v_mul_f32_e32 v9, 0x3fb8aa3b, v7
	v_sub_f32_e32 v3, v10, v2
	v_mul_f32_e32 v10, 0x3fb8aa3b, v6
	v_fma_f32 v16, v7, s2, -v9
	v_rndne_f32_e32 v18, v9
	v_pk_add_f32 v[4:5], v[4:5], v[2:3] op_sel_hi:[1,0] neg_lo:[0,1] neg_hi:[0,1]
	v_mul_f32_e32 v12, 0x3fb8aa3b, v3
	v_fma_f32 v19, v6, s2, -v10
	v_rndne_f32_e32 v20, v10
	v_fmac_f32_e32 v16, 0x32a5705f, v7
	v_sub_f32_e32 v9, v9, v18
	v_mul_f32_e32 v13, 0x3fb8aa3b, v5
	v_fma_f32 v25, v3, s2, -v12
	v_rndne_f32_e32 v26, v12
	v_fmac_f32_e32 v19, 0x32a5705f, v6
	v_sub_f32_e32 v10, v10, v20
	v_add_f32_e32 v9, v9, v16
	v_mul_f32_e32 v14, 0x3fb8aa3b, v4
	v_fma_f32 v27, v5, s2, -v13
	v_rndne_f32_e32 v28, v13
	v_cvt_i32_f32_e32 v18, v18
	v_fmac_f32_e32 v25, 0x32a5705f, v3
	v_sub_f32_e32 v12, v12, v26
	v_add_f32_e32 v10, v10, v19
	v_exp_f32_e32 v9, v9
	v_fma_f32 v29, v4, s2, -v14
	v_rndne_f32_e32 v30, v14
	v_cvt_i32_f32_e32 v20, v20
	v_fmac_f32_e32 v27, 0x32a5705f, v5
	v_sub_f32_e32 v13, v13, v28
	v_add_f32_e32 v12, v12, v25
	v_exp_f32_e32 v10, v10
	v_cvt_i32_f32_e32 v26, v26
	v_fmac_f32_e32 v29, 0x32a5705f, v4
	v_sub_f32_e32 v14, v14, v30
	v_add_f32_e32 v13, v13, v27
	v_exp_f32_e32 v12, v12
	v_cvt_i32_f32_e32 v28, v28
	v_add_f32_e32 v14, v14, v29
	v_exp_f32_e32 v13, v13
	v_cvt_i32_f32_e32 v30, v30
	v_exp_f32_e32 v14, v14
	v_ldexp_f32 v9, v9, v18
	v_cmp_ngt_f32_e32 vcc, s0, v7
	v_ldexp_f32 v10, v10, v20
	v_cndmask_b32_e32 v9, 0, v9, vcc
	v_cmp_ngt_f32_e32 vcc, s0, v6
	v_ldexp_f32 v12, v12, v26
	v_cndmask_b32_e32 v10, 0, v10, vcc
	;; [unrolled: 3-line block ×4, first 2 shown]
	v_cmp_ngt_f32_e32 vcc, s0, v4
	v_pk_add_f32 v[0:1], v[0:1], v[2:3] op_sel_hi:[1,0] neg_lo:[0,1] neg_hi:[0,1]
	v_cndmask_b32_e32 v14, 0, v14, vcc
	v_cmp_nlt_f32_e32 vcc, s1, v7
	v_mul_f32_e32 v15, 0x3fb8aa3b, v1
	v_cndmask_b32_e32 v7, v8, v9, vcc
	v_cmp_nlt_f32_e32 vcc, s1, v6
	v_fma_f32 v31, v1, s2, -v15
	v_cndmask_b32_e32 v6, v8, v10, vcc
	v_cmp_nlt_f32_e32 vcc, s1, v3
	v_rndne_f32_e32 v10, v15
	v_fmac_f32_e32 v31, 0x32a5705f, v1
	v_cndmask_b32_e32 v3, v8, v12, vcc
	v_sub_f32_e32 v12, v15, v10
	v_add_f32_e32 v12, v12, v31
	v_exp_f32_e32 v12, v12
	v_cvt_i32_f32_e32 v10, v10
	v_cmp_nlt_f32_e32 vcc, s1, v5
	v_cndmask_b32_e32 v5, v8, v13, vcc
	v_cmp_nlt_f32_e32 vcc, s1, v4
	v_ldexp_f32 v10, v12, v10
	v_mul_f32_e32 v12, 0x3fb8aa3b, v0
	v_cndmask_b32_e32 v4, v8, v14, vcc
	v_fma_f32 v13, v0, s2, -v12
	v_rndne_f32_e32 v14, v12
	v_fmac_f32_e32 v13, 0x32a5705f, v0
	v_sub_f32_e32 v12, v12, v14
	v_add_f32_e32 v12, v12, v13
	v_exp_f32_e32 v12, v12
	v_cvt_i32_f32_e32 v13, v14
	v_cmp_ngt_f32_e32 vcc, s0, v1
	v_sub_f32_e32 v2, v11, v2
	v_cndmask_b32_e32 v10, 0, v10, vcc
	v_cmp_nlt_f32_e32 vcc, s1, v1
	v_mul_f32_e32 v11, 0x3fb8aa3b, v2
	v_cndmask_b32_e32 v1, v8, v10, vcc
	v_ldexp_f32 v10, v12, v13
	v_fma_f32 v12, v2, s2, -v11
	v_rndne_f32_e32 v13, v11
	v_fmac_f32_e32 v12, 0x32a5705f, v2
	v_sub_f32_e32 v11, v11, v13
	v_add_f32_e32 v11, v11, v12
	v_exp_f32_e32 v11, v11
	v_cvt_i32_f32_e32 v12, v13
	v_add_f32_e32 v9, v6, v7
	v_add_f32_e32 v9, v9, v3
	v_cmp_ngt_f32_e32 vcc, s0, v0
	v_add_f32_e32 v9, v9, v4
	v_cndmask_b32_e32 v10, 0, v10, vcc
	v_cmp_nlt_f32_e32 vcc, s1, v0
	v_add_f32_e32 v9, v9, v5
	v_cndmask_b32_e32 v0, v8, v10, vcc
	v_ldexp_f32 v10, v11, v12
	v_cmp_ngt_f32_e32 vcc, s0, v2
	v_add_f32_e32 v9, v9, v0
	v_cndmask_b32_e32 v10, 0, v10, vcc
	v_cmp_nlt_f32_e32 vcc, s1, v2
	v_add_f32_e32 v9, v9, v1
	v_cndmask_b32_e32 v10, v8, v10, vcc
	v_add_f32_e32 v2, v9, v10
	ds_bpermute_b32 v8, v22, v2
	s_movk_i32 s2, 0x1f8
	v_lshlrev_b32_e32 v25, 3, v21
	s_waitcnt lgkmcnt(0)
	v_add_f32_e32 v2, v2, v8
	ds_bpermute_b32 v8, v23, v2
	s_waitcnt lgkmcnt(0)
	v_add_f32_e32 v2, v2, v8
	ds_bpermute_b32 v8, v24, v2
	s_waitcnt lgkmcnt(0)
	v_add_f32_e32 v2, v2, v8
	v_div_scale_f32 v8, s[0:1], v2, v2, 1.0
	v_rcp_f32_e32 v9, v8
	s_load_dwordx2 s[0:1], s[4:5], 0x40
	v_fma_f32 v11, -v8, v9, 1.0
	v_fmac_f32_e32 v9, v11, v9
	v_div_scale_f32 v11, vcc, 1.0, v2, 1.0
	v_mul_f32_e32 v12, v11, v9
	v_fma_f32 v13, -v8, v12, v11
	v_fmac_f32_e32 v12, v13, v9
	v_fma_f32 v8, -v8, v12, v11
	v_div_fmas_f32 v8, v8, v9, v12
	v_div_fixup_f32 v2, v8, v2, 1.0
	v_mul_f32_e32 v11, v2, v6
	v_mul_f32_e32 v12, v2, v7
	;; [unrolled: 1-line block ×3, first 2 shown]
	v_cmp_class_f32_e64 vcc, v11, s2
	v_pk_mul_f32 v[8:9], v[2:3], v[0:1] op_sel_hi:[0,1]
	v_cndmask_b32_e32 v0, 0, v11, vcc
	v_cmp_class_f32_e64 vcc, v12, s2
	v_pk_mul_f32 v[6:7], v[2:3], v[4:5] op_sel_hi:[0,1]
	v_cndmask_b32_e32 v1, 0, v12, vcc
	v_cmp_class_f32_e64 vcc, v3, s2
	v_mov_b32_e32 v5, 0x207
	v_mul_f32_e32 v10, v2, v10
	v_cndmask_b32_e32 v2, 0, v3, vcc
	v_cmp_class_f32_e32 vcc, v7, v5
	v_cndmask_b32_e64 v4, v7, 0, vcc
	v_cmp_class_f32_e32 vcc, v6, v5
	v_cndmask_b32_e64 v3, v6, 0, vcc
	;; [unrolled: 2-line block ×4, first 2 shown]
	v_cmp_class_f32_e64 vcc, v10, s2
	s_waitcnt lgkmcnt(0)
	s_cmp_eq_u64 s[0:1], 0
	v_cndmask_b32_e32 v7, 0, v10, vcc
	s_cbranch_scc1 .LBB78_19
; %bb.4:
	v_lshlrev_b32_e32 v16, 2, v25
	global_load_dwordx4 v[8:11], v16, s[0:1]
	global_load_dwordx4 v[12:15], v16, s[0:1] offset:16
	s_waitcnt vmcnt(1)
	v_pk_add_f32 v[8:9], v[8:9], v[0:1]
	v_pk_add_f32 v[10:11], v[10:11], v[2:3]
	s_waitcnt vmcnt(0)
	v_pk_add_f32 v[12:13], v[12:13], v[4:5]
	v_pk_add_f32 v[14:15], v[14:15], v[6:7]
	s_cbranch_execnz .LBB78_6
.LBB78_5:
	v_pk_mov_b32 v[14:15], v[6:7], v[6:7] op_sel:[0,1]
	v_pk_mov_b32 v[12:13], v[4:5], v[4:5] op_sel:[0,1]
	;; [unrolled: 1-line block ×4, first 2 shown]
.LBB78_6:
	s_load_dwordx4 s[8:11], s[4:5], 0x30
	s_mov_b32 s25, 0
	v_cmp_eq_u32_e64 s[0:1], 0, v21
	s_waitcnt lgkmcnt(0)
	s_bitcmp1_b32 s11, 0
	s_cselect_b64 vcc, -1, 0
	s_cmp_gt_i32 s8, 0
	s_cselect_b64 s[20:21], -1, 0
	s_cmp_lt_i32 s8, 1
	s_cbranch_scc1 .LBB78_20
; %bb.7:
	s_load_dwordx4 s[12:15], s[4:5], 0x20
	v_mul_lo_u32 v27, v17, s8
	v_mov_b32_e32 v26, 0
	v_mov_b32_e32 v28, 0xc61c4000
	;; [unrolled: 1-line block ×3, first 2 shown]
	s_branch .LBB78_10
.LBB78_8:                               ;   in Loop: Header=BB78_10 Depth=1
	s_or_b64 exec, exec, s[4:5]
.LBB78_9:                               ;   in Loop: Header=BB78_10 Depth=1
	s_cmp_eq_u32 s8, s25
	v_add_u32_e32 v29, s24, v29
	s_cbranch_scc1 .LBB78_21
.LBB78_10:                              ; =>This Inner Loop Header: Depth=1
	v_cmp_gt_f32_e64 s[2:3], v9, v8
	v_cndmask_b32_e64 v16, v8, v9, s[2:3]
	v_cndmask_b32_e64 v18, v0, v1, s[2:3]
	s_waitcnt lgkmcnt(0)
	v_cndmask_b32_e64 v19, 0, 1, s[2:3]
	v_cmp_gt_f32_e64 s[2:3], v10, v16
	v_cndmask_b32_e64 v16, v16, v10, s[2:3]
	v_cndmask_b32_e64 v18, v18, v2, s[2:3]
	v_cndmask_b32_e64 v19, v19, 2, s[2:3]
	v_cmp_gt_f32_e64 s[2:3], v11, v16
	v_cndmask_b32_e64 v16, v16, v11, s[2:3]
	v_cndmask_b32_e64 v18, v18, v3, s[2:3]
	;; [unrolled: 4-line block ×6, first 2 shown]
	v_or_b32_e32 v19, v25, v19
	ds_bpermute_b32 v20, v22, v16
	ds_bpermute_b32 v30, v22, v19
	v_cndmask_b32_e64 v18, v18, v7, s[2:3]
	ds_bpermute_b32 v32, v22, v18
	s_waitcnt lgkmcnt(0)
	v_cmp_eq_f32_e64 s[4:5], v16, v20
	v_cmp_lt_i32_e64 s[6:7], v30, v19
	v_cmp_lt_f32_e64 s[2:3], v16, v20
	s_and_b64 s[4:5], s[4:5], s[6:7]
	s_or_b64 s[2:3], s[2:3], s[4:5]
	v_cndmask_b32_e64 v31, v16, v20, s[2:3]
	v_cndmask_b32_e64 v30, v19, v30, s[2:3]
	;; [unrolled: 1-line block ×3, first 2 shown]
	ds_bpermute_b32 v33, v23, v31
	ds_bpermute_b32 v20, v23, v16
	;; [unrolled: 1-line block ×3, first 2 shown]
                                        ; implicit-def: $vgpr18_vgpr19
	s_waitcnt lgkmcnt(2)
	v_cmp_lt_f32_e64 s[6:7], v31, v33
	v_cmp_nlt_f32_e64 s[2:3], v31, v33
	s_and_saveexec_b64 s[22:23], s[2:3]
	s_cbranch_execz .LBB78_12
; %bb.11:                               ;   in Loop: Header=BB78_10 Depth=1
	v_cmp_eq_f32_e64 s[2:3], v31, v33
	s_waitcnt lgkmcnt(0)
	v_cmp_lt_i32_e64 s[4:5], v32, v30
	s_and_b64 s[2:3], s[2:3], s[4:5]
	s_andn2_b64 s[4:5], s[6:7], exec
	s_and_b64 s[2:3], s[2:3], exec
	s_or_b64 s[6:7], s[4:5], s[2:3]
	v_pk_mov_b32 v[18:19], v[16:17], v[16:17] op_sel:[0,1]
.LBB78_12:                              ;   in Loop: Header=BB78_10 Depth=1
	s_or_b64 exec, exec, s[22:23]
	s_and_saveexec_b64 s[2:3], s[6:7]
	s_cbranch_execz .LBB78_14
; %bb.13:                               ;   in Loop: Header=BB78_10 Depth=1
	v_mov_b32_e32 v31, v33
	s_waitcnt lgkmcnt(1)
	v_mov_b32_e32 v16, v20
	s_waitcnt lgkmcnt(0)
	v_mov_b32_e32 v30, v32
	v_pk_mov_b32 v[18:19], v[20:21], v[20:21] op_sel:[0,1]
.LBB78_14:                              ;   in Loop: Header=BB78_10 Depth=1
	s_or_b64 exec, exec, s[2:3]
	s_waitcnt lgkmcnt(1)
	ds_bpermute_b32 v20, v24, v31
	s_waitcnt lgkmcnt(1)
	ds_bpermute_b32 v32, v24, v30
	ds_bpermute_b32 v19, v24, v16
	s_waitcnt lgkmcnt(2)
	v_cmp_eq_f32_e64 s[4:5], v31, v20
	s_waitcnt lgkmcnt(1)
	v_cmp_lt_i32_e64 s[6:7], v32, v30
	v_cmp_lt_f32_e64 s[2:3], v31, v20
	s_and_b64 s[4:5], s[4:5], s[6:7]
	s_or_b64 s[2:3], s[2:3], s[4:5]
	v_cndmask_b32_e64 v16, v30, v32, s[2:3]
	s_and_saveexec_b64 s[6:7], s[0:1]
	s_cbranch_execnz .LBB78_16
; %bb.15:                               ;   in Loop: Header=BB78_10 Depth=1
	s_or_b64 exec, exec, s[6:7]
	s_add_i32 s25, s25, 1
	s_cmp_ge_i32 s25, s8
	s_cbranch_scc1 .LBB78_9
	s_branch .LBB78_17
.LBB78_16:                              ;   in Loop: Header=BB78_10 Depth=1
	s_waitcnt lgkmcnt(0)
	v_cndmask_b32_e64 v20, v18, v19, s[2:3]
	v_add_u32_e32 v18, s25, v27
	v_ashrrev_i32_e32 v19, 31, v18
	v_cmp_le_i32_e64 s[2:3], s9, v16
	v_cmp_gt_i32_e64 s[4:5], s10, v16
	v_lshlrev_b64 v[18:19], 2, v[18:19]
	s_and_b64 s[4:5], s[2:3], s[4:5]
	v_mov_b32_e32 v31, s17
	v_add_co_u32_e64 v30, s[2:3], s16, v18
	v_addc_co_u32_e64 v31, s[2:3], v31, v19, s[2:3]
	global_store_dword v[30:31], v20, off
	v_subrev_u32_e32 v30, s9, v16
	s_and_b64 s[2:3], s[18:19], s[4:5]
	v_cndmask_b32_e64 v32, 64, v30, s[2:3]
	v_mov_b32_e32 v31, s13
	v_add_co_u32_e64 v30, s[2:3], s12, v18
	v_addc_co_u32_e64 v31, s[2:3], v31, v19, s[2:3]
	global_store_dword v[30:31], v32, off
	v_mov_b32_e32 v30, s15
	v_add_co_u32_e64 v18, s[2:3], s14, v18
	v_addc_co_u32_e64 v19, s[2:3], v30, v19, s[2:3]
	global_store_dword v[18:19], v29, off
	v_add_f32_e32 v18, v26, v20
	v_cndmask_b32_e32 v26, v26, v18, vcc
	s_or_b64 exec, exec, s[6:7]
	s_add_i32 s25, s25, 1
	s_cmp_ge_i32 s25, s8
	s_cbranch_scc1 .LBB78_9
.LBB78_17:                              ;   in Loop: Header=BB78_10 Depth=1
	s_waitcnt lgkmcnt(0)
	v_ashrrev_i32_e32 v19, 31, v16
	v_lshrrev_b32_e32 v18, 29, v19
	v_add_u32_e32 v18, v16, v18
	v_ashrrev_i32_e32 v18, 3, v18
	v_lshrrev_b32_e32 v20, 29, v18
	v_add_u32_e32 v20, v18, v20
	v_and_b32_e32 v20, -8, v20
	v_sub_u32_e32 v20, v18, v20
	v_cmp_eq_u32_e64 s[2:3], v21, v20
	s_and_saveexec_b64 s[4:5], s[2:3]
	s_cbranch_execz .LBB78_8
; %bb.18:                               ;   in Loop: Header=BB78_10 Depth=1
	v_lshrrev_b32_e32 v19, 26, v19
	v_add_u32_e32 v19, v16, v19
	v_lshlrev_b32_e32 v18, 3, v18
	v_ashrrev_i32_e32 v19, 6, v19
	v_sub_u32_e32 v16, v16, v18
	v_lshl_add_u32 v16, v19, 3, v16
	v_cmp_ne_u32_e64 s[2:3], 7, v16
	v_cndmask_b32_e64 v15, v28, v15, s[2:3]
	v_cmp_ne_u32_e64 s[2:3], 6, v16
	v_cndmask_b32_e64 v14, v28, v14, s[2:3]
	;; [unrolled: 2-line block ×8, first 2 shown]
	s_branch .LBB78_8
.LBB78_19:
                                        ; implicit-def: $vgpr8_vgpr9_vgpr10_vgpr11_vgpr12_vgpr13_vgpr14_vgpr15
	s_andn2_b64 vcc, exec, s[6:7]
	s_cbranch_vccz .LBB78_5
	s_branch .LBB78_6
.LBB78_20:
	v_mov_b32_e32 v26, 0
.LBB78_21:
	v_cmp_eq_u32_e64 s[0:1], 0, v21
	s_and_b64 s[0:1], s[0:1], vcc
	s_and_b64 exec, exec, s[0:1]
	s_cbranch_execz .LBB78_30
; %bb.22:
	s_andn2_b64 vcc, exec, s[20:21]
	s_cbranch_vccnz .LBB78_30
; %bb.23:
	v_cmp_lt_f32_e32 vcc, 0, v26
	s_mov_b32 s2, 0
	v_cndmask_b32_e32 v0, 1.0, v26, vcc
	v_mul_lo_u32 v4, v17, s8
	s_cmp_eq_u32 s8, 1
	s_mov_b64 s[0:1], -1
	s_cbranch_scc1 .LBB78_27
; %bb.24:
	s_and_b32 s2, s8, 0x7ffffffe
	v_mov_b32_e32 v1, v0
	v_mov_b32_e32 v5, s17
	s_mov_b32 s3, s2
	v_mov_b32_e32 v2, v4
.LBB78_25:                              ; =>This Inner Loop Header: Depth=1
	v_ashrrev_i32_e32 v3, 31, v2
	v_lshlrev_b64 v[6:7], 2, v[2:3]
	v_add_co_u32_e32 v6, vcc, s16, v6
	v_addc_co_u32_e32 v7, vcc, v5, v7, vcc
	global_load_dwordx2 v[8:9], v[6:7], off
	s_add_i32 s3, s3, -2
	s_cmp_lg_u32 s3, 0
	v_add_u32_e32 v2, 2, v2
	s_waitcnt vmcnt(0)
	v_div_scale_f32 v3, s[0:1], v1, v1, v9
	v_div_scale_f32 v11, s[0:1], v0, v0, v8
	v_rcp_f32_e32 v12, v3
	v_rcp_f32_e32 v13, v11
	v_div_scale_f32 v10, vcc, v9, v1, v9
	v_fma_f32 v15, -v3, v12, 1.0
	v_fma_f32 v16, -v11, v13, 1.0
	v_fmac_f32_e32 v12, v15, v12
	v_div_scale_f32 v14, s[0:1], v8, v0, v8
	v_fmac_f32_e32 v13, v16, v13
	v_mul_f32_e32 v15, v10, v12
	v_mul_f32_e32 v16, v14, v13
	v_fma_f32 v17, -v3, v15, v10
	v_fma_f32 v18, -v11, v16, v14
	v_fmac_f32_e32 v15, v17, v12
	v_fmac_f32_e32 v16, v18, v13
	v_fma_f32 v3, -v3, v15, v10
	v_fma_f32 v10, -v11, v16, v14
	v_div_fmas_f32 v3, v3, v12, v15
	s_mov_b64 vcc, s[0:1]
	v_div_fixup_f32 v9, v3, v1, v9
	v_div_fmas_f32 v3, v10, v13, v16
	v_div_fixup_f32 v8, v3, v0, v8
	global_store_dwordx2 v[6:7], v[8:9], off
	s_cbranch_scc1 .LBB78_25
; %bb.26:
	s_cmp_lg_u32 s2, s8
	s_cselect_b64 s[0:1], -1, 0
.LBB78_27:
	s_and_b64 vcc, exec, s[0:1]
	s_cbranch_vccz .LBB78_30
; %bb.28:
	v_ashrrev_i32_e32 v1, 31, v4
	v_add_co_u32_e32 v2, vcc, s2, v4
	v_addc_co_u32_e32 v3, vcc, 0, v1, vcc
	v_lshlrev_b64 v[2:3], 2, v[2:3]
	v_mov_b32_e32 v1, s17
	v_add_co_u32_e32 v2, vcc, s16, v2
	s_sub_i32 s0, s8, s2
	v_addc_co_u32_e32 v3, vcc, v1, v3, vcc
.LBB78_29:                              ; =>This Inner Loop Header: Depth=1
	global_load_dword v1, v[2:3], off
	s_add_i32 s0, s0, -1
	s_cmp_lg_u32 s0, 0
	s_waitcnt vmcnt(0)
	v_div_scale_f32 v4, s[2:3], v0, v0, v1
	v_rcp_f32_e32 v5, v4
	v_div_scale_f32 v6, vcc, v1, v0, v1
	v_fma_f32 v7, -v4, v5, 1.0
	v_fmac_f32_e32 v5, v7, v5
	v_mul_f32_e32 v7, v6, v5
	v_fma_f32 v8, -v4, v7, v6
	v_fmac_f32_e32 v7, v8, v5
	v_fma_f32 v4, -v4, v7, v6
	v_div_fmas_f32 v4, v4, v5, v7
	v_div_fixup_f32 v1, v4, v0, v1
	global_store_dword v[2:3], v1, off
	v_add_co_u32_e32 v2, vcc, 4, v2
	v_addc_co_u32_e32 v3, vcc, 0, v3, vcc
	s_cbranch_scc1 .LBB78_29
.LBB78_30:
	s_endpgm
	.section	.rodata,"a",@progbits
	.p2align	6, 0x0
	.amdhsa_kernel _ZN4vllm3moe10topkGatingILi8ELi64ELi4ELi16ELi64Ei6__halfLNS0_11ScoringFuncE0EEEvPKT5_PKbPfiPT4_PiiiibPKf
		.amdhsa_group_segment_fixed_size 0
		.amdhsa_private_segment_fixed_size 0
		.amdhsa_kernarg_size 72
		.amdhsa_user_sgpr_count 6
		.amdhsa_user_sgpr_private_segment_buffer 1
		.amdhsa_user_sgpr_dispatch_ptr 0
		.amdhsa_user_sgpr_queue_ptr 0
		.amdhsa_user_sgpr_kernarg_segment_ptr 1
		.amdhsa_user_sgpr_dispatch_id 0
		.amdhsa_user_sgpr_flat_scratch_init 0
		.amdhsa_user_sgpr_kernarg_preload_length 0
		.amdhsa_user_sgpr_kernarg_preload_offset 0
		.amdhsa_user_sgpr_private_segment_size 0
		.amdhsa_uses_dynamic_stack 0
		.amdhsa_system_sgpr_private_segment_wavefront_offset 0
		.amdhsa_system_sgpr_workgroup_id_x 1
		.amdhsa_system_sgpr_workgroup_id_y 0
		.amdhsa_system_sgpr_workgroup_id_z 0
		.amdhsa_system_sgpr_workgroup_info 0
		.amdhsa_system_vgpr_workitem_id 1
		.amdhsa_next_free_vgpr 34
		.amdhsa_next_free_sgpr 26
		.amdhsa_accum_offset 36
		.amdhsa_reserve_vcc 1
		.amdhsa_reserve_flat_scratch 0
		.amdhsa_float_round_mode_32 0
		.amdhsa_float_round_mode_16_64 0
		.amdhsa_float_denorm_mode_32 3
		.amdhsa_float_denorm_mode_16_64 3
		.amdhsa_dx10_clamp 1
		.amdhsa_ieee_mode 1
		.amdhsa_fp16_overflow 0
		.amdhsa_tg_split 0
		.amdhsa_exception_fp_ieee_invalid_op 0
		.amdhsa_exception_fp_denorm_src 0
		.amdhsa_exception_fp_ieee_div_zero 0
		.amdhsa_exception_fp_ieee_overflow 0
		.amdhsa_exception_fp_ieee_underflow 0
		.amdhsa_exception_fp_ieee_inexact 0
		.amdhsa_exception_int_div_zero 0
	.end_amdhsa_kernel
	.section	.text._ZN4vllm3moe10topkGatingILi8ELi64ELi4ELi16ELi64Ei6__halfLNS0_11ScoringFuncE0EEEvPKT5_PKbPfiPT4_PiiiibPKf,"axG",@progbits,_ZN4vllm3moe10topkGatingILi8ELi64ELi4ELi16ELi64Ei6__halfLNS0_11ScoringFuncE0EEEvPKT5_PKbPfiPT4_PiiiibPKf,comdat
.Lfunc_end78:
	.size	_ZN4vllm3moe10topkGatingILi8ELi64ELi4ELi16ELi64Ei6__halfLNS0_11ScoringFuncE0EEEvPKT5_PKbPfiPT4_PiiiibPKf, .Lfunc_end78-_ZN4vllm3moe10topkGatingILi8ELi64ELi4ELi16ELi64Ei6__halfLNS0_11ScoringFuncE0EEEvPKT5_PKbPfiPT4_PiiiibPKf
                                        ; -- End function
	.section	.AMDGPU.csdata,"",@progbits
; Kernel info:
; codeLenInByte = 2944
; NumSgprs: 30
; NumVgprs: 34
; NumAgprs: 0
; TotalNumVgprs: 34
; ScratchSize: 0
; MemoryBound: 0
; FloatMode: 240
; IeeeMode: 1
; LDSByteSize: 0 bytes/workgroup (compile time only)
; SGPRBlocks: 3
; VGPRBlocks: 4
; NumSGPRsForWavesPerEU: 30
; NumVGPRsForWavesPerEU: 34
; AccumOffset: 36
; Occupancy: 8
; WaveLimiterHint : 0
; COMPUTE_PGM_RSRC2:SCRATCH_EN: 0
; COMPUTE_PGM_RSRC2:USER_SGPR: 6
; COMPUTE_PGM_RSRC2:TRAP_HANDLER: 0
; COMPUTE_PGM_RSRC2:TGID_X_EN: 1
; COMPUTE_PGM_RSRC2:TGID_Y_EN: 0
; COMPUTE_PGM_RSRC2:TGID_Z_EN: 0
; COMPUTE_PGM_RSRC2:TIDIG_COMP_CNT: 1
; COMPUTE_PGM_RSRC3_GFX90A:ACCUM_OFFSET: 8
; COMPUTE_PGM_RSRC3_GFX90A:TG_SPLIT: 0
	.section	.text._ZN4vllm3moe10topkGatingILi8ELi64ELi4ELi16ELi32Ei6__halfLNS0_11ScoringFuncE0EEEvPKT5_PKbPfiPT4_PiiiibPKf,"axG",@progbits,_ZN4vllm3moe10topkGatingILi8ELi64ELi4ELi16ELi32Ei6__halfLNS0_11ScoringFuncE0EEEvPKT5_PKbPfiPT4_PiiiibPKf,comdat
	.protected	_ZN4vllm3moe10topkGatingILi8ELi64ELi4ELi16ELi32Ei6__halfLNS0_11ScoringFuncE0EEEvPKT5_PKbPfiPT4_PiiiibPKf ; -- Begin function _ZN4vllm3moe10topkGatingILi8ELi64ELi4ELi16ELi32Ei6__halfLNS0_11ScoringFuncE0EEEvPKT5_PKbPfiPT4_PiiiibPKf
	.globl	_ZN4vllm3moe10topkGatingILi8ELi64ELi4ELi16ELi32Ei6__halfLNS0_11ScoringFuncE0EEEvPKT5_PKbPfiPT4_PiiiibPKf
	.p2align	8
	.type	_ZN4vllm3moe10topkGatingILi8ELi64ELi4ELi16ELi32Ei6__halfLNS0_11ScoringFuncE0EEEvPKT5_PKbPfiPT4_PiiiibPKf,@function
_ZN4vllm3moe10topkGatingILi8ELi64ELi4ELi16ELi32Ei6__halfLNS0_11ScoringFuncE0EEEvPKT5_PKbPfiPT4_PiiiibPKf: ; @_ZN4vllm3moe10topkGatingILi8ELi64ELi4ELi16ELi32Ei6__halfLNS0_11ScoringFuncE0EEEvPKT5_PKbPfiPT4_PiiiibPKf
; %bb.0:
	s_load_dword s24, s[4:5], 0x18
	v_bfe_u32 v1, v0, 10, 10
	v_and_b32_e32 v0, 0x3ff, v0
	s_lshl_b32 s0, s6, 4
	v_lshlrev_b32_e32 v1, 2, v1
	v_lshrrev_b32_e32 v2, 3, v0
	v_add3_u32 v17, s0, v1, v2
	s_waitcnt lgkmcnt(0)
	v_cmp_gt_i32_e32 vcc, s24, v17
	s_and_saveexec_b64 s[0:1], vcc
	s_cbranch_execz .LBB79_30
; %bb.1:
	s_load_dwordx4 s[0:3], s[4:5], 0x0
	s_load_dwordx2 s[16:17], s[4:5], 0x10
	s_mov_b64 s[6:7], -1
	s_mov_b64 s[18:19], -1
	s_waitcnt lgkmcnt(0)
	s_cmp_eq_u64 s[2:3], 0
	s_cbranch_scc1 .LBB79_3
; %bb.2:
	v_ashrrev_i32_e32 v1, 31, v17
	v_mov_b32_e32 v3, s3
	v_add_co_u32_e32 v2, vcc, s2, v17
	v_addc_co_u32_e32 v3, vcc, v3, v1, vcc
	global_load_ubyte v1, v[2:3], off
	s_waitcnt vmcnt(0)
	v_and_b32_e32 v1, 1, v1
	v_cmp_eq_u32_e32 vcc, 1, v1
	s_xor_b64 s[2:3], vcc, -1
	s_orn2_b64 s[18:19], s[2:3], exec
.LBB79_3:
	v_lshlrev_b32_e32 v2, 6, v17
	v_ashrrev_i32_e32 v3, 31, v2
	v_lshlrev_b64 v[2:3], 1, v[2:3]
	v_mov_b32_e32 v1, s1
	v_add_co_u32_e32 v2, vcc, s0, v2
	v_and_b32_e32 v21, 7, v0
	v_addc_co_u32_e32 v1, vcc, v1, v3, vcc
	v_lshlrev_b32_e32 v0, 4, v21
	v_add_co_u32_e32 v0, vcc, v2, v0
	v_addc_co_u32_e32 v1, vcc, 0, v1, vcc
	global_load_dwordx4 v[0:3], v[0:1], off
	v_mbcnt_lo_u32_b32 v4, -1, 0
	v_mbcnt_hi_u32_b32 v8, -1, v4
	v_and_b32_e32 v4, 0x78, v8
	v_xor_b32_e32 v5, 4, v8
	v_add_u32_e32 v9, 8, v4
	v_cmp_lt_i32_e32 vcc, v5, v9
	v_cndmask_b32_e32 v4, v8, v5, vcc
	v_lshlrev_b32_e32 v22, 2, v4
	v_xor_b32_e32 v12, 2, v8
	v_cmp_lt_i32_e32 vcc, v12, v9
	v_cndmask_b32_e32 v12, v8, v12, vcc
	v_lshlrev_b32_e32 v23, 2, v12
	v_xor_b32_e32 v12, 1, v8
	v_cmp_lt_i32_e32 vcc, v12, v9
	v_cndmask_b32_e32 v8, v8, v12, vcc
	v_lshlrev_b32_e32 v24, 2, v8
	s_mov_b32 s2, 0x3fb8aa3b
	s_mov_b32 s0, 0xc2ce8ed0
	;; [unrolled: 1-line block ×3, first 2 shown]
	v_mov_b32_e32 v8, 0x7f800000
	s_waitcnt vmcnt(0)
	v_cvt_f32_f16_e32 v6, v0
	v_cvt_f32_f16_sdwa v7, v0 dst_sel:DWORD dst_unused:UNUSED_PAD src0_sel:WORD_1
	v_cvt_f32_f16_e32 v10, v1
	v_cvt_f32_f16_sdwa v4, v1 dst_sel:DWORD dst_unused:UNUSED_PAD src0_sel:WORD_1
	;; [unrolled: 2-line block ×3, first 2 shown]
	v_cvt_f32_f16_sdwa v11, v3 dst_sel:DWORD dst_unused:UNUSED_PAD src0_sel:WORD_1
	v_cvt_f32_f16_e32 v1, v3
	v_max_f32_e32 v2, v6, v7
	v_max3_f32 v2, v2, v10, v4
	v_max3_f32 v2, v2, v5, v0
	;; [unrolled: 1-line block ×3, first 2 shown]
	ds_bpermute_b32 v3, v22, v2
	s_waitcnt lgkmcnt(0)
	v_max_f32_e32 v3, v3, v3
	v_max_f32_e32 v2, v2, v3
	ds_bpermute_b32 v3, v23, v2
	s_waitcnt lgkmcnt(0)
	v_max_f32_e32 v3, v3, v3
	v_max_f32_e32 v2, v2, v3
	;; [unrolled: 4-line block ×3, first 2 shown]
	v_pk_add_f32 v[6:7], v[6:7], v[2:3] op_sel_hi:[1,0] neg_lo:[0,1] neg_hi:[0,1]
	v_mul_f32_e32 v9, 0x3fb8aa3b, v7
	v_sub_f32_e32 v3, v10, v2
	v_mul_f32_e32 v10, 0x3fb8aa3b, v6
	v_fma_f32 v16, v7, s2, -v9
	v_rndne_f32_e32 v18, v9
	v_pk_add_f32 v[4:5], v[4:5], v[2:3] op_sel_hi:[1,0] neg_lo:[0,1] neg_hi:[0,1]
	v_mul_f32_e32 v12, 0x3fb8aa3b, v3
	v_fma_f32 v19, v6, s2, -v10
	v_rndne_f32_e32 v20, v10
	v_fmac_f32_e32 v16, 0x32a5705f, v7
	v_sub_f32_e32 v9, v9, v18
	v_mul_f32_e32 v13, 0x3fb8aa3b, v5
	v_fma_f32 v25, v3, s2, -v12
	v_rndne_f32_e32 v26, v12
	v_fmac_f32_e32 v19, 0x32a5705f, v6
	v_sub_f32_e32 v10, v10, v20
	v_add_f32_e32 v9, v9, v16
	v_mul_f32_e32 v14, 0x3fb8aa3b, v4
	v_fma_f32 v27, v5, s2, -v13
	v_rndne_f32_e32 v28, v13
	v_cvt_i32_f32_e32 v18, v18
	v_fmac_f32_e32 v25, 0x32a5705f, v3
	v_sub_f32_e32 v12, v12, v26
	v_add_f32_e32 v10, v10, v19
	v_exp_f32_e32 v9, v9
	v_fma_f32 v29, v4, s2, -v14
	v_rndne_f32_e32 v30, v14
	v_cvt_i32_f32_e32 v20, v20
	v_fmac_f32_e32 v27, 0x32a5705f, v5
	v_sub_f32_e32 v13, v13, v28
	v_add_f32_e32 v12, v12, v25
	v_exp_f32_e32 v10, v10
	v_cvt_i32_f32_e32 v26, v26
	v_fmac_f32_e32 v29, 0x32a5705f, v4
	v_sub_f32_e32 v14, v14, v30
	v_add_f32_e32 v13, v13, v27
	v_exp_f32_e32 v12, v12
	v_cvt_i32_f32_e32 v28, v28
	v_add_f32_e32 v14, v14, v29
	v_exp_f32_e32 v13, v13
	v_cvt_i32_f32_e32 v30, v30
	v_exp_f32_e32 v14, v14
	v_ldexp_f32 v9, v9, v18
	v_cmp_ngt_f32_e32 vcc, s0, v7
	v_ldexp_f32 v10, v10, v20
	v_cndmask_b32_e32 v9, 0, v9, vcc
	v_cmp_ngt_f32_e32 vcc, s0, v6
	v_ldexp_f32 v12, v12, v26
	v_cndmask_b32_e32 v10, 0, v10, vcc
	;; [unrolled: 3-line block ×4, first 2 shown]
	v_cmp_ngt_f32_e32 vcc, s0, v4
	v_pk_add_f32 v[0:1], v[0:1], v[2:3] op_sel_hi:[1,0] neg_lo:[0,1] neg_hi:[0,1]
	v_cndmask_b32_e32 v14, 0, v14, vcc
	v_cmp_nlt_f32_e32 vcc, s1, v7
	v_mul_f32_e32 v15, 0x3fb8aa3b, v1
	v_cndmask_b32_e32 v7, v8, v9, vcc
	v_cmp_nlt_f32_e32 vcc, s1, v6
	v_fma_f32 v31, v1, s2, -v15
	v_cndmask_b32_e32 v6, v8, v10, vcc
	v_cmp_nlt_f32_e32 vcc, s1, v3
	v_rndne_f32_e32 v10, v15
	v_fmac_f32_e32 v31, 0x32a5705f, v1
	v_cndmask_b32_e32 v3, v8, v12, vcc
	v_sub_f32_e32 v12, v15, v10
	v_add_f32_e32 v12, v12, v31
	v_exp_f32_e32 v12, v12
	v_cvt_i32_f32_e32 v10, v10
	v_cmp_nlt_f32_e32 vcc, s1, v5
	v_cndmask_b32_e32 v5, v8, v13, vcc
	v_cmp_nlt_f32_e32 vcc, s1, v4
	v_ldexp_f32 v10, v12, v10
	v_mul_f32_e32 v12, 0x3fb8aa3b, v0
	v_cndmask_b32_e32 v4, v8, v14, vcc
	v_fma_f32 v13, v0, s2, -v12
	v_rndne_f32_e32 v14, v12
	v_fmac_f32_e32 v13, 0x32a5705f, v0
	v_sub_f32_e32 v12, v12, v14
	v_add_f32_e32 v12, v12, v13
	v_exp_f32_e32 v12, v12
	v_cvt_i32_f32_e32 v13, v14
	v_cmp_ngt_f32_e32 vcc, s0, v1
	v_sub_f32_e32 v2, v11, v2
	v_cndmask_b32_e32 v10, 0, v10, vcc
	v_cmp_nlt_f32_e32 vcc, s1, v1
	v_mul_f32_e32 v11, 0x3fb8aa3b, v2
	v_cndmask_b32_e32 v1, v8, v10, vcc
	v_ldexp_f32 v10, v12, v13
	v_fma_f32 v12, v2, s2, -v11
	v_rndne_f32_e32 v13, v11
	v_fmac_f32_e32 v12, 0x32a5705f, v2
	v_sub_f32_e32 v11, v11, v13
	v_add_f32_e32 v11, v11, v12
	v_exp_f32_e32 v11, v11
	v_cvt_i32_f32_e32 v12, v13
	v_add_f32_e32 v9, v6, v7
	v_add_f32_e32 v9, v9, v3
	v_cmp_ngt_f32_e32 vcc, s0, v0
	v_add_f32_e32 v9, v9, v4
	v_cndmask_b32_e32 v10, 0, v10, vcc
	v_cmp_nlt_f32_e32 vcc, s1, v0
	v_add_f32_e32 v9, v9, v5
	v_cndmask_b32_e32 v0, v8, v10, vcc
	v_ldexp_f32 v10, v11, v12
	v_cmp_ngt_f32_e32 vcc, s0, v2
	v_add_f32_e32 v9, v9, v0
	v_cndmask_b32_e32 v10, 0, v10, vcc
	v_cmp_nlt_f32_e32 vcc, s1, v2
	v_add_f32_e32 v9, v9, v1
	v_cndmask_b32_e32 v10, v8, v10, vcc
	v_add_f32_e32 v2, v9, v10
	ds_bpermute_b32 v8, v22, v2
	s_movk_i32 s2, 0x1f8
	v_lshlrev_b32_e32 v25, 3, v21
	s_waitcnt lgkmcnt(0)
	v_add_f32_e32 v2, v2, v8
	ds_bpermute_b32 v8, v23, v2
	s_waitcnt lgkmcnt(0)
	v_add_f32_e32 v2, v2, v8
	ds_bpermute_b32 v8, v24, v2
	s_waitcnt lgkmcnt(0)
	v_add_f32_e32 v2, v2, v8
	v_div_scale_f32 v8, s[0:1], v2, v2, 1.0
	v_rcp_f32_e32 v9, v8
	s_load_dwordx2 s[0:1], s[4:5], 0x40
	v_fma_f32 v11, -v8, v9, 1.0
	v_fmac_f32_e32 v9, v11, v9
	v_div_scale_f32 v11, vcc, 1.0, v2, 1.0
	v_mul_f32_e32 v12, v11, v9
	v_fma_f32 v13, -v8, v12, v11
	v_fmac_f32_e32 v12, v13, v9
	v_fma_f32 v8, -v8, v12, v11
	v_div_fmas_f32 v8, v8, v9, v12
	v_div_fixup_f32 v2, v8, v2, 1.0
	v_mul_f32_e32 v11, v2, v6
	v_mul_f32_e32 v12, v2, v7
	;; [unrolled: 1-line block ×3, first 2 shown]
	v_cmp_class_f32_e64 vcc, v11, s2
	v_pk_mul_f32 v[8:9], v[2:3], v[0:1] op_sel_hi:[0,1]
	v_cndmask_b32_e32 v0, 0, v11, vcc
	v_cmp_class_f32_e64 vcc, v12, s2
	v_pk_mul_f32 v[6:7], v[2:3], v[4:5] op_sel_hi:[0,1]
	v_cndmask_b32_e32 v1, 0, v12, vcc
	v_cmp_class_f32_e64 vcc, v3, s2
	v_mov_b32_e32 v5, 0x207
	v_mul_f32_e32 v10, v2, v10
	v_cndmask_b32_e32 v2, 0, v3, vcc
	v_cmp_class_f32_e32 vcc, v7, v5
	v_cndmask_b32_e64 v4, v7, 0, vcc
	v_cmp_class_f32_e32 vcc, v6, v5
	v_cndmask_b32_e64 v3, v6, 0, vcc
	;; [unrolled: 2-line block ×4, first 2 shown]
	v_cmp_class_f32_e64 vcc, v10, s2
	s_waitcnt lgkmcnt(0)
	s_cmp_eq_u64 s[0:1], 0
	v_cndmask_b32_e32 v7, 0, v10, vcc
	s_cbranch_scc1 .LBB79_19
; %bb.4:
	v_lshlrev_b32_e32 v16, 2, v25
	global_load_dwordx4 v[8:11], v16, s[0:1]
	global_load_dwordx4 v[12:15], v16, s[0:1] offset:16
	s_waitcnt vmcnt(1)
	v_pk_add_f32 v[8:9], v[8:9], v[0:1]
	v_pk_add_f32 v[10:11], v[10:11], v[2:3]
	s_waitcnt vmcnt(0)
	v_pk_add_f32 v[12:13], v[12:13], v[4:5]
	v_pk_add_f32 v[14:15], v[14:15], v[6:7]
	s_cbranch_execnz .LBB79_6
.LBB79_5:
	v_pk_mov_b32 v[14:15], v[6:7], v[6:7] op_sel:[0,1]
	v_pk_mov_b32 v[12:13], v[4:5], v[4:5] op_sel:[0,1]
	;; [unrolled: 1-line block ×4, first 2 shown]
.LBB79_6:
	s_load_dwordx4 s[8:11], s[4:5], 0x30
	s_mov_b32 s25, 0
	v_cmp_eq_u32_e64 s[0:1], 0, v21
	s_waitcnt lgkmcnt(0)
	s_bitcmp1_b32 s11, 0
	s_cselect_b64 vcc, -1, 0
	s_cmp_gt_i32 s8, 0
	s_cselect_b64 s[20:21], -1, 0
	s_cmp_lt_i32 s8, 1
	s_cbranch_scc1 .LBB79_20
; %bb.7:
	s_load_dwordx4 s[12:15], s[4:5], 0x20
	v_mul_lo_u32 v27, v17, s8
	v_mov_b32_e32 v26, 0
	v_mov_b32_e32 v28, 0xc61c4000
	v_mov_b32_e32 v29, v17
	s_branch .LBB79_10
.LBB79_8:                               ;   in Loop: Header=BB79_10 Depth=1
	s_or_b64 exec, exec, s[4:5]
.LBB79_9:                               ;   in Loop: Header=BB79_10 Depth=1
	s_cmp_eq_u32 s8, s25
	v_add_u32_e32 v29, s24, v29
	s_cbranch_scc1 .LBB79_21
.LBB79_10:                              ; =>This Inner Loop Header: Depth=1
	v_cmp_gt_f32_e64 s[2:3], v9, v8
	v_cndmask_b32_e64 v16, v8, v9, s[2:3]
	v_cndmask_b32_e64 v18, v0, v1, s[2:3]
	s_waitcnt lgkmcnt(0)
	v_cndmask_b32_e64 v19, 0, 1, s[2:3]
	v_cmp_gt_f32_e64 s[2:3], v10, v16
	v_cndmask_b32_e64 v16, v16, v10, s[2:3]
	v_cndmask_b32_e64 v18, v18, v2, s[2:3]
	v_cndmask_b32_e64 v19, v19, 2, s[2:3]
	v_cmp_gt_f32_e64 s[2:3], v11, v16
	v_cndmask_b32_e64 v16, v16, v11, s[2:3]
	v_cndmask_b32_e64 v18, v18, v3, s[2:3]
	v_cndmask_b32_e64 v19, v19, 3, s[2:3]
	v_cmp_gt_f32_e64 s[2:3], v12, v16
	v_cndmask_b32_e64 v16, v16, v12, s[2:3]
	v_cndmask_b32_e64 v18, v18, v4, s[2:3]
	v_cndmask_b32_e64 v19, v19, 4, s[2:3]
	v_cmp_gt_f32_e64 s[2:3], v13, v16
	v_cndmask_b32_e64 v16, v16, v13, s[2:3]
	v_cndmask_b32_e64 v18, v18, v5, s[2:3]
	v_cndmask_b32_e64 v19, v19, 5, s[2:3]
	v_cmp_gt_f32_e64 s[2:3], v14, v16
	v_cndmask_b32_e64 v16, v16, v14, s[2:3]
	v_cndmask_b32_e64 v18, v18, v6, s[2:3]
	v_cndmask_b32_e64 v19, v19, 6, s[2:3]
	v_cmp_gt_f32_e64 s[2:3], v15, v16
	v_cndmask_b32_e64 v19, v19, 7, s[2:3]
	v_cndmask_b32_e64 v16, v16, v15, s[2:3]
	v_or_b32_e32 v19, v25, v19
	ds_bpermute_b32 v20, v22, v16
	ds_bpermute_b32 v30, v22, v19
	v_cndmask_b32_e64 v18, v18, v7, s[2:3]
	ds_bpermute_b32 v32, v22, v18
	s_waitcnt lgkmcnt(0)
	v_cmp_eq_f32_e64 s[4:5], v16, v20
	v_cmp_lt_i32_e64 s[6:7], v30, v19
	v_cmp_lt_f32_e64 s[2:3], v16, v20
	s_and_b64 s[4:5], s[4:5], s[6:7]
	s_or_b64 s[2:3], s[2:3], s[4:5]
	v_cndmask_b32_e64 v31, v16, v20, s[2:3]
	v_cndmask_b32_e64 v30, v19, v30, s[2:3]
	;; [unrolled: 1-line block ×3, first 2 shown]
	ds_bpermute_b32 v33, v23, v31
	ds_bpermute_b32 v20, v23, v16
	;; [unrolled: 1-line block ×3, first 2 shown]
                                        ; implicit-def: $vgpr18_vgpr19
	s_waitcnt lgkmcnt(2)
	v_cmp_lt_f32_e64 s[6:7], v31, v33
	v_cmp_nlt_f32_e64 s[2:3], v31, v33
	s_and_saveexec_b64 s[22:23], s[2:3]
	s_cbranch_execz .LBB79_12
; %bb.11:                               ;   in Loop: Header=BB79_10 Depth=1
	v_cmp_eq_f32_e64 s[2:3], v31, v33
	s_waitcnt lgkmcnt(0)
	v_cmp_lt_i32_e64 s[4:5], v32, v30
	s_and_b64 s[2:3], s[2:3], s[4:5]
	s_andn2_b64 s[4:5], s[6:7], exec
	s_and_b64 s[2:3], s[2:3], exec
	s_or_b64 s[6:7], s[4:5], s[2:3]
	v_pk_mov_b32 v[18:19], v[16:17], v[16:17] op_sel:[0,1]
.LBB79_12:                              ;   in Loop: Header=BB79_10 Depth=1
	s_or_b64 exec, exec, s[22:23]
	s_and_saveexec_b64 s[2:3], s[6:7]
	s_cbranch_execz .LBB79_14
; %bb.13:                               ;   in Loop: Header=BB79_10 Depth=1
	v_mov_b32_e32 v31, v33
	s_waitcnt lgkmcnt(1)
	v_mov_b32_e32 v16, v20
	s_waitcnt lgkmcnt(0)
	v_mov_b32_e32 v30, v32
	v_pk_mov_b32 v[18:19], v[20:21], v[20:21] op_sel:[0,1]
.LBB79_14:                              ;   in Loop: Header=BB79_10 Depth=1
	s_or_b64 exec, exec, s[2:3]
	s_waitcnt lgkmcnt(1)
	ds_bpermute_b32 v20, v24, v31
	s_waitcnt lgkmcnt(1)
	ds_bpermute_b32 v32, v24, v30
	ds_bpermute_b32 v19, v24, v16
	s_waitcnt lgkmcnt(2)
	v_cmp_eq_f32_e64 s[4:5], v31, v20
	s_waitcnt lgkmcnt(1)
	v_cmp_lt_i32_e64 s[6:7], v32, v30
	v_cmp_lt_f32_e64 s[2:3], v31, v20
	s_and_b64 s[4:5], s[4:5], s[6:7]
	s_or_b64 s[2:3], s[2:3], s[4:5]
	v_cndmask_b32_e64 v16, v30, v32, s[2:3]
	s_and_saveexec_b64 s[6:7], s[0:1]
	s_cbranch_execnz .LBB79_16
; %bb.15:                               ;   in Loop: Header=BB79_10 Depth=1
	s_or_b64 exec, exec, s[6:7]
	s_add_i32 s25, s25, 1
	s_cmp_ge_i32 s25, s8
	s_cbranch_scc1 .LBB79_9
	s_branch .LBB79_17
.LBB79_16:                              ;   in Loop: Header=BB79_10 Depth=1
	s_waitcnt lgkmcnt(0)
	v_cndmask_b32_e64 v20, v18, v19, s[2:3]
	v_add_u32_e32 v18, s25, v27
	v_ashrrev_i32_e32 v19, 31, v18
	v_cmp_le_i32_e64 s[2:3], s9, v16
	v_cmp_gt_i32_e64 s[4:5], s10, v16
	v_lshlrev_b64 v[18:19], 2, v[18:19]
	s_and_b64 s[4:5], s[2:3], s[4:5]
	v_mov_b32_e32 v31, s17
	v_add_co_u32_e64 v30, s[2:3], s16, v18
	v_addc_co_u32_e64 v31, s[2:3], v31, v19, s[2:3]
	global_store_dword v[30:31], v20, off
	v_subrev_u32_e32 v30, s9, v16
	s_and_b64 s[2:3], s[18:19], s[4:5]
	v_cndmask_b32_e64 v32, 64, v30, s[2:3]
	v_mov_b32_e32 v31, s13
	v_add_co_u32_e64 v30, s[2:3], s12, v18
	v_addc_co_u32_e64 v31, s[2:3], v31, v19, s[2:3]
	global_store_dword v[30:31], v32, off
	v_mov_b32_e32 v30, s15
	v_add_co_u32_e64 v18, s[2:3], s14, v18
	v_addc_co_u32_e64 v19, s[2:3], v30, v19, s[2:3]
	global_store_dword v[18:19], v29, off
	v_add_f32_e32 v18, v26, v20
	v_cndmask_b32_e32 v26, v26, v18, vcc
	s_or_b64 exec, exec, s[6:7]
	s_add_i32 s25, s25, 1
	s_cmp_ge_i32 s25, s8
	s_cbranch_scc1 .LBB79_9
.LBB79_17:                              ;   in Loop: Header=BB79_10 Depth=1
	s_waitcnt lgkmcnt(0)
	v_ashrrev_i32_e32 v19, 31, v16
	v_lshrrev_b32_e32 v18, 29, v19
	v_add_u32_e32 v18, v16, v18
	v_ashrrev_i32_e32 v18, 3, v18
	v_lshrrev_b32_e32 v20, 29, v18
	v_add_u32_e32 v20, v18, v20
	v_and_b32_e32 v20, -8, v20
	v_sub_u32_e32 v20, v18, v20
	v_cmp_eq_u32_e64 s[2:3], v21, v20
	s_and_saveexec_b64 s[4:5], s[2:3]
	s_cbranch_execz .LBB79_8
; %bb.18:                               ;   in Loop: Header=BB79_10 Depth=1
	v_lshrrev_b32_e32 v19, 26, v19
	v_add_u32_e32 v19, v16, v19
	v_lshlrev_b32_e32 v18, 3, v18
	v_ashrrev_i32_e32 v19, 6, v19
	v_sub_u32_e32 v16, v16, v18
	v_lshl_add_u32 v16, v19, 3, v16
	v_cmp_ne_u32_e64 s[2:3], 7, v16
	v_cndmask_b32_e64 v15, v28, v15, s[2:3]
	v_cmp_ne_u32_e64 s[2:3], 6, v16
	v_cndmask_b32_e64 v14, v28, v14, s[2:3]
	;; [unrolled: 2-line block ×8, first 2 shown]
	s_branch .LBB79_8
.LBB79_19:
                                        ; implicit-def: $vgpr8_vgpr9_vgpr10_vgpr11_vgpr12_vgpr13_vgpr14_vgpr15
	s_andn2_b64 vcc, exec, s[6:7]
	s_cbranch_vccz .LBB79_5
	s_branch .LBB79_6
.LBB79_20:
	v_mov_b32_e32 v26, 0
.LBB79_21:
	v_cmp_eq_u32_e64 s[0:1], 0, v21
	s_and_b64 s[0:1], s[0:1], vcc
	s_and_b64 exec, exec, s[0:1]
	s_cbranch_execz .LBB79_30
; %bb.22:
	s_andn2_b64 vcc, exec, s[20:21]
	s_cbranch_vccnz .LBB79_30
; %bb.23:
	v_cmp_lt_f32_e32 vcc, 0, v26
	s_mov_b32 s2, 0
	v_cndmask_b32_e32 v0, 1.0, v26, vcc
	v_mul_lo_u32 v4, v17, s8
	s_cmp_eq_u32 s8, 1
	s_mov_b64 s[0:1], -1
	s_cbranch_scc1 .LBB79_27
; %bb.24:
	s_and_b32 s2, s8, 0x7ffffffe
	v_mov_b32_e32 v1, v0
	v_mov_b32_e32 v5, s17
	s_mov_b32 s3, s2
	v_mov_b32_e32 v2, v4
.LBB79_25:                              ; =>This Inner Loop Header: Depth=1
	v_ashrrev_i32_e32 v3, 31, v2
	v_lshlrev_b64 v[6:7], 2, v[2:3]
	v_add_co_u32_e32 v6, vcc, s16, v6
	v_addc_co_u32_e32 v7, vcc, v5, v7, vcc
	global_load_dwordx2 v[8:9], v[6:7], off
	s_add_i32 s3, s3, -2
	s_cmp_lg_u32 s3, 0
	v_add_u32_e32 v2, 2, v2
	s_waitcnt vmcnt(0)
	v_div_scale_f32 v3, s[0:1], v1, v1, v9
	v_div_scale_f32 v11, s[0:1], v0, v0, v8
	v_rcp_f32_e32 v12, v3
	v_rcp_f32_e32 v13, v11
	v_div_scale_f32 v10, vcc, v9, v1, v9
	v_fma_f32 v15, -v3, v12, 1.0
	v_fma_f32 v16, -v11, v13, 1.0
	v_fmac_f32_e32 v12, v15, v12
	v_div_scale_f32 v14, s[0:1], v8, v0, v8
	v_fmac_f32_e32 v13, v16, v13
	v_mul_f32_e32 v15, v10, v12
	v_mul_f32_e32 v16, v14, v13
	v_fma_f32 v17, -v3, v15, v10
	v_fma_f32 v18, -v11, v16, v14
	v_fmac_f32_e32 v15, v17, v12
	v_fmac_f32_e32 v16, v18, v13
	v_fma_f32 v3, -v3, v15, v10
	v_fma_f32 v10, -v11, v16, v14
	v_div_fmas_f32 v3, v3, v12, v15
	s_mov_b64 vcc, s[0:1]
	v_div_fixup_f32 v9, v3, v1, v9
	v_div_fmas_f32 v3, v10, v13, v16
	v_div_fixup_f32 v8, v3, v0, v8
	global_store_dwordx2 v[6:7], v[8:9], off
	s_cbranch_scc1 .LBB79_25
; %bb.26:
	s_cmp_lg_u32 s2, s8
	s_cselect_b64 s[0:1], -1, 0
.LBB79_27:
	s_and_b64 vcc, exec, s[0:1]
	s_cbranch_vccz .LBB79_30
; %bb.28:
	v_ashrrev_i32_e32 v1, 31, v4
	v_add_co_u32_e32 v2, vcc, s2, v4
	v_addc_co_u32_e32 v3, vcc, 0, v1, vcc
	v_lshlrev_b64 v[2:3], 2, v[2:3]
	v_mov_b32_e32 v1, s17
	v_add_co_u32_e32 v2, vcc, s16, v2
	s_sub_i32 s0, s8, s2
	v_addc_co_u32_e32 v3, vcc, v1, v3, vcc
.LBB79_29:                              ; =>This Inner Loop Header: Depth=1
	global_load_dword v1, v[2:3], off
	s_add_i32 s0, s0, -1
	s_cmp_lg_u32 s0, 0
	s_waitcnt vmcnt(0)
	v_div_scale_f32 v4, s[2:3], v0, v0, v1
	v_rcp_f32_e32 v5, v4
	v_div_scale_f32 v6, vcc, v1, v0, v1
	v_fma_f32 v7, -v4, v5, 1.0
	v_fmac_f32_e32 v5, v7, v5
	v_mul_f32_e32 v7, v6, v5
	v_fma_f32 v8, -v4, v7, v6
	v_fmac_f32_e32 v7, v8, v5
	v_fma_f32 v4, -v4, v7, v6
	v_div_fmas_f32 v4, v4, v5, v7
	v_div_fixup_f32 v1, v4, v0, v1
	global_store_dword v[2:3], v1, off
	v_add_co_u32_e32 v2, vcc, 4, v2
	v_addc_co_u32_e32 v3, vcc, 0, v3, vcc
	s_cbranch_scc1 .LBB79_29
.LBB79_30:
	s_endpgm
	.section	.rodata,"a",@progbits
	.p2align	6, 0x0
	.amdhsa_kernel _ZN4vllm3moe10topkGatingILi8ELi64ELi4ELi16ELi32Ei6__halfLNS0_11ScoringFuncE0EEEvPKT5_PKbPfiPT4_PiiiibPKf
		.amdhsa_group_segment_fixed_size 0
		.amdhsa_private_segment_fixed_size 0
		.amdhsa_kernarg_size 72
		.amdhsa_user_sgpr_count 6
		.amdhsa_user_sgpr_private_segment_buffer 1
		.amdhsa_user_sgpr_dispatch_ptr 0
		.amdhsa_user_sgpr_queue_ptr 0
		.amdhsa_user_sgpr_kernarg_segment_ptr 1
		.amdhsa_user_sgpr_dispatch_id 0
		.amdhsa_user_sgpr_flat_scratch_init 0
		.amdhsa_user_sgpr_kernarg_preload_length 0
		.amdhsa_user_sgpr_kernarg_preload_offset 0
		.amdhsa_user_sgpr_private_segment_size 0
		.amdhsa_uses_dynamic_stack 0
		.amdhsa_system_sgpr_private_segment_wavefront_offset 0
		.amdhsa_system_sgpr_workgroup_id_x 1
		.amdhsa_system_sgpr_workgroup_id_y 0
		.amdhsa_system_sgpr_workgroup_id_z 0
		.amdhsa_system_sgpr_workgroup_info 0
		.amdhsa_system_vgpr_workitem_id 1
		.amdhsa_next_free_vgpr 34
		.amdhsa_next_free_sgpr 26
		.amdhsa_accum_offset 36
		.amdhsa_reserve_vcc 1
		.amdhsa_reserve_flat_scratch 0
		.amdhsa_float_round_mode_32 0
		.amdhsa_float_round_mode_16_64 0
		.amdhsa_float_denorm_mode_32 3
		.amdhsa_float_denorm_mode_16_64 3
		.amdhsa_dx10_clamp 1
		.amdhsa_ieee_mode 1
		.amdhsa_fp16_overflow 0
		.amdhsa_tg_split 0
		.amdhsa_exception_fp_ieee_invalid_op 0
		.amdhsa_exception_fp_denorm_src 0
		.amdhsa_exception_fp_ieee_div_zero 0
		.amdhsa_exception_fp_ieee_overflow 0
		.amdhsa_exception_fp_ieee_underflow 0
		.amdhsa_exception_fp_ieee_inexact 0
		.amdhsa_exception_int_div_zero 0
	.end_amdhsa_kernel
	.section	.text._ZN4vllm3moe10topkGatingILi8ELi64ELi4ELi16ELi32Ei6__halfLNS0_11ScoringFuncE0EEEvPKT5_PKbPfiPT4_PiiiibPKf,"axG",@progbits,_ZN4vllm3moe10topkGatingILi8ELi64ELi4ELi16ELi32Ei6__halfLNS0_11ScoringFuncE0EEEvPKT5_PKbPfiPT4_PiiiibPKf,comdat
.Lfunc_end79:
	.size	_ZN4vllm3moe10topkGatingILi8ELi64ELi4ELi16ELi32Ei6__halfLNS0_11ScoringFuncE0EEEvPKT5_PKbPfiPT4_PiiiibPKf, .Lfunc_end79-_ZN4vllm3moe10topkGatingILi8ELi64ELi4ELi16ELi32Ei6__halfLNS0_11ScoringFuncE0EEEvPKT5_PKbPfiPT4_PiiiibPKf
                                        ; -- End function
	.section	.AMDGPU.csdata,"",@progbits
; Kernel info:
; codeLenInByte = 2944
; NumSgprs: 30
; NumVgprs: 34
; NumAgprs: 0
; TotalNumVgprs: 34
; ScratchSize: 0
; MemoryBound: 0
; FloatMode: 240
; IeeeMode: 1
; LDSByteSize: 0 bytes/workgroup (compile time only)
; SGPRBlocks: 3
; VGPRBlocks: 4
; NumSGPRsForWavesPerEU: 30
; NumVGPRsForWavesPerEU: 34
; AccumOffset: 36
; Occupancy: 8
; WaveLimiterHint : 0
; COMPUTE_PGM_RSRC2:SCRATCH_EN: 0
; COMPUTE_PGM_RSRC2:USER_SGPR: 6
; COMPUTE_PGM_RSRC2:TRAP_HANDLER: 0
; COMPUTE_PGM_RSRC2:TGID_X_EN: 1
; COMPUTE_PGM_RSRC2:TGID_Y_EN: 0
; COMPUTE_PGM_RSRC2:TGID_Z_EN: 0
; COMPUTE_PGM_RSRC2:TIDIG_COMP_CNT: 1
; COMPUTE_PGM_RSRC3_GFX90A:ACCUM_OFFSET: 8
; COMPUTE_PGM_RSRC3_GFX90A:TG_SPLIT: 0
	.section	.text._ZN4vllm3moe10topkGatingILi8ELi128ELi4ELi16ELi64Ei6__halfLNS0_11ScoringFuncE0EEEvPKT5_PKbPfiPT4_PiiiibPKf,"axG",@progbits,_ZN4vllm3moe10topkGatingILi8ELi128ELi4ELi16ELi64Ei6__halfLNS0_11ScoringFuncE0EEEvPKT5_PKbPfiPT4_PiiiibPKf,comdat
	.protected	_ZN4vllm3moe10topkGatingILi8ELi128ELi4ELi16ELi64Ei6__halfLNS0_11ScoringFuncE0EEEvPKT5_PKbPfiPT4_PiiiibPKf ; -- Begin function _ZN4vllm3moe10topkGatingILi8ELi128ELi4ELi16ELi64Ei6__halfLNS0_11ScoringFuncE0EEEvPKT5_PKbPfiPT4_PiiiibPKf
	.globl	_ZN4vllm3moe10topkGatingILi8ELi128ELi4ELi16ELi64Ei6__halfLNS0_11ScoringFuncE0EEEvPKT5_PKbPfiPT4_PiiiibPKf
	.p2align	8
	.type	_ZN4vllm3moe10topkGatingILi8ELi128ELi4ELi16ELi64Ei6__halfLNS0_11ScoringFuncE0EEEvPKT5_PKbPfiPT4_PiiiibPKf,@function
_ZN4vllm3moe10topkGatingILi8ELi128ELi4ELi16ELi64Ei6__halfLNS0_11ScoringFuncE0EEEvPKT5_PKbPfiPT4_PiiiibPKf: ; @_ZN4vllm3moe10topkGatingILi8ELi128ELi4ELi16ELi64Ei6__halfLNS0_11ScoringFuncE0EEEvPKT5_PKbPfiPT4_PiiiibPKf
; %bb.0:
	s_load_dword s24, s[4:5], 0x18
	v_bfe_u32 v1, v0, 10, 10
	v_and_b32_e32 v0, 0x3ff, v0
	s_lshl_b32 s0, s6, 4
	v_lshlrev_b32_e32 v1, 2, v1
	v_lshrrev_b32_e32 v2, 4, v0
	v_add3_u32 v17, s0, v1, v2
	s_waitcnt lgkmcnt(0)
	v_cmp_gt_i32_e32 vcc, s24, v17
	s_and_saveexec_b64 s[0:1], vcc
	s_cbranch_execz .LBB80_34
; %bb.1:
	s_load_dwordx4 s[0:3], s[4:5], 0x0
	s_load_dwordx2 s[16:17], s[4:5], 0x10
	s_mov_b64 s[6:7], -1
	s_mov_b64 s[18:19], -1
	s_waitcnt lgkmcnt(0)
	s_cmp_eq_u64 s[2:3], 0
	s_cbranch_scc1 .LBB80_3
; %bb.2:
	v_ashrrev_i32_e32 v1, 31, v17
	v_mov_b32_e32 v3, s3
	v_add_co_u32_e32 v2, vcc, s2, v17
	v_addc_co_u32_e32 v3, vcc, v3, v1, vcc
	global_load_ubyte v1, v[2:3], off
	s_waitcnt vmcnt(0)
	v_and_b32_e32 v1, 1, v1
	v_cmp_eq_u32_e32 vcc, 1, v1
	s_xor_b64 s[2:3], vcc, -1
	s_orn2_b64 s[18:19], s[2:3], exec
.LBB80_3:
	v_lshlrev_b32_e32 v2, 7, v17
	v_ashrrev_i32_e32 v3, 31, v2
	v_lshlrev_b64 v[2:3], 1, v[2:3]
	v_mov_b32_e32 v1, s1
	v_add_co_u32_e32 v2, vcc, s0, v2
	v_and_b32_e32 v21, 15, v0
	v_addc_co_u32_e32 v1, vcc, v1, v3, vcc
	v_lshlrev_b32_e32 v0, 4, v21
	v_add_co_u32_e32 v0, vcc, v2, v0
	v_addc_co_u32_e32 v1, vcc, 0, v1, vcc
	global_load_dwordx4 v[0:3], v[0:1], off
	v_mbcnt_lo_u32_b32 v4, -1, 0
	v_mbcnt_hi_u32_b32 v6, -1, v4
	v_and_b32_e32 v4, 0x70, v6
	v_xor_b32_e32 v5, 8, v6
	v_add_u32_e32 v7, 16, v4
	v_cmp_lt_i32_e32 vcc, v5, v7
	v_cndmask_b32_e32 v4, v6, v5, vcc
	v_lshlrev_b32_e32 v22, 2, v4
	v_xor_b32_e32 v12, 4, v6
	v_cmp_lt_i32_e32 vcc, v12, v7
	v_cndmask_b32_e32 v12, v6, v12, vcc
	v_lshlrev_b32_e32 v23, 2, v12
	v_xor_b32_e32 v12, 2, v6
	;; [unrolled: 4-line block ×3, first 2 shown]
	v_cmp_lt_i32_e32 vcc, v12, v7
	v_cndmask_b32_e32 v6, v6, v12, vcc
	v_lshlrev_b32_e32 v25, 2, v6
	s_mov_b32 s2, 0x3fb8aa3b
	s_mov_b32 s0, 0xc2ce8ed0
	;; [unrolled: 1-line block ×3, first 2 shown]
	v_mov_b32_e32 v6, 0x7f800000
	s_waitcnt vmcnt(0)
	v_cvt_f32_f16_e32 v8, v0
	v_cvt_f32_f16_sdwa v9, v0 dst_sel:DWORD dst_unused:UNUSED_PAD src0_sel:WORD_1
	v_cvt_f32_f16_e32 v10, v1
	v_cvt_f32_f16_sdwa v4, v1 dst_sel:DWORD dst_unused:UNUSED_PAD src0_sel:WORD_1
	;; [unrolled: 2-line block ×3, first 2 shown]
	v_cvt_f32_f16_sdwa v11, v3 dst_sel:DWORD dst_unused:UNUSED_PAD src0_sel:WORD_1
	v_cvt_f32_f16_e32 v1, v3
	v_max_f32_e32 v2, v8, v9
	v_max3_f32 v2, v2, v10, v4
	v_max3_f32 v2, v2, v5, v0
	;; [unrolled: 1-line block ×3, first 2 shown]
	ds_bpermute_b32 v3, v22, v2
	s_waitcnt lgkmcnt(0)
	v_max_f32_e32 v3, v3, v3
	v_max_f32_e32 v2, v2, v3
	ds_bpermute_b32 v3, v23, v2
	s_waitcnt lgkmcnt(0)
	v_max_f32_e32 v3, v3, v3
	v_max_f32_e32 v2, v2, v3
	;; [unrolled: 4-line block ×4, first 2 shown]
	v_sub_f32_e32 v3, v8, v2
	v_sub_f32_e32 v7, v9, v2
	v_mul_f32_e32 v9, 0x3fb8aa3b, v3
	v_sub_f32_e32 v8, v10, v2
	v_mul_f32_e32 v10, 0x3fb8aa3b, v7
	v_fma_f32 v16, v3, s2, -v9
	v_rndne_f32_e32 v18, v9
	v_pk_add_f32 v[4:5], v[4:5], v[2:3] op_sel_hi:[1,0] neg_lo:[0,1] neg_hi:[0,1]
	v_mul_f32_e32 v12, 0x3fb8aa3b, v8
	v_fma_f32 v19, v7, s2, -v10
	v_rndne_f32_e32 v20, v10
	v_fmac_f32_e32 v16, 0x32a5705f, v3
	v_sub_f32_e32 v9, v9, v18
	v_mul_f32_e32 v13, 0x3fb8aa3b, v5
	v_fma_f32 v26, v8, s2, -v12
	v_rndne_f32_e32 v27, v12
	v_fmac_f32_e32 v19, 0x32a5705f, v7
	v_sub_f32_e32 v10, v10, v20
	v_add_f32_e32 v9, v9, v16
	v_mul_f32_e32 v14, 0x3fb8aa3b, v4
	v_fma_f32 v28, v5, s2, -v13
	v_rndne_f32_e32 v29, v13
	v_cvt_i32_f32_e32 v18, v18
	v_fmac_f32_e32 v26, 0x32a5705f, v8
	v_sub_f32_e32 v12, v12, v27
	v_add_f32_e32 v10, v10, v19
	v_exp_f32_e32 v9, v9
	v_fma_f32 v30, v4, s2, -v14
	v_rndne_f32_e32 v31, v14
	v_cvt_i32_f32_e32 v20, v20
	v_fmac_f32_e32 v28, 0x32a5705f, v5
	v_sub_f32_e32 v13, v13, v29
	v_add_f32_e32 v12, v12, v26
	v_exp_f32_e32 v10, v10
	v_cvt_i32_f32_e32 v27, v27
	v_fmac_f32_e32 v30, 0x32a5705f, v4
	v_sub_f32_e32 v14, v14, v31
	v_add_f32_e32 v13, v13, v28
	v_exp_f32_e32 v12, v12
	v_cvt_i32_f32_e32 v29, v29
	v_add_f32_e32 v14, v14, v30
	v_exp_f32_e32 v13, v13
	v_cvt_i32_f32_e32 v31, v31
	v_exp_f32_e32 v14, v14
	v_ldexp_f32 v9, v9, v18
	v_cmp_ngt_f32_e32 vcc, s0, v3
	v_ldexp_f32 v10, v10, v20
	v_cndmask_b32_e32 v9, 0, v9, vcc
	v_cmp_ngt_f32_e32 vcc, s0, v7
	v_ldexp_f32 v12, v12, v27
	v_cndmask_b32_e32 v10, 0, v10, vcc
	;; [unrolled: 3-line block ×4, first 2 shown]
	v_cmp_ngt_f32_e32 vcc, s0, v4
	v_pk_add_f32 v[0:1], v[0:1], v[2:3] op_sel_hi:[1,0] neg_lo:[0,1] neg_hi:[0,1]
	v_cndmask_b32_e32 v14, 0, v14, vcc
	v_cmp_nlt_f32_e32 vcc, s1, v3
	v_mul_f32_e32 v15, 0x3fb8aa3b, v1
	v_cndmask_b32_e32 v3, v6, v9, vcc
	v_cmp_nlt_f32_e32 vcc, s1, v7
	v_fma_f32 v32, v1, s2, -v15
	v_cndmask_b32_e32 v7, v6, v10, vcc
	v_cmp_nlt_f32_e32 vcc, s1, v8
	v_rndne_f32_e32 v10, v15
	v_cndmask_b32_e32 v8, v6, v12, vcc
	v_fmac_f32_e32 v32, 0x32a5705f, v1
	v_sub_f32_e32 v12, v15, v10
	v_add_f32_e32 v12, v12, v32
	v_exp_f32_e32 v12, v12
	v_cvt_i32_f32_e32 v10, v10
	v_cmp_nlt_f32_e32 vcc, s1, v5
	v_cndmask_b32_e32 v5, v6, v13, vcc
	v_cmp_nlt_f32_e32 vcc, s1, v4
	v_ldexp_f32 v10, v12, v10
	v_mul_f32_e32 v12, 0x3fb8aa3b, v0
	v_cndmask_b32_e32 v4, v6, v14, vcc
	v_fma_f32 v13, v0, s2, -v12
	v_rndne_f32_e32 v14, v12
	v_fmac_f32_e32 v13, 0x32a5705f, v0
	v_sub_f32_e32 v12, v12, v14
	v_add_f32_e32 v12, v12, v13
	v_exp_f32_e32 v12, v12
	v_cvt_i32_f32_e32 v13, v14
	v_cmp_ngt_f32_e32 vcc, s0, v1
	v_sub_f32_e32 v2, v11, v2
	v_cndmask_b32_e32 v10, 0, v10, vcc
	v_cmp_nlt_f32_e32 vcc, s1, v1
	v_mul_f32_e32 v11, 0x3fb8aa3b, v2
	v_cndmask_b32_e32 v1, v6, v10, vcc
	v_ldexp_f32 v10, v12, v13
	v_fma_f32 v12, v2, s2, -v11
	v_rndne_f32_e32 v13, v11
	v_fmac_f32_e32 v12, 0x32a5705f, v2
	v_sub_f32_e32 v11, v11, v13
	v_add_f32_e32 v11, v11, v12
	v_exp_f32_e32 v11, v11
	v_cvt_i32_f32_e32 v12, v13
	v_add_f32_e32 v9, v3, v7
	v_add_f32_e32 v9, v9, v8
	v_cmp_ngt_f32_e32 vcc, s0, v0
	v_add_f32_e32 v9, v9, v4
	v_cndmask_b32_e32 v10, 0, v10, vcc
	v_cmp_nlt_f32_e32 vcc, s1, v0
	v_add_f32_e32 v9, v9, v5
	v_cndmask_b32_e32 v0, v6, v10, vcc
	v_ldexp_f32 v10, v11, v12
	v_cmp_ngt_f32_e32 vcc, s0, v2
	v_add_f32_e32 v9, v9, v0
	v_cndmask_b32_e32 v10, 0, v10, vcc
	v_cmp_nlt_f32_e32 vcc, s1, v2
	v_add_f32_e32 v9, v9, v1
	v_cndmask_b32_e32 v10, v6, v10, vcc
	v_add_f32_e32 v2, v9, v10
	ds_bpermute_b32 v6, v22, v2
	s_movk_i32 s2, 0x1f8
	v_lshlrev_b32_e32 v26, 3, v21
	s_waitcnt lgkmcnt(0)
	v_add_f32_e32 v2, v2, v6
	ds_bpermute_b32 v6, v23, v2
	s_waitcnt lgkmcnt(0)
	v_add_f32_e32 v2, v2, v6
	ds_bpermute_b32 v6, v24, v2
	;; [unrolled: 3-line block ×3, first 2 shown]
	s_waitcnt lgkmcnt(0)
	v_add_f32_e32 v2, v2, v6
	v_div_scale_f32 v6, s[0:1], v2, v2, 1.0
	v_rcp_f32_e32 v9, v6
	s_load_dwordx2 s[0:1], s[4:5], 0x40
	v_fma_f32 v11, -v6, v9, 1.0
	v_fmac_f32_e32 v9, v11, v9
	v_div_scale_f32 v11, vcc, 1.0, v2, 1.0
	v_mul_f32_e32 v12, v11, v9
	v_fma_f32 v13, -v6, v12, v11
	v_fmac_f32_e32 v12, v13, v9
	v_fma_f32 v6, -v6, v12, v11
	v_div_fmas_f32 v6, v6, v9, v12
	v_div_fixup_f32 v2, v6, v2, 1.0
	v_mul_f32_e32 v3, v2, v3
	v_mul_f32_e32 v11, v2, v7
	v_cmp_class_f32_e64 vcc, v3, s2
	v_mul_f32_e32 v12, v2, v8
	v_pk_mul_f32 v[8:9], v[2:3], v[0:1] op_sel_hi:[0,1]
	v_cndmask_b32_e32 v0, 0, v3, vcc
	v_cmp_class_f32_e64 vcc, v11, s2
	v_pk_mul_f32 v[6:7], v[2:3], v[4:5] op_sel_hi:[0,1]
	v_cndmask_b32_e32 v1, 0, v11, vcc
	v_cmp_class_f32_e64 vcc, v12, s2
	v_mov_b32_e32 v5, 0x207
	v_mul_f32_e32 v10, v2, v10
	v_cndmask_b32_e32 v2, 0, v12, vcc
	v_cmp_class_f32_e32 vcc, v7, v5
	v_cndmask_b32_e64 v4, v7, 0, vcc
	v_cmp_class_f32_e32 vcc, v6, v5
	v_cndmask_b32_e64 v3, v6, 0, vcc
	;; [unrolled: 2-line block ×4, first 2 shown]
	v_cmp_class_f32_e64 vcc, v10, s2
	s_waitcnt lgkmcnt(0)
	s_cmp_eq_u64 s[0:1], 0
	v_cndmask_b32_e32 v7, 0, v10, vcc
	s_cbranch_scc1 .LBB80_23
; %bb.4:
	v_lshlrev_b32_e32 v16, 2, v26
	global_load_dwordx4 v[8:11], v16, s[0:1]
	global_load_dwordx4 v[12:15], v16, s[0:1] offset:16
	s_waitcnt vmcnt(1)
	v_pk_add_f32 v[8:9], v[8:9], v[0:1]
	v_pk_add_f32 v[10:11], v[10:11], v[2:3]
	s_waitcnt vmcnt(0)
	v_pk_add_f32 v[12:13], v[12:13], v[4:5]
	v_pk_add_f32 v[14:15], v[14:15], v[6:7]
	s_cbranch_execnz .LBB80_6
.LBB80_5:
	v_pk_mov_b32 v[14:15], v[6:7], v[6:7] op_sel:[0,1]
	v_pk_mov_b32 v[12:13], v[4:5], v[4:5] op_sel:[0,1]
	v_pk_mov_b32 v[10:11], v[2:3], v[2:3] op_sel:[0,1]
	v_pk_mov_b32 v[8:9], v[0:1], v[0:1] op_sel:[0,1]
.LBB80_6:
	s_load_dwordx4 s[8:11], s[4:5], 0x30
	s_mov_b32 s25, 0
	v_cmp_eq_u32_e64 s[0:1], 0, v21
	s_waitcnt lgkmcnt(0)
	s_bitcmp1_b32 s11, 0
	s_cselect_b64 vcc, -1, 0
	s_cmp_gt_i32 s8, 0
	s_cselect_b64 s[20:21], -1, 0
	s_cmp_lt_i32 s8, 1
	s_cbranch_scc1 .LBB80_24
; %bb.7:
	s_load_dwordx4 s[12:15], s[4:5], 0x20
	v_mul_lo_u32 v28, v17, s8
	v_mov_b32_e32 v27, 0
	v_mov_b32_e32 v29, 0x80
	;; [unrolled: 1-line block ×4, first 2 shown]
	s_branch .LBB80_10
.LBB80_8:                               ;   in Loop: Header=BB80_10 Depth=1
	s_or_b64 exec, exec, s[4:5]
.LBB80_9:                               ;   in Loop: Header=BB80_10 Depth=1
	s_cmp_eq_u32 s8, s25
	v_add_u32_e32 v31, s24, v31
	s_cbranch_scc1 .LBB80_25
.LBB80_10:                              ; =>This Inner Loop Header: Depth=1
	v_cmp_gt_f32_e64 s[2:3], v9, v8
	v_cndmask_b32_e64 v16, v8, v9, s[2:3]
	v_cndmask_b32_e64 v18, v0, v1, s[2:3]
	s_waitcnt lgkmcnt(0)
	v_cndmask_b32_e64 v19, 0, 1, s[2:3]
	v_cmp_gt_f32_e64 s[2:3], v10, v16
	v_cndmask_b32_e64 v16, v16, v10, s[2:3]
	v_cndmask_b32_e64 v18, v18, v2, s[2:3]
	v_cndmask_b32_e64 v19, v19, 2, s[2:3]
	v_cmp_gt_f32_e64 s[2:3], v11, v16
	v_cndmask_b32_e64 v16, v16, v11, s[2:3]
	v_cndmask_b32_e64 v18, v18, v3, s[2:3]
	;; [unrolled: 4-line block ×6, first 2 shown]
	v_or_b32_e32 v19, v26, v19
	ds_bpermute_b32 v20, v22, v16
	ds_bpermute_b32 v32, v22, v19
	v_cndmask_b32_e64 v18, v18, v7, s[2:3]
	ds_bpermute_b32 v34, v22, v18
	s_waitcnt lgkmcnt(0)
	v_cmp_eq_f32_e64 s[4:5], v16, v20
	v_cmp_lt_i32_e64 s[6:7], v32, v19
	v_cmp_lt_f32_e64 s[2:3], v16, v20
	s_and_b64 s[4:5], s[4:5], s[6:7]
	s_or_b64 s[2:3], s[2:3], s[4:5]
	v_cndmask_b32_e64 v33, v19, v32, s[2:3]
	v_cndmask_b32_e64 v32, v16, v20, s[2:3]
	;; [unrolled: 1-line block ×3, first 2 shown]
	ds_bpermute_b32 v35, v23, v32
	ds_bpermute_b32 v20, v23, v16
	;; [unrolled: 1-line block ×3, first 2 shown]
                                        ; implicit-def: $vgpr18_vgpr19
	s_waitcnt lgkmcnt(2)
	v_cmp_lt_f32_e64 s[6:7], v32, v35
	v_cmp_nlt_f32_e64 s[2:3], v32, v35
	s_and_saveexec_b64 s[22:23], s[2:3]
	s_cbranch_execz .LBB80_12
; %bb.11:                               ;   in Loop: Header=BB80_10 Depth=1
	v_cmp_eq_f32_e64 s[2:3], v32, v35
	s_waitcnt lgkmcnt(0)
	v_cmp_lt_i32_e64 s[4:5], v34, v33
	s_and_b64 s[2:3], s[2:3], s[4:5]
	s_andn2_b64 s[4:5], s[6:7], exec
	s_and_b64 s[2:3], s[2:3], exec
	s_or_b64 s[6:7], s[4:5], s[2:3]
	v_pk_mov_b32 v[18:19], v[16:17], v[16:17] op_sel:[0,1]
.LBB80_12:                              ;   in Loop: Header=BB80_10 Depth=1
	s_or_b64 exec, exec, s[22:23]
	s_and_saveexec_b64 s[2:3], s[6:7]
	s_cbranch_execz .LBB80_14
; %bb.13:                               ;   in Loop: Header=BB80_10 Depth=1
	v_mov_b32_e32 v32, v35
	s_waitcnt lgkmcnt(1)
	v_mov_b32_e32 v16, v20
	s_waitcnt lgkmcnt(0)
	v_mov_b32_e32 v33, v34
	v_pk_mov_b32 v[18:19], v[20:21], v[20:21] op_sel:[0,1]
.LBB80_14:                              ;   in Loop: Header=BB80_10 Depth=1
	s_or_b64 exec, exec, s[2:3]
	s_waitcnt lgkmcnt(0)
	ds_bpermute_b32 v34, v24, v32
	ds_bpermute_b32 v20, v24, v16
	;; [unrolled: 1-line block ×3, first 2 shown]
	s_waitcnt lgkmcnt(2)
	v_cmp_lt_f32_e64 s[6:7], v32, v34
	v_cmp_nlt_f32_e64 s[2:3], v32, v34
	s_and_saveexec_b64 s[22:23], s[2:3]
	s_cbranch_execz .LBB80_16
; %bb.15:                               ;   in Loop: Header=BB80_10 Depth=1
	v_cmp_eq_f32_e64 s[2:3], v32, v34
	s_waitcnt lgkmcnt(0)
	v_cmp_lt_i32_e64 s[4:5], v19, v33
	s_and_b64 s[2:3], s[2:3], s[4:5]
	s_andn2_b64 s[4:5], s[6:7], exec
	s_and_b64 s[2:3], s[2:3], exec
	s_or_b64 s[6:7], s[4:5], s[2:3]
.LBB80_16:                              ;   in Loop: Header=BB80_10 Depth=1
	s_or_b64 exec, exec, s[22:23]
	s_and_saveexec_b64 s[2:3], s[6:7]
	s_cbranch_execz .LBB80_18
; %bb.17:                               ;   in Loop: Header=BB80_10 Depth=1
	v_mov_b32_e32 v32, v34
	s_waitcnt lgkmcnt(1)
	v_mov_b32_e32 v16, v20
	s_waitcnt lgkmcnt(0)
	v_mov_b32_e32 v33, v19
	v_pk_mov_b32 v[18:19], v[20:21], v[20:21] op_sel:[0,1]
.LBB80_18:                              ;   in Loop: Header=BB80_10 Depth=1
	s_or_b64 exec, exec, s[2:3]
	s_waitcnt lgkmcnt(1)
	ds_bpermute_b32 v20, v25, v32
	ds_bpermute_b32 v34, v25, v33
	s_waitcnt lgkmcnt(2)
	ds_bpermute_b32 v19, v25, v16
	s_waitcnt lgkmcnt(2)
	v_cmp_eq_f32_e64 s[4:5], v32, v20
	s_waitcnt lgkmcnt(1)
	v_cmp_lt_i32_e64 s[6:7], v34, v33
	v_cmp_lt_f32_e64 s[2:3], v32, v20
	s_and_b64 s[4:5], s[4:5], s[6:7]
	s_or_b64 s[2:3], s[2:3], s[4:5]
	v_cndmask_b32_e64 v16, v33, v34, s[2:3]
	s_and_saveexec_b64 s[6:7], s[0:1]
	s_cbranch_execnz .LBB80_20
; %bb.19:                               ;   in Loop: Header=BB80_10 Depth=1
	s_or_b64 exec, exec, s[6:7]
	s_add_i32 s25, s25, 1
	s_cmp_ge_i32 s25, s8
	s_cbranch_scc1 .LBB80_9
	s_branch .LBB80_21
.LBB80_20:                              ;   in Loop: Header=BB80_10 Depth=1
	s_waitcnt lgkmcnt(0)
	v_cndmask_b32_e64 v20, v18, v19, s[2:3]
	v_add_u32_e32 v18, s25, v28
	v_ashrrev_i32_e32 v19, 31, v18
	v_cmp_le_i32_e64 s[2:3], s9, v16
	v_cmp_gt_i32_e64 s[4:5], s10, v16
	v_lshlrev_b64 v[18:19], 2, v[18:19]
	s_and_b64 s[4:5], s[2:3], s[4:5]
	v_mov_b32_e32 v33, s17
	v_add_co_u32_e64 v32, s[2:3], s16, v18
	v_addc_co_u32_e64 v33, s[2:3], v33, v19, s[2:3]
	global_store_dword v[32:33], v20, off
	v_subrev_u32_e32 v32, s9, v16
	s_and_b64 s[2:3], s[18:19], s[4:5]
	v_cndmask_b32_e64 v34, v29, v32, s[2:3]
	v_mov_b32_e32 v33, s13
	v_add_co_u32_e64 v32, s[2:3], s12, v18
	v_addc_co_u32_e64 v33, s[2:3], v33, v19, s[2:3]
	global_store_dword v[32:33], v34, off
	v_mov_b32_e32 v32, s15
	v_add_co_u32_e64 v18, s[2:3], s14, v18
	v_addc_co_u32_e64 v19, s[2:3], v32, v19, s[2:3]
	global_store_dword v[18:19], v31, off
	v_add_f32_e32 v18, v27, v20
	v_cndmask_b32_e32 v27, v27, v18, vcc
	s_or_b64 exec, exec, s[6:7]
	s_add_i32 s25, s25, 1
	s_cmp_ge_i32 s25, s8
	s_cbranch_scc1 .LBB80_9
.LBB80_21:                              ;   in Loop: Header=BB80_10 Depth=1
	s_waitcnt lgkmcnt(0)
	v_ashrrev_i32_e32 v19, 31, v16
	v_lshrrev_b32_e32 v18, 29, v19
	v_add_u32_e32 v18, v16, v18
	v_ashrrev_i32_e32 v18, 3, v18
	v_lshrrev_b32_e32 v20, 28, v18
	v_add_u32_e32 v20, v18, v20
	v_and_b32_e32 v20, -16, v20
	v_sub_u32_e32 v20, v18, v20
	v_cmp_eq_u32_e64 s[2:3], v21, v20
	s_and_saveexec_b64 s[4:5], s[2:3]
	s_cbranch_execz .LBB80_8
; %bb.22:                               ;   in Loop: Header=BB80_10 Depth=1
	v_lshrrev_b32_e32 v19, 25, v19
	v_add_u32_e32 v19, v16, v19
	v_lshlrev_b32_e32 v18, 3, v18
	v_ashrrev_i32_e32 v19, 7, v19
	v_sub_u32_e32 v16, v16, v18
	v_lshl_add_u32 v16, v19, 3, v16
	v_cmp_ne_u32_e64 s[2:3], 7, v16
	v_cndmask_b32_e64 v15, v30, v15, s[2:3]
	v_cmp_ne_u32_e64 s[2:3], 6, v16
	v_cndmask_b32_e64 v14, v30, v14, s[2:3]
	;; [unrolled: 2-line block ×8, first 2 shown]
	s_branch .LBB80_8
.LBB80_23:
                                        ; implicit-def: $vgpr8_vgpr9_vgpr10_vgpr11_vgpr12_vgpr13_vgpr14_vgpr15
	s_andn2_b64 vcc, exec, s[6:7]
	s_cbranch_vccz .LBB80_5
	s_branch .LBB80_6
.LBB80_24:
	v_mov_b32_e32 v27, 0
.LBB80_25:
	v_cmp_eq_u32_e64 s[0:1], 0, v21
	s_and_b64 s[0:1], s[0:1], vcc
	s_and_b64 exec, exec, s[0:1]
	s_cbranch_execz .LBB80_34
; %bb.26:
	s_andn2_b64 vcc, exec, s[20:21]
	s_cbranch_vccnz .LBB80_34
; %bb.27:
	v_cmp_lt_f32_e32 vcc, 0, v27
	s_mov_b32 s2, 0
	v_cndmask_b32_e32 v0, 1.0, v27, vcc
	v_mul_lo_u32 v4, v17, s8
	s_cmp_eq_u32 s8, 1
	s_mov_b64 s[0:1], -1
	s_cbranch_scc1 .LBB80_31
; %bb.28:
	s_and_b32 s2, s8, 0x7ffffffe
	v_mov_b32_e32 v1, v0
	v_mov_b32_e32 v5, s17
	s_mov_b32 s3, s2
	v_mov_b32_e32 v2, v4
.LBB80_29:                              ; =>This Inner Loop Header: Depth=1
	v_ashrrev_i32_e32 v3, 31, v2
	v_lshlrev_b64 v[6:7], 2, v[2:3]
	v_add_co_u32_e32 v6, vcc, s16, v6
	v_addc_co_u32_e32 v7, vcc, v5, v7, vcc
	global_load_dwordx2 v[8:9], v[6:7], off
	s_add_i32 s3, s3, -2
	s_cmp_lg_u32 s3, 0
	v_add_u32_e32 v2, 2, v2
	s_waitcnt vmcnt(0)
	v_div_scale_f32 v3, s[0:1], v1, v1, v9
	v_div_scale_f32 v11, s[0:1], v0, v0, v8
	v_rcp_f32_e32 v12, v3
	v_rcp_f32_e32 v13, v11
	v_div_scale_f32 v10, vcc, v9, v1, v9
	v_fma_f32 v15, -v3, v12, 1.0
	v_fma_f32 v16, -v11, v13, 1.0
	v_fmac_f32_e32 v12, v15, v12
	v_div_scale_f32 v14, s[0:1], v8, v0, v8
	v_fmac_f32_e32 v13, v16, v13
	v_mul_f32_e32 v15, v10, v12
	v_mul_f32_e32 v16, v14, v13
	v_fma_f32 v17, -v3, v15, v10
	v_fma_f32 v18, -v11, v16, v14
	v_fmac_f32_e32 v15, v17, v12
	v_fmac_f32_e32 v16, v18, v13
	v_fma_f32 v3, -v3, v15, v10
	v_fma_f32 v10, -v11, v16, v14
	v_div_fmas_f32 v3, v3, v12, v15
	s_mov_b64 vcc, s[0:1]
	v_div_fixup_f32 v9, v3, v1, v9
	v_div_fmas_f32 v3, v10, v13, v16
	v_div_fixup_f32 v8, v3, v0, v8
	global_store_dwordx2 v[6:7], v[8:9], off
	s_cbranch_scc1 .LBB80_29
; %bb.30:
	s_cmp_lg_u32 s2, s8
	s_cselect_b64 s[0:1], -1, 0
.LBB80_31:
	s_and_b64 vcc, exec, s[0:1]
	s_cbranch_vccz .LBB80_34
; %bb.32:
	v_ashrrev_i32_e32 v1, 31, v4
	v_add_co_u32_e32 v2, vcc, s2, v4
	v_addc_co_u32_e32 v3, vcc, 0, v1, vcc
	v_lshlrev_b64 v[2:3], 2, v[2:3]
	v_mov_b32_e32 v1, s17
	v_add_co_u32_e32 v2, vcc, s16, v2
	s_sub_i32 s0, s8, s2
	v_addc_co_u32_e32 v3, vcc, v1, v3, vcc
.LBB80_33:                              ; =>This Inner Loop Header: Depth=1
	global_load_dword v1, v[2:3], off
	s_add_i32 s0, s0, -1
	s_cmp_lg_u32 s0, 0
	s_waitcnt vmcnt(0)
	v_div_scale_f32 v4, s[2:3], v0, v0, v1
	v_rcp_f32_e32 v5, v4
	v_div_scale_f32 v6, vcc, v1, v0, v1
	v_fma_f32 v7, -v4, v5, 1.0
	v_fmac_f32_e32 v5, v7, v5
	v_mul_f32_e32 v7, v6, v5
	v_fma_f32 v8, -v4, v7, v6
	v_fmac_f32_e32 v7, v8, v5
	v_fma_f32 v4, -v4, v7, v6
	v_div_fmas_f32 v4, v4, v5, v7
	v_div_fixup_f32 v1, v4, v0, v1
	global_store_dword v[2:3], v1, off
	v_add_co_u32_e32 v2, vcc, 4, v2
	v_addc_co_u32_e32 v3, vcc, 0, v3, vcc
	s_cbranch_scc1 .LBB80_33
.LBB80_34:
	s_endpgm
	.section	.rodata,"a",@progbits
	.p2align	6, 0x0
	.amdhsa_kernel _ZN4vllm3moe10topkGatingILi8ELi128ELi4ELi16ELi64Ei6__halfLNS0_11ScoringFuncE0EEEvPKT5_PKbPfiPT4_PiiiibPKf
		.amdhsa_group_segment_fixed_size 0
		.amdhsa_private_segment_fixed_size 0
		.amdhsa_kernarg_size 72
		.amdhsa_user_sgpr_count 6
		.amdhsa_user_sgpr_private_segment_buffer 1
		.amdhsa_user_sgpr_dispatch_ptr 0
		.amdhsa_user_sgpr_queue_ptr 0
		.amdhsa_user_sgpr_kernarg_segment_ptr 1
		.amdhsa_user_sgpr_dispatch_id 0
		.amdhsa_user_sgpr_flat_scratch_init 0
		.amdhsa_user_sgpr_kernarg_preload_length 0
		.amdhsa_user_sgpr_kernarg_preload_offset 0
		.amdhsa_user_sgpr_private_segment_size 0
		.amdhsa_uses_dynamic_stack 0
		.amdhsa_system_sgpr_private_segment_wavefront_offset 0
		.amdhsa_system_sgpr_workgroup_id_x 1
		.amdhsa_system_sgpr_workgroup_id_y 0
		.amdhsa_system_sgpr_workgroup_id_z 0
		.amdhsa_system_sgpr_workgroup_info 0
		.amdhsa_system_vgpr_workitem_id 1
		.amdhsa_next_free_vgpr 36
		.amdhsa_next_free_sgpr 26
		.amdhsa_accum_offset 36
		.amdhsa_reserve_vcc 1
		.amdhsa_reserve_flat_scratch 0
		.amdhsa_float_round_mode_32 0
		.amdhsa_float_round_mode_16_64 0
		.amdhsa_float_denorm_mode_32 3
		.amdhsa_float_denorm_mode_16_64 3
		.amdhsa_dx10_clamp 1
		.amdhsa_ieee_mode 1
		.amdhsa_fp16_overflow 0
		.amdhsa_tg_split 0
		.amdhsa_exception_fp_ieee_invalid_op 0
		.amdhsa_exception_fp_denorm_src 0
		.amdhsa_exception_fp_ieee_div_zero 0
		.amdhsa_exception_fp_ieee_overflow 0
		.amdhsa_exception_fp_ieee_underflow 0
		.amdhsa_exception_fp_ieee_inexact 0
		.amdhsa_exception_int_div_zero 0
	.end_amdhsa_kernel
	.section	.text._ZN4vllm3moe10topkGatingILi8ELi128ELi4ELi16ELi64Ei6__halfLNS0_11ScoringFuncE0EEEvPKT5_PKbPfiPT4_PiiiibPKf,"axG",@progbits,_ZN4vllm3moe10topkGatingILi8ELi128ELi4ELi16ELi64Ei6__halfLNS0_11ScoringFuncE0EEEvPKT5_PKbPfiPT4_PiiiibPKf,comdat
.Lfunc_end80:
	.size	_ZN4vllm3moe10topkGatingILi8ELi128ELi4ELi16ELi64Ei6__halfLNS0_11ScoringFuncE0EEEvPKT5_PKbPfiPT4_PiiiibPKf, .Lfunc_end80-_ZN4vllm3moe10topkGatingILi8ELi128ELi4ELi16ELi64Ei6__halfLNS0_11ScoringFuncE0EEEvPKT5_PKbPfiPT4_PiiiibPKf
                                        ; -- End function
	.section	.AMDGPU.csdata,"",@progbits
; Kernel info:
; codeLenInByte = 3140
; NumSgprs: 30
; NumVgprs: 36
; NumAgprs: 0
; TotalNumVgprs: 36
; ScratchSize: 0
; MemoryBound: 0
; FloatMode: 240
; IeeeMode: 1
; LDSByteSize: 0 bytes/workgroup (compile time only)
; SGPRBlocks: 3
; VGPRBlocks: 4
; NumSGPRsForWavesPerEU: 30
; NumVGPRsForWavesPerEU: 36
; AccumOffset: 36
; Occupancy: 8
; WaveLimiterHint : 0
; COMPUTE_PGM_RSRC2:SCRATCH_EN: 0
; COMPUTE_PGM_RSRC2:USER_SGPR: 6
; COMPUTE_PGM_RSRC2:TRAP_HANDLER: 0
; COMPUTE_PGM_RSRC2:TGID_X_EN: 1
; COMPUTE_PGM_RSRC2:TGID_Y_EN: 0
; COMPUTE_PGM_RSRC2:TGID_Z_EN: 0
; COMPUTE_PGM_RSRC2:TIDIG_COMP_CNT: 1
; COMPUTE_PGM_RSRC3_GFX90A:ACCUM_OFFSET: 8
; COMPUTE_PGM_RSRC3_GFX90A:TG_SPLIT: 0
	.section	.text._ZN4vllm3moe10topkGatingILi8ELi128ELi4ELi16ELi32Ei6__halfLNS0_11ScoringFuncE0EEEvPKT5_PKbPfiPT4_PiiiibPKf,"axG",@progbits,_ZN4vllm3moe10topkGatingILi8ELi128ELi4ELi16ELi32Ei6__halfLNS0_11ScoringFuncE0EEEvPKT5_PKbPfiPT4_PiiiibPKf,comdat
	.protected	_ZN4vllm3moe10topkGatingILi8ELi128ELi4ELi16ELi32Ei6__halfLNS0_11ScoringFuncE0EEEvPKT5_PKbPfiPT4_PiiiibPKf ; -- Begin function _ZN4vllm3moe10topkGatingILi8ELi128ELi4ELi16ELi32Ei6__halfLNS0_11ScoringFuncE0EEEvPKT5_PKbPfiPT4_PiiiibPKf
	.globl	_ZN4vllm3moe10topkGatingILi8ELi128ELi4ELi16ELi32Ei6__halfLNS0_11ScoringFuncE0EEEvPKT5_PKbPfiPT4_PiiiibPKf
	.p2align	8
	.type	_ZN4vllm3moe10topkGatingILi8ELi128ELi4ELi16ELi32Ei6__halfLNS0_11ScoringFuncE0EEEvPKT5_PKbPfiPT4_PiiiibPKf,@function
_ZN4vllm3moe10topkGatingILi8ELi128ELi4ELi16ELi32Ei6__halfLNS0_11ScoringFuncE0EEEvPKT5_PKbPfiPT4_PiiiibPKf: ; @_ZN4vllm3moe10topkGatingILi8ELi128ELi4ELi16ELi32Ei6__halfLNS0_11ScoringFuncE0EEEvPKT5_PKbPfiPT4_PiiiibPKf
; %bb.0:
	s_load_dword s24, s[4:5], 0x18
	v_bfe_u32 v1, v0, 10, 10
	v_and_b32_e32 v0, 0x3ff, v0
	s_lshl_b32 s0, s6, 3
	v_lshlrev_b32_e32 v1, 1, v1
	v_lshrrev_b32_e32 v2, 4, v0
	v_add3_u32 v17, s0, v1, v2
	s_waitcnt lgkmcnt(0)
	v_cmp_gt_i32_e32 vcc, s24, v17
	s_and_saveexec_b64 s[0:1], vcc
	s_cbranch_execz .LBB81_34
; %bb.1:
	s_load_dwordx4 s[0:3], s[4:5], 0x0
	s_load_dwordx2 s[16:17], s[4:5], 0x10
	s_mov_b64 s[6:7], -1
	s_mov_b64 s[18:19], -1
	s_waitcnt lgkmcnt(0)
	s_cmp_eq_u64 s[2:3], 0
	s_cbranch_scc1 .LBB81_3
; %bb.2:
	v_ashrrev_i32_e32 v1, 31, v17
	v_mov_b32_e32 v3, s3
	v_add_co_u32_e32 v2, vcc, s2, v17
	v_addc_co_u32_e32 v3, vcc, v3, v1, vcc
	global_load_ubyte v1, v[2:3], off
	s_waitcnt vmcnt(0)
	v_and_b32_e32 v1, 1, v1
	v_cmp_eq_u32_e32 vcc, 1, v1
	s_xor_b64 s[2:3], vcc, -1
	s_orn2_b64 s[18:19], s[2:3], exec
.LBB81_3:
	v_lshlrev_b32_e32 v2, 7, v17
	v_ashrrev_i32_e32 v3, 31, v2
	v_lshlrev_b64 v[2:3], 1, v[2:3]
	v_mov_b32_e32 v1, s1
	v_add_co_u32_e32 v2, vcc, s0, v2
	v_and_b32_e32 v21, 15, v0
	v_addc_co_u32_e32 v1, vcc, v1, v3, vcc
	v_lshlrev_b32_e32 v0, 4, v21
	v_add_co_u32_e32 v0, vcc, v2, v0
	v_addc_co_u32_e32 v1, vcc, 0, v1, vcc
	global_load_dwordx4 v[0:3], v[0:1], off
	v_mbcnt_lo_u32_b32 v4, -1, 0
	v_mbcnt_hi_u32_b32 v6, -1, v4
	v_and_b32_e32 v4, 0x70, v6
	v_xor_b32_e32 v5, 8, v6
	v_add_u32_e32 v7, 16, v4
	v_cmp_lt_i32_e32 vcc, v5, v7
	v_cndmask_b32_e32 v4, v6, v5, vcc
	v_lshlrev_b32_e32 v22, 2, v4
	v_xor_b32_e32 v12, 4, v6
	v_cmp_lt_i32_e32 vcc, v12, v7
	v_cndmask_b32_e32 v12, v6, v12, vcc
	v_lshlrev_b32_e32 v23, 2, v12
	v_xor_b32_e32 v12, 2, v6
	;; [unrolled: 4-line block ×3, first 2 shown]
	v_cmp_lt_i32_e32 vcc, v12, v7
	v_cndmask_b32_e32 v6, v6, v12, vcc
	v_lshlrev_b32_e32 v25, 2, v6
	s_mov_b32 s2, 0x3fb8aa3b
	s_mov_b32 s0, 0xc2ce8ed0
	s_mov_b32 s1, 0x42b17218
	v_mov_b32_e32 v6, 0x7f800000
	s_waitcnt vmcnt(0)
	v_cvt_f32_f16_e32 v8, v0
	v_cvt_f32_f16_sdwa v9, v0 dst_sel:DWORD dst_unused:UNUSED_PAD src0_sel:WORD_1
	v_cvt_f32_f16_e32 v10, v1
	v_cvt_f32_f16_sdwa v4, v1 dst_sel:DWORD dst_unused:UNUSED_PAD src0_sel:WORD_1
	;; [unrolled: 2-line block ×3, first 2 shown]
	v_cvt_f32_f16_sdwa v11, v3 dst_sel:DWORD dst_unused:UNUSED_PAD src0_sel:WORD_1
	v_cvt_f32_f16_e32 v1, v3
	v_max_f32_e32 v2, v8, v9
	v_max3_f32 v2, v2, v10, v4
	v_max3_f32 v2, v2, v5, v0
	;; [unrolled: 1-line block ×3, first 2 shown]
	ds_bpermute_b32 v3, v22, v2
	s_waitcnt lgkmcnt(0)
	v_max_f32_e32 v3, v3, v3
	v_max_f32_e32 v2, v2, v3
	ds_bpermute_b32 v3, v23, v2
	s_waitcnt lgkmcnt(0)
	v_max_f32_e32 v3, v3, v3
	v_max_f32_e32 v2, v2, v3
	;; [unrolled: 4-line block ×4, first 2 shown]
	v_sub_f32_e32 v3, v8, v2
	v_sub_f32_e32 v7, v9, v2
	v_mul_f32_e32 v9, 0x3fb8aa3b, v3
	v_sub_f32_e32 v8, v10, v2
	v_mul_f32_e32 v10, 0x3fb8aa3b, v7
	v_fma_f32 v16, v3, s2, -v9
	v_rndne_f32_e32 v18, v9
	v_pk_add_f32 v[4:5], v[4:5], v[2:3] op_sel_hi:[1,0] neg_lo:[0,1] neg_hi:[0,1]
	v_mul_f32_e32 v12, 0x3fb8aa3b, v8
	v_fma_f32 v19, v7, s2, -v10
	v_rndne_f32_e32 v20, v10
	v_fmac_f32_e32 v16, 0x32a5705f, v3
	v_sub_f32_e32 v9, v9, v18
	v_mul_f32_e32 v13, 0x3fb8aa3b, v5
	v_fma_f32 v26, v8, s2, -v12
	v_rndne_f32_e32 v27, v12
	v_fmac_f32_e32 v19, 0x32a5705f, v7
	v_sub_f32_e32 v10, v10, v20
	v_add_f32_e32 v9, v9, v16
	v_mul_f32_e32 v14, 0x3fb8aa3b, v4
	v_fma_f32 v28, v5, s2, -v13
	v_rndne_f32_e32 v29, v13
	v_cvt_i32_f32_e32 v18, v18
	v_fmac_f32_e32 v26, 0x32a5705f, v8
	v_sub_f32_e32 v12, v12, v27
	v_add_f32_e32 v10, v10, v19
	v_exp_f32_e32 v9, v9
	v_fma_f32 v30, v4, s2, -v14
	v_rndne_f32_e32 v31, v14
	v_cvt_i32_f32_e32 v20, v20
	v_fmac_f32_e32 v28, 0x32a5705f, v5
	v_sub_f32_e32 v13, v13, v29
	v_add_f32_e32 v12, v12, v26
	v_exp_f32_e32 v10, v10
	v_cvt_i32_f32_e32 v27, v27
	v_fmac_f32_e32 v30, 0x32a5705f, v4
	v_sub_f32_e32 v14, v14, v31
	v_add_f32_e32 v13, v13, v28
	v_exp_f32_e32 v12, v12
	v_cvt_i32_f32_e32 v29, v29
	v_add_f32_e32 v14, v14, v30
	v_exp_f32_e32 v13, v13
	v_cvt_i32_f32_e32 v31, v31
	v_exp_f32_e32 v14, v14
	v_ldexp_f32 v9, v9, v18
	v_cmp_ngt_f32_e32 vcc, s0, v3
	v_ldexp_f32 v10, v10, v20
	v_cndmask_b32_e32 v9, 0, v9, vcc
	v_cmp_ngt_f32_e32 vcc, s0, v7
	v_ldexp_f32 v12, v12, v27
	v_cndmask_b32_e32 v10, 0, v10, vcc
	;; [unrolled: 3-line block ×4, first 2 shown]
	v_cmp_ngt_f32_e32 vcc, s0, v4
	v_pk_add_f32 v[0:1], v[0:1], v[2:3] op_sel_hi:[1,0] neg_lo:[0,1] neg_hi:[0,1]
	v_cndmask_b32_e32 v14, 0, v14, vcc
	v_cmp_nlt_f32_e32 vcc, s1, v3
	v_mul_f32_e32 v15, 0x3fb8aa3b, v1
	v_cndmask_b32_e32 v3, v6, v9, vcc
	v_cmp_nlt_f32_e32 vcc, s1, v7
	v_fma_f32 v32, v1, s2, -v15
	v_cndmask_b32_e32 v7, v6, v10, vcc
	v_cmp_nlt_f32_e32 vcc, s1, v8
	v_rndne_f32_e32 v10, v15
	v_cndmask_b32_e32 v8, v6, v12, vcc
	v_fmac_f32_e32 v32, 0x32a5705f, v1
	v_sub_f32_e32 v12, v15, v10
	v_add_f32_e32 v12, v12, v32
	v_exp_f32_e32 v12, v12
	v_cvt_i32_f32_e32 v10, v10
	v_cmp_nlt_f32_e32 vcc, s1, v5
	v_cndmask_b32_e32 v5, v6, v13, vcc
	v_cmp_nlt_f32_e32 vcc, s1, v4
	v_ldexp_f32 v10, v12, v10
	v_mul_f32_e32 v12, 0x3fb8aa3b, v0
	v_cndmask_b32_e32 v4, v6, v14, vcc
	v_fma_f32 v13, v0, s2, -v12
	v_rndne_f32_e32 v14, v12
	v_fmac_f32_e32 v13, 0x32a5705f, v0
	v_sub_f32_e32 v12, v12, v14
	v_add_f32_e32 v12, v12, v13
	v_exp_f32_e32 v12, v12
	v_cvt_i32_f32_e32 v13, v14
	v_cmp_ngt_f32_e32 vcc, s0, v1
	v_sub_f32_e32 v2, v11, v2
	v_cndmask_b32_e32 v10, 0, v10, vcc
	v_cmp_nlt_f32_e32 vcc, s1, v1
	v_mul_f32_e32 v11, 0x3fb8aa3b, v2
	v_cndmask_b32_e32 v1, v6, v10, vcc
	v_ldexp_f32 v10, v12, v13
	v_fma_f32 v12, v2, s2, -v11
	v_rndne_f32_e32 v13, v11
	v_fmac_f32_e32 v12, 0x32a5705f, v2
	v_sub_f32_e32 v11, v11, v13
	v_add_f32_e32 v11, v11, v12
	v_exp_f32_e32 v11, v11
	v_cvt_i32_f32_e32 v12, v13
	v_add_f32_e32 v9, v3, v7
	v_add_f32_e32 v9, v9, v8
	v_cmp_ngt_f32_e32 vcc, s0, v0
	v_add_f32_e32 v9, v9, v4
	v_cndmask_b32_e32 v10, 0, v10, vcc
	v_cmp_nlt_f32_e32 vcc, s1, v0
	v_add_f32_e32 v9, v9, v5
	v_cndmask_b32_e32 v0, v6, v10, vcc
	v_ldexp_f32 v10, v11, v12
	v_cmp_ngt_f32_e32 vcc, s0, v2
	v_add_f32_e32 v9, v9, v0
	v_cndmask_b32_e32 v10, 0, v10, vcc
	v_cmp_nlt_f32_e32 vcc, s1, v2
	v_add_f32_e32 v9, v9, v1
	v_cndmask_b32_e32 v10, v6, v10, vcc
	v_add_f32_e32 v2, v9, v10
	ds_bpermute_b32 v6, v22, v2
	s_movk_i32 s2, 0x1f8
	v_lshlrev_b32_e32 v26, 3, v21
	s_waitcnt lgkmcnt(0)
	v_add_f32_e32 v2, v2, v6
	ds_bpermute_b32 v6, v23, v2
	s_waitcnt lgkmcnt(0)
	v_add_f32_e32 v2, v2, v6
	ds_bpermute_b32 v6, v24, v2
	;; [unrolled: 3-line block ×3, first 2 shown]
	s_waitcnt lgkmcnt(0)
	v_add_f32_e32 v2, v2, v6
	v_div_scale_f32 v6, s[0:1], v2, v2, 1.0
	v_rcp_f32_e32 v9, v6
	s_load_dwordx2 s[0:1], s[4:5], 0x40
	v_fma_f32 v11, -v6, v9, 1.0
	v_fmac_f32_e32 v9, v11, v9
	v_div_scale_f32 v11, vcc, 1.0, v2, 1.0
	v_mul_f32_e32 v12, v11, v9
	v_fma_f32 v13, -v6, v12, v11
	v_fmac_f32_e32 v12, v13, v9
	v_fma_f32 v6, -v6, v12, v11
	v_div_fmas_f32 v6, v6, v9, v12
	v_div_fixup_f32 v2, v6, v2, 1.0
	v_mul_f32_e32 v3, v2, v3
	v_mul_f32_e32 v11, v2, v7
	v_cmp_class_f32_e64 vcc, v3, s2
	v_mul_f32_e32 v12, v2, v8
	v_pk_mul_f32 v[8:9], v[2:3], v[0:1] op_sel_hi:[0,1]
	v_cndmask_b32_e32 v0, 0, v3, vcc
	v_cmp_class_f32_e64 vcc, v11, s2
	v_pk_mul_f32 v[6:7], v[2:3], v[4:5] op_sel_hi:[0,1]
	v_cndmask_b32_e32 v1, 0, v11, vcc
	v_cmp_class_f32_e64 vcc, v12, s2
	v_mov_b32_e32 v5, 0x207
	v_mul_f32_e32 v10, v2, v10
	v_cndmask_b32_e32 v2, 0, v12, vcc
	v_cmp_class_f32_e32 vcc, v7, v5
	v_cndmask_b32_e64 v4, v7, 0, vcc
	v_cmp_class_f32_e32 vcc, v6, v5
	v_cndmask_b32_e64 v3, v6, 0, vcc
	v_cmp_class_f32_e32 vcc, v9, v5
	v_cndmask_b32_e64 v6, v9, 0, vcc
	v_cmp_class_f32_e32 vcc, v8, v5
	v_cndmask_b32_e64 v5, v8, 0, vcc
	v_cmp_class_f32_e64 vcc, v10, s2
	s_waitcnt lgkmcnt(0)
	s_cmp_eq_u64 s[0:1], 0
	v_cndmask_b32_e32 v7, 0, v10, vcc
	s_cbranch_scc1 .LBB81_23
; %bb.4:
	v_lshlrev_b32_e32 v16, 2, v26
	global_load_dwordx4 v[8:11], v16, s[0:1]
	global_load_dwordx4 v[12:15], v16, s[0:1] offset:16
	s_waitcnt vmcnt(1)
	v_pk_add_f32 v[8:9], v[8:9], v[0:1]
	v_pk_add_f32 v[10:11], v[10:11], v[2:3]
	s_waitcnt vmcnt(0)
	v_pk_add_f32 v[12:13], v[12:13], v[4:5]
	v_pk_add_f32 v[14:15], v[14:15], v[6:7]
	s_cbranch_execnz .LBB81_6
.LBB81_5:
	v_pk_mov_b32 v[14:15], v[6:7], v[6:7] op_sel:[0,1]
	v_pk_mov_b32 v[12:13], v[4:5], v[4:5] op_sel:[0,1]
	;; [unrolled: 1-line block ×4, first 2 shown]
.LBB81_6:
	s_load_dwordx4 s[8:11], s[4:5], 0x30
	s_mov_b32 s25, 0
	v_cmp_eq_u32_e64 s[0:1], 0, v21
	s_waitcnt lgkmcnt(0)
	s_bitcmp1_b32 s11, 0
	s_cselect_b64 vcc, -1, 0
	s_cmp_gt_i32 s8, 0
	s_cselect_b64 s[20:21], -1, 0
	s_cmp_lt_i32 s8, 1
	s_cbranch_scc1 .LBB81_24
; %bb.7:
	s_load_dwordx4 s[12:15], s[4:5], 0x20
	v_mul_lo_u32 v28, v17, s8
	v_mov_b32_e32 v27, 0
	v_mov_b32_e32 v29, 0x80
	v_mov_b32_e32 v30, 0xc61c4000
	v_mov_b32_e32 v31, v17
	s_branch .LBB81_10
.LBB81_8:                               ;   in Loop: Header=BB81_10 Depth=1
	s_or_b64 exec, exec, s[4:5]
.LBB81_9:                               ;   in Loop: Header=BB81_10 Depth=1
	s_cmp_eq_u32 s8, s25
	v_add_u32_e32 v31, s24, v31
	s_cbranch_scc1 .LBB81_25
.LBB81_10:                              ; =>This Inner Loop Header: Depth=1
	v_cmp_gt_f32_e64 s[2:3], v9, v8
	v_cndmask_b32_e64 v16, v8, v9, s[2:3]
	v_cndmask_b32_e64 v18, v0, v1, s[2:3]
	s_waitcnt lgkmcnt(0)
	v_cndmask_b32_e64 v19, 0, 1, s[2:3]
	v_cmp_gt_f32_e64 s[2:3], v10, v16
	v_cndmask_b32_e64 v16, v16, v10, s[2:3]
	v_cndmask_b32_e64 v18, v18, v2, s[2:3]
	v_cndmask_b32_e64 v19, v19, 2, s[2:3]
	v_cmp_gt_f32_e64 s[2:3], v11, v16
	v_cndmask_b32_e64 v16, v16, v11, s[2:3]
	v_cndmask_b32_e64 v18, v18, v3, s[2:3]
	;; [unrolled: 4-line block ×6, first 2 shown]
	v_or_b32_e32 v19, v26, v19
	ds_bpermute_b32 v20, v22, v16
	ds_bpermute_b32 v32, v22, v19
	v_cndmask_b32_e64 v18, v18, v7, s[2:3]
	ds_bpermute_b32 v34, v22, v18
	s_waitcnt lgkmcnt(0)
	v_cmp_eq_f32_e64 s[4:5], v16, v20
	v_cmp_lt_i32_e64 s[6:7], v32, v19
	v_cmp_lt_f32_e64 s[2:3], v16, v20
	s_and_b64 s[4:5], s[4:5], s[6:7]
	s_or_b64 s[2:3], s[2:3], s[4:5]
	v_cndmask_b32_e64 v33, v19, v32, s[2:3]
	v_cndmask_b32_e64 v32, v16, v20, s[2:3]
	;; [unrolled: 1-line block ×3, first 2 shown]
	ds_bpermute_b32 v35, v23, v32
	ds_bpermute_b32 v20, v23, v16
	ds_bpermute_b32 v34, v23, v33
                                        ; implicit-def: $vgpr18_vgpr19
	s_waitcnt lgkmcnt(2)
	v_cmp_lt_f32_e64 s[6:7], v32, v35
	v_cmp_nlt_f32_e64 s[2:3], v32, v35
	s_and_saveexec_b64 s[22:23], s[2:3]
	s_cbranch_execz .LBB81_12
; %bb.11:                               ;   in Loop: Header=BB81_10 Depth=1
	v_cmp_eq_f32_e64 s[2:3], v32, v35
	s_waitcnt lgkmcnt(0)
	v_cmp_lt_i32_e64 s[4:5], v34, v33
	s_and_b64 s[2:3], s[2:3], s[4:5]
	s_andn2_b64 s[4:5], s[6:7], exec
	s_and_b64 s[2:3], s[2:3], exec
	s_or_b64 s[6:7], s[4:5], s[2:3]
	v_pk_mov_b32 v[18:19], v[16:17], v[16:17] op_sel:[0,1]
.LBB81_12:                              ;   in Loop: Header=BB81_10 Depth=1
	s_or_b64 exec, exec, s[22:23]
	s_and_saveexec_b64 s[2:3], s[6:7]
	s_cbranch_execz .LBB81_14
; %bb.13:                               ;   in Loop: Header=BB81_10 Depth=1
	v_mov_b32_e32 v32, v35
	s_waitcnt lgkmcnt(1)
	v_mov_b32_e32 v16, v20
	s_waitcnt lgkmcnt(0)
	v_mov_b32_e32 v33, v34
	v_pk_mov_b32 v[18:19], v[20:21], v[20:21] op_sel:[0,1]
.LBB81_14:                              ;   in Loop: Header=BB81_10 Depth=1
	s_or_b64 exec, exec, s[2:3]
	s_waitcnt lgkmcnt(0)
	ds_bpermute_b32 v34, v24, v32
	ds_bpermute_b32 v20, v24, v16
	ds_bpermute_b32 v19, v24, v33
	s_waitcnt lgkmcnt(2)
	v_cmp_lt_f32_e64 s[6:7], v32, v34
	v_cmp_nlt_f32_e64 s[2:3], v32, v34
	s_and_saveexec_b64 s[22:23], s[2:3]
	s_cbranch_execz .LBB81_16
; %bb.15:                               ;   in Loop: Header=BB81_10 Depth=1
	v_cmp_eq_f32_e64 s[2:3], v32, v34
	s_waitcnt lgkmcnt(0)
	v_cmp_lt_i32_e64 s[4:5], v19, v33
	s_and_b64 s[2:3], s[2:3], s[4:5]
	s_andn2_b64 s[4:5], s[6:7], exec
	s_and_b64 s[2:3], s[2:3], exec
	s_or_b64 s[6:7], s[4:5], s[2:3]
.LBB81_16:                              ;   in Loop: Header=BB81_10 Depth=1
	s_or_b64 exec, exec, s[22:23]
	s_and_saveexec_b64 s[2:3], s[6:7]
	s_cbranch_execz .LBB81_18
; %bb.17:                               ;   in Loop: Header=BB81_10 Depth=1
	v_mov_b32_e32 v32, v34
	s_waitcnt lgkmcnt(1)
	v_mov_b32_e32 v16, v20
	s_waitcnt lgkmcnt(0)
	v_mov_b32_e32 v33, v19
	v_pk_mov_b32 v[18:19], v[20:21], v[20:21] op_sel:[0,1]
.LBB81_18:                              ;   in Loop: Header=BB81_10 Depth=1
	s_or_b64 exec, exec, s[2:3]
	s_waitcnt lgkmcnt(1)
	ds_bpermute_b32 v20, v25, v32
	ds_bpermute_b32 v34, v25, v33
	s_waitcnt lgkmcnt(2)
	ds_bpermute_b32 v19, v25, v16
	s_waitcnt lgkmcnt(2)
	v_cmp_eq_f32_e64 s[4:5], v32, v20
	s_waitcnt lgkmcnt(1)
	v_cmp_lt_i32_e64 s[6:7], v34, v33
	v_cmp_lt_f32_e64 s[2:3], v32, v20
	s_and_b64 s[4:5], s[4:5], s[6:7]
	s_or_b64 s[2:3], s[2:3], s[4:5]
	v_cndmask_b32_e64 v16, v33, v34, s[2:3]
	s_and_saveexec_b64 s[6:7], s[0:1]
	s_cbranch_execnz .LBB81_20
; %bb.19:                               ;   in Loop: Header=BB81_10 Depth=1
	s_or_b64 exec, exec, s[6:7]
	s_add_i32 s25, s25, 1
	s_cmp_ge_i32 s25, s8
	s_cbranch_scc1 .LBB81_9
	s_branch .LBB81_21
.LBB81_20:                              ;   in Loop: Header=BB81_10 Depth=1
	s_waitcnt lgkmcnt(0)
	v_cndmask_b32_e64 v20, v18, v19, s[2:3]
	v_add_u32_e32 v18, s25, v28
	v_ashrrev_i32_e32 v19, 31, v18
	v_cmp_le_i32_e64 s[2:3], s9, v16
	v_cmp_gt_i32_e64 s[4:5], s10, v16
	v_lshlrev_b64 v[18:19], 2, v[18:19]
	s_and_b64 s[4:5], s[2:3], s[4:5]
	v_mov_b32_e32 v33, s17
	v_add_co_u32_e64 v32, s[2:3], s16, v18
	v_addc_co_u32_e64 v33, s[2:3], v33, v19, s[2:3]
	global_store_dword v[32:33], v20, off
	v_subrev_u32_e32 v32, s9, v16
	s_and_b64 s[2:3], s[18:19], s[4:5]
	v_cndmask_b32_e64 v34, v29, v32, s[2:3]
	v_mov_b32_e32 v33, s13
	v_add_co_u32_e64 v32, s[2:3], s12, v18
	v_addc_co_u32_e64 v33, s[2:3], v33, v19, s[2:3]
	global_store_dword v[32:33], v34, off
	v_mov_b32_e32 v32, s15
	v_add_co_u32_e64 v18, s[2:3], s14, v18
	v_addc_co_u32_e64 v19, s[2:3], v32, v19, s[2:3]
	global_store_dword v[18:19], v31, off
	v_add_f32_e32 v18, v27, v20
	v_cndmask_b32_e32 v27, v27, v18, vcc
	s_or_b64 exec, exec, s[6:7]
	s_add_i32 s25, s25, 1
	s_cmp_ge_i32 s25, s8
	s_cbranch_scc1 .LBB81_9
.LBB81_21:                              ;   in Loop: Header=BB81_10 Depth=1
	s_waitcnt lgkmcnt(0)
	v_ashrrev_i32_e32 v19, 31, v16
	v_lshrrev_b32_e32 v18, 29, v19
	v_add_u32_e32 v18, v16, v18
	v_ashrrev_i32_e32 v18, 3, v18
	v_lshrrev_b32_e32 v20, 28, v18
	v_add_u32_e32 v20, v18, v20
	v_and_b32_e32 v20, -16, v20
	v_sub_u32_e32 v20, v18, v20
	v_cmp_eq_u32_e64 s[2:3], v21, v20
	s_and_saveexec_b64 s[4:5], s[2:3]
	s_cbranch_execz .LBB81_8
; %bb.22:                               ;   in Loop: Header=BB81_10 Depth=1
	v_lshrrev_b32_e32 v19, 25, v19
	v_add_u32_e32 v19, v16, v19
	v_lshlrev_b32_e32 v18, 3, v18
	v_ashrrev_i32_e32 v19, 7, v19
	v_sub_u32_e32 v16, v16, v18
	v_lshl_add_u32 v16, v19, 3, v16
	v_cmp_ne_u32_e64 s[2:3], 7, v16
	v_cndmask_b32_e64 v15, v30, v15, s[2:3]
	v_cmp_ne_u32_e64 s[2:3], 6, v16
	v_cndmask_b32_e64 v14, v30, v14, s[2:3]
	;; [unrolled: 2-line block ×8, first 2 shown]
	s_branch .LBB81_8
.LBB81_23:
                                        ; implicit-def: $vgpr8_vgpr9_vgpr10_vgpr11_vgpr12_vgpr13_vgpr14_vgpr15
	s_andn2_b64 vcc, exec, s[6:7]
	s_cbranch_vccz .LBB81_5
	s_branch .LBB81_6
.LBB81_24:
	v_mov_b32_e32 v27, 0
.LBB81_25:
	v_cmp_eq_u32_e64 s[0:1], 0, v21
	s_and_b64 s[0:1], s[0:1], vcc
	s_and_b64 exec, exec, s[0:1]
	s_cbranch_execz .LBB81_34
; %bb.26:
	s_andn2_b64 vcc, exec, s[20:21]
	s_cbranch_vccnz .LBB81_34
; %bb.27:
	v_cmp_lt_f32_e32 vcc, 0, v27
	s_mov_b32 s2, 0
	v_cndmask_b32_e32 v0, 1.0, v27, vcc
	v_mul_lo_u32 v4, v17, s8
	s_cmp_eq_u32 s8, 1
	s_mov_b64 s[0:1], -1
	s_cbranch_scc1 .LBB81_31
; %bb.28:
	s_and_b32 s2, s8, 0x7ffffffe
	v_mov_b32_e32 v1, v0
	v_mov_b32_e32 v5, s17
	s_mov_b32 s3, s2
	v_mov_b32_e32 v2, v4
.LBB81_29:                              ; =>This Inner Loop Header: Depth=1
	v_ashrrev_i32_e32 v3, 31, v2
	v_lshlrev_b64 v[6:7], 2, v[2:3]
	v_add_co_u32_e32 v6, vcc, s16, v6
	v_addc_co_u32_e32 v7, vcc, v5, v7, vcc
	global_load_dwordx2 v[8:9], v[6:7], off
	s_add_i32 s3, s3, -2
	s_cmp_lg_u32 s3, 0
	v_add_u32_e32 v2, 2, v2
	s_waitcnt vmcnt(0)
	v_div_scale_f32 v3, s[0:1], v1, v1, v9
	v_div_scale_f32 v11, s[0:1], v0, v0, v8
	v_rcp_f32_e32 v12, v3
	v_rcp_f32_e32 v13, v11
	v_div_scale_f32 v10, vcc, v9, v1, v9
	v_fma_f32 v15, -v3, v12, 1.0
	v_fma_f32 v16, -v11, v13, 1.0
	v_fmac_f32_e32 v12, v15, v12
	v_div_scale_f32 v14, s[0:1], v8, v0, v8
	v_fmac_f32_e32 v13, v16, v13
	v_mul_f32_e32 v15, v10, v12
	v_mul_f32_e32 v16, v14, v13
	v_fma_f32 v17, -v3, v15, v10
	v_fma_f32 v18, -v11, v16, v14
	v_fmac_f32_e32 v15, v17, v12
	v_fmac_f32_e32 v16, v18, v13
	v_fma_f32 v3, -v3, v15, v10
	v_fma_f32 v10, -v11, v16, v14
	v_div_fmas_f32 v3, v3, v12, v15
	s_mov_b64 vcc, s[0:1]
	v_div_fixup_f32 v9, v3, v1, v9
	v_div_fmas_f32 v3, v10, v13, v16
	v_div_fixup_f32 v8, v3, v0, v8
	global_store_dwordx2 v[6:7], v[8:9], off
	s_cbranch_scc1 .LBB81_29
; %bb.30:
	s_cmp_lg_u32 s2, s8
	s_cselect_b64 s[0:1], -1, 0
.LBB81_31:
	s_and_b64 vcc, exec, s[0:1]
	s_cbranch_vccz .LBB81_34
; %bb.32:
	v_ashrrev_i32_e32 v1, 31, v4
	v_add_co_u32_e32 v2, vcc, s2, v4
	v_addc_co_u32_e32 v3, vcc, 0, v1, vcc
	v_lshlrev_b64 v[2:3], 2, v[2:3]
	v_mov_b32_e32 v1, s17
	v_add_co_u32_e32 v2, vcc, s16, v2
	s_sub_i32 s0, s8, s2
	v_addc_co_u32_e32 v3, vcc, v1, v3, vcc
.LBB81_33:                              ; =>This Inner Loop Header: Depth=1
	global_load_dword v1, v[2:3], off
	s_add_i32 s0, s0, -1
	s_cmp_lg_u32 s0, 0
	s_waitcnt vmcnt(0)
	v_div_scale_f32 v4, s[2:3], v0, v0, v1
	v_rcp_f32_e32 v5, v4
	v_div_scale_f32 v6, vcc, v1, v0, v1
	v_fma_f32 v7, -v4, v5, 1.0
	v_fmac_f32_e32 v5, v7, v5
	v_mul_f32_e32 v7, v6, v5
	v_fma_f32 v8, -v4, v7, v6
	v_fmac_f32_e32 v7, v8, v5
	v_fma_f32 v4, -v4, v7, v6
	v_div_fmas_f32 v4, v4, v5, v7
	v_div_fixup_f32 v1, v4, v0, v1
	global_store_dword v[2:3], v1, off
	v_add_co_u32_e32 v2, vcc, 4, v2
	v_addc_co_u32_e32 v3, vcc, 0, v3, vcc
	s_cbranch_scc1 .LBB81_33
.LBB81_34:
	s_endpgm
	.section	.rodata,"a",@progbits
	.p2align	6, 0x0
	.amdhsa_kernel _ZN4vllm3moe10topkGatingILi8ELi128ELi4ELi16ELi32Ei6__halfLNS0_11ScoringFuncE0EEEvPKT5_PKbPfiPT4_PiiiibPKf
		.amdhsa_group_segment_fixed_size 0
		.amdhsa_private_segment_fixed_size 0
		.amdhsa_kernarg_size 72
		.amdhsa_user_sgpr_count 6
		.amdhsa_user_sgpr_private_segment_buffer 1
		.amdhsa_user_sgpr_dispatch_ptr 0
		.amdhsa_user_sgpr_queue_ptr 0
		.amdhsa_user_sgpr_kernarg_segment_ptr 1
		.amdhsa_user_sgpr_dispatch_id 0
		.amdhsa_user_sgpr_flat_scratch_init 0
		.amdhsa_user_sgpr_kernarg_preload_length 0
		.amdhsa_user_sgpr_kernarg_preload_offset 0
		.amdhsa_user_sgpr_private_segment_size 0
		.amdhsa_uses_dynamic_stack 0
		.amdhsa_system_sgpr_private_segment_wavefront_offset 0
		.amdhsa_system_sgpr_workgroup_id_x 1
		.amdhsa_system_sgpr_workgroup_id_y 0
		.amdhsa_system_sgpr_workgroup_id_z 0
		.amdhsa_system_sgpr_workgroup_info 0
		.amdhsa_system_vgpr_workitem_id 1
		.amdhsa_next_free_vgpr 36
		.amdhsa_next_free_sgpr 26
		.amdhsa_accum_offset 36
		.amdhsa_reserve_vcc 1
		.amdhsa_reserve_flat_scratch 0
		.amdhsa_float_round_mode_32 0
		.amdhsa_float_round_mode_16_64 0
		.amdhsa_float_denorm_mode_32 3
		.amdhsa_float_denorm_mode_16_64 3
		.amdhsa_dx10_clamp 1
		.amdhsa_ieee_mode 1
		.amdhsa_fp16_overflow 0
		.amdhsa_tg_split 0
		.amdhsa_exception_fp_ieee_invalid_op 0
		.amdhsa_exception_fp_denorm_src 0
		.amdhsa_exception_fp_ieee_div_zero 0
		.amdhsa_exception_fp_ieee_overflow 0
		.amdhsa_exception_fp_ieee_underflow 0
		.amdhsa_exception_fp_ieee_inexact 0
		.amdhsa_exception_int_div_zero 0
	.end_amdhsa_kernel
	.section	.text._ZN4vllm3moe10topkGatingILi8ELi128ELi4ELi16ELi32Ei6__halfLNS0_11ScoringFuncE0EEEvPKT5_PKbPfiPT4_PiiiibPKf,"axG",@progbits,_ZN4vllm3moe10topkGatingILi8ELi128ELi4ELi16ELi32Ei6__halfLNS0_11ScoringFuncE0EEEvPKT5_PKbPfiPT4_PiiiibPKf,comdat
.Lfunc_end81:
	.size	_ZN4vllm3moe10topkGatingILi8ELi128ELi4ELi16ELi32Ei6__halfLNS0_11ScoringFuncE0EEEvPKT5_PKbPfiPT4_PiiiibPKf, .Lfunc_end81-_ZN4vllm3moe10topkGatingILi8ELi128ELi4ELi16ELi32Ei6__halfLNS0_11ScoringFuncE0EEEvPKT5_PKbPfiPT4_PiiiibPKf
                                        ; -- End function
	.section	.AMDGPU.csdata,"",@progbits
; Kernel info:
; codeLenInByte = 3140
; NumSgprs: 30
; NumVgprs: 36
; NumAgprs: 0
; TotalNumVgprs: 36
; ScratchSize: 0
; MemoryBound: 0
; FloatMode: 240
; IeeeMode: 1
; LDSByteSize: 0 bytes/workgroup (compile time only)
; SGPRBlocks: 3
; VGPRBlocks: 4
; NumSGPRsForWavesPerEU: 30
; NumVGPRsForWavesPerEU: 36
; AccumOffset: 36
; Occupancy: 8
; WaveLimiterHint : 0
; COMPUTE_PGM_RSRC2:SCRATCH_EN: 0
; COMPUTE_PGM_RSRC2:USER_SGPR: 6
; COMPUTE_PGM_RSRC2:TRAP_HANDLER: 0
; COMPUTE_PGM_RSRC2:TGID_X_EN: 1
; COMPUTE_PGM_RSRC2:TGID_Y_EN: 0
; COMPUTE_PGM_RSRC2:TGID_Z_EN: 0
; COMPUTE_PGM_RSRC2:TIDIG_COMP_CNT: 1
; COMPUTE_PGM_RSRC3_GFX90A:ACCUM_OFFSET: 8
; COMPUTE_PGM_RSRC3_GFX90A:TG_SPLIT: 0
	.section	.text._ZN4vllm3moe10topkGatingILi8ELi256ELi4ELi16ELi64Ei6__halfLNS0_11ScoringFuncE0EEEvPKT5_PKbPfiPT4_PiiiibPKf,"axG",@progbits,_ZN4vllm3moe10topkGatingILi8ELi256ELi4ELi16ELi64Ei6__halfLNS0_11ScoringFuncE0EEEvPKT5_PKbPfiPT4_PiiiibPKf,comdat
	.protected	_ZN4vllm3moe10topkGatingILi8ELi256ELi4ELi16ELi64Ei6__halfLNS0_11ScoringFuncE0EEEvPKT5_PKbPfiPT4_PiiiibPKf ; -- Begin function _ZN4vllm3moe10topkGatingILi8ELi256ELi4ELi16ELi64Ei6__halfLNS0_11ScoringFuncE0EEEvPKT5_PKbPfiPT4_PiiiibPKf
	.globl	_ZN4vllm3moe10topkGatingILi8ELi256ELi4ELi16ELi64Ei6__halfLNS0_11ScoringFuncE0EEEvPKT5_PKbPfiPT4_PiiiibPKf
	.p2align	8
	.type	_ZN4vllm3moe10topkGatingILi8ELi256ELi4ELi16ELi64Ei6__halfLNS0_11ScoringFuncE0EEEvPKT5_PKbPfiPT4_PiiiibPKf,@function
_ZN4vllm3moe10topkGatingILi8ELi256ELi4ELi16ELi64Ei6__halfLNS0_11ScoringFuncE0EEEvPKT5_PKbPfiPT4_PiiiibPKf: ; @_ZN4vllm3moe10topkGatingILi8ELi256ELi4ELi16ELi64Ei6__halfLNS0_11ScoringFuncE0EEEvPKT5_PKbPfiPT4_PiiiibPKf
; %bb.0:
	s_load_dword s24, s[4:5], 0x18
	v_bfe_u32 v1, v0, 10, 10
	v_and_b32_e32 v0, 0x3ff, v0
	s_lshl_b32 s0, s6, 3
	v_lshlrev_b32_e32 v1, 1, v1
	v_lshrrev_b32_e32 v2, 5, v0
	v_add3_u32 v17, s0, v1, v2
	s_waitcnt lgkmcnt(0)
	v_cmp_gt_i32_e32 vcc, s24, v17
	s_and_saveexec_b64 s[0:1], vcc
	s_cbranch_execz .LBB82_38
; %bb.1:
	s_load_dwordx4 s[0:3], s[4:5], 0x0
	s_load_dwordx2 s[16:17], s[4:5], 0x10
	s_mov_b64 s[6:7], -1
	s_mov_b64 s[18:19], -1
	s_waitcnt lgkmcnt(0)
	s_cmp_eq_u64 s[2:3], 0
	s_cbranch_scc1 .LBB82_3
; %bb.2:
	v_ashrrev_i32_e32 v1, 31, v17
	v_mov_b32_e32 v3, s3
	v_add_co_u32_e32 v2, vcc, s2, v17
	v_addc_co_u32_e32 v3, vcc, v3, v1, vcc
	global_load_ubyte v1, v[2:3], off
	s_waitcnt vmcnt(0)
	v_and_b32_e32 v1, 1, v1
	v_cmp_eq_u32_e32 vcc, 1, v1
	s_xor_b64 s[2:3], vcc, -1
	s_orn2_b64 s[18:19], s[2:3], exec
.LBB82_3:
	v_lshlrev_b32_e32 v2, 8, v17
	v_ashrrev_i32_e32 v3, 31, v2
	v_lshlrev_b64 v[2:3], 1, v[2:3]
	v_mov_b32_e32 v1, s1
	v_add_co_u32_e32 v2, vcc, s0, v2
	v_and_b32_e32 v21, 31, v0
	v_addc_co_u32_e32 v1, vcc, v1, v3, vcc
	v_lshlrev_b32_e32 v0, 4, v21
	v_add_co_u32_e32 v0, vcc, v2, v0
	v_addc_co_u32_e32 v1, vcc, 0, v1, vcc
	global_load_dwordx4 v[0:3], v[0:1], off
	v_mbcnt_lo_u32_b32 v4, -1, 0
	v_mbcnt_hi_u32_b32 v6, -1, v4
	v_and_b32_e32 v4, 0x60, v6
	v_xor_b32_e32 v5, 16, v6
	v_add_u32_e32 v7, 32, v4
	v_cmp_lt_i32_e32 vcc, v5, v7
	v_cndmask_b32_e32 v4, v6, v5, vcc
	v_lshlrev_b32_e32 v22, 2, v4
	v_xor_b32_e32 v12, 8, v6
	v_cmp_lt_i32_e32 vcc, v12, v7
	v_cndmask_b32_e32 v12, v6, v12, vcc
	v_lshlrev_b32_e32 v23, 2, v12
	v_xor_b32_e32 v12, 4, v6
	;; [unrolled: 4-line block ×4, first 2 shown]
	v_cmp_lt_i32_e32 vcc, v12, v7
	v_cndmask_b32_e32 v6, v6, v12, vcc
	v_lshlrev_b32_e32 v26, 2, v6
	s_mov_b32 s2, 0x3fb8aa3b
	s_mov_b32 s0, 0xc2ce8ed0
	;; [unrolled: 1-line block ×3, first 2 shown]
	v_mov_b32_e32 v6, 0x7f800000
	s_waitcnt vmcnt(0)
	v_cvt_f32_f16_e32 v8, v0
	v_cvt_f32_f16_sdwa v9, v0 dst_sel:DWORD dst_unused:UNUSED_PAD src0_sel:WORD_1
	v_cvt_f32_f16_e32 v10, v1
	v_cvt_f32_f16_sdwa v4, v1 dst_sel:DWORD dst_unused:UNUSED_PAD src0_sel:WORD_1
	;; [unrolled: 2-line block ×3, first 2 shown]
	v_cvt_f32_f16_sdwa v11, v3 dst_sel:DWORD dst_unused:UNUSED_PAD src0_sel:WORD_1
	v_cvt_f32_f16_e32 v1, v3
	v_max_f32_e32 v2, v8, v9
	v_max3_f32 v2, v2, v10, v4
	v_max3_f32 v2, v2, v5, v0
	;; [unrolled: 1-line block ×3, first 2 shown]
	ds_bpermute_b32 v3, v22, v2
	s_waitcnt lgkmcnt(0)
	v_max_f32_e32 v3, v3, v3
	v_max_f32_e32 v2, v2, v3
	ds_bpermute_b32 v3, v23, v2
	s_waitcnt lgkmcnt(0)
	v_max_f32_e32 v3, v3, v3
	v_max_f32_e32 v2, v2, v3
	;; [unrolled: 4-line block ×5, first 2 shown]
	v_sub_f32_e32 v3, v8, v2
	v_sub_f32_e32 v7, v9, v2
	v_mul_f32_e32 v9, 0x3fb8aa3b, v3
	v_sub_f32_e32 v8, v10, v2
	v_mul_f32_e32 v10, 0x3fb8aa3b, v7
	v_fma_f32 v16, v3, s2, -v9
	v_rndne_f32_e32 v18, v9
	v_pk_add_f32 v[4:5], v[4:5], v[2:3] op_sel_hi:[1,0] neg_lo:[0,1] neg_hi:[0,1]
	v_mul_f32_e32 v12, 0x3fb8aa3b, v8
	v_fma_f32 v19, v7, s2, -v10
	v_rndne_f32_e32 v20, v10
	v_fmac_f32_e32 v16, 0x32a5705f, v3
	v_sub_f32_e32 v9, v9, v18
	v_mul_f32_e32 v13, 0x3fb8aa3b, v5
	v_fma_f32 v27, v8, s2, -v12
	v_rndne_f32_e32 v28, v12
	v_fmac_f32_e32 v19, 0x32a5705f, v7
	v_sub_f32_e32 v10, v10, v20
	v_add_f32_e32 v9, v9, v16
	v_mul_f32_e32 v14, 0x3fb8aa3b, v4
	v_fma_f32 v29, v5, s2, -v13
	v_rndne_f32_e32 v30, v13
	v_cvt_i32_f32_e32 v18, v18
	v_fmac_f32_e32 v27, 0x32a5705f, v8
	v_sub_f32_e32 v12, v12, v28
	v_add_f32_e32 v10, v10, v19
	v_exp_f32_e32 v9, v9
	v_fma_f32 v31, v4, s2, -v14
	v_rndne_f32_e32 v32, v14
	v_cvt_i32_f32_e32 v20, v20
	v_fmac_f32_e32 v29, 0x32a5705f, v5
	v_sub_f32_e32 v13, v13, v30
	v_add_f32_e32 v12, v12, v27
	v_exp_f32_e32 v10, v10
	v_cvt_i32_f32_e32 v28, v28
	v_fmac_f32_e32 v31, 0x32a5705f, v4
	v_sub_f32_e32 v14, v14, v32
	v_add_f32_e32 v13, v13, v29
	v_exp_f32_e32 v12, v12
	v_cvt_i32_f32_e32 v30, v30
	v_add_f32_e32 v14, v14, v31
	v_exp_f32_e32 v13, v13
	v_cvt_i32_f32_e32 v32, v32
	v_exp_f32_e32 v14, v14
	v_ldexp_f32 v9, v9, v18
	v_cmp_ngt_f32_e32 vcc, s0, v3
	v_ldexp_f32 v10, v10, v20
	v_cndmask_b32_e32 v9, 0, v9, vcc
	v_cmp_ngt_f32_e32 vcc, s0, v7
	v_ldexp_f32 v12, v12, v28
	v_cndmask_b32_e32 v10, 0, v10, vcc
	;; [unrolled: 3-line block ×4, first 2 shown]
	v_cmp_ngt_f32_e32 vcc, s0, v4
	v_pk_add_f32 v[0:1], v[0:1], v[2:3] op_sel_hi:[1,0] neg_lo:[0,1] neg_hi:[0,1]
	v_cndmask_b32_e32 v14, 0, v14, vcc
	v_cmp_nlt_f32_e32 vcc, s1, v3
	v_mul_f32_e32 v15, 0x3fb8aa3b, v1
	v_cndmask_b32_e32 v3, v6, v9, vcc
	v_cmp_nlt_f32_e32 vcc, s1, v7
	v_fma_f32 v33, v1, s2, -v15
	v_cndmask_b32_e32 v7, v6, v10, vcc
	v_cmp_nlt_f32_e32 vcc, s1, v8
	v_rndne_f32_e32 v10, v15
	v_cndmask_b32_e32 v8, v6, v12, vcc
	v_fmac_f32_e32 v33, 0x32a5705f, v1
	v_sub_f32_e32 v12, v15, v10
	v_add_f32_e32 v12, v12, v33
	v_exp_f32_e32 v12, v12
	v_cvt_i32_f32_e32 v10, v10
	v_cmp_nlt_f32_e32 vcc, s1, v5
	v_cndmask_b32_e32 v5, v6, v13, vcc
	v_cmp_nlt_f32_e32 vcc, s1, v4
	v_ldexp_f32 v10, v12, v10
	v_mul_f32_e32 v12, 0x3fb8aa3b, v0
	v_cndmask_b32_e32 v4, v6, v14, vcc
	v_fma_f32 v13, v0, s2, -v12
	v_rndne_f32_e32 v14, v12
	v_fmac_f32_e32 v13, 0x32a5705f, v0
	v_sub_f32_e32 v12, v12, v14
	v_add_f32_e32 v12, v12, v13
	v_exp_f32_e32 v12, v12
	v_cvt_i32_f32_e32 v13, v14
	v_cmp_ngt_f32_e32 vcc, s0, v1
	v_sub_f32_e32 v2, v11, v2
	v_cndmask_b32_e32 v10, 0, v10, vcc
	v_cmp_nlt_f32_e32 vcc, s1, v1
	v_mul_f32_e32 v11, 0x3fb8aa3b, v2
	v_cndmask_b32_e32 v1, v6, v10, vcc
	v_ldexp_f32 v10, v12, v13
	v_fma_f32 v12, v2, s2, -v11
	v_rndne_f32_e32 v13, v11
	v_fmac_f32_e32 v12, 0x32a5705f, v2
	v_sub_f32_e32 v11, v11, v13
	v_add_f32_e32 v11, v11, v12
	v_exp_f32_e32 v11, v11
	v_cvt_i32_f32_e32 v12, v13
	v_add_f32_e32 v9, v3, v7
	v_add_f32_e32 v9, v9, v8
	v_cmp_ngt_f32_e32 vcc, s0, v0
	v_add_f32_e32 v9, v9, v4
	v_cndmask_b32_e32 v10, 0, v10, vcc
	v_cmp_nlt_f32_e32 vcc, s1, v0
	v_add_f32_e32 v9, v9, v5
	v_cndmask_b32_e32 v0, v6, v10, vcc
	v_ldexp_f32 v10, v11, v12
	v_cmp_ngt_f32_e32 vcc, s0, v2
	v_add_f32_e32 v9, v9, v0
	v_cndmask_b32_e32 v10, 0, v10, vcc
	v_cmp_nlt_f32_e32 vcc, s1, v2
	v_add_f32_e32 v9, v9, v1
	v_cndmask_b32_e32 v10, v6, v10, vcc
	v_add_f32_e32 v2, v9, v10
	ds_bpermute_b32 v6, v22, v2
	s_movk_i32 s2, 0x1f8
	v_lshlrev_b32_e32 v27, 3, v21
	s_waitcnt lgkmcnt(0)
	v_add_f32_e32 v2, v2, v6
	ds_bpermute_b32 v6, v23, v2
	s_waitcnt lgkmcnt(0)
	v_add_f32_e32 v2, v2, v6
	ds_bpermute_b32 v6, v24, v2
	;; [unrolled: 3-line block ×4, first 2 shown]
	s_waitcnt lgkmcnt(0)
	v_add_f32_e32 v2, v2, v6
	v_div_scale_f32 v6, s[0:1], v2, v2, 1.0
	v_rcp_f32_e32 v9, v6
	s_load_dwordx2 s[0:1], s[4:5], 0x40
	v_fma_f32 v11, -v6, v9, 1.0
	v_fmac_f32_e32 v9, v11, v9
	v_div_scale_f32 v11, vcc, 1.0, v2, 1.0
	v_mul_f32_e32 v12, v11, v9
	v_fma_f32 v13, -v6, v12, v11
	v_fmac_f32_e32 v12, v13, v9
	v_fma_f32 v6, -v6, v12, v11
	v_div_fmas_f32 v6, v6, v9, v12
	v_div_fixup_f32 v2, v6, v2, 1.0
	v_mul_f32_e32 v3, v2, v3
	v_mul_f32_e32 v11, v2, v7
	v_cmp_class_f32_e64 vcc, v3, s2
	v_mul_f32_e32 v12, v2, v8
	v_pk_mul_f32 v[8:9], v[2:3], v[0:1] op_sel_hi:[0,1]
	v_cndmask_b32_e32 v0, 0, v3, vcc
	v_cmp_class_f32_e64 vcc, v11, s2
	v_pk_mul_f32 v[6:7], v[2:3], v[4:5] op_sel_hi:[0,1]
	v_cndmask_b32_e32 v1, 0, v11, vcc
	v_cmp_class_f32_e64 vcc, v12, s2
	v_mov_b32_e32 v5, 0x207
	v_mul_f32_e32 v10, v2, v10
	v_cndmask_b32_e32 v2, 0, v12, vcc
	v_cmp_class_f32_e32 vcc, v7, v5
	v_cndmask_b32_e64 v4, v7, 0, vcc
	v_cmp_class_f32_e32 vcc, v6, v5
	v_cndmask_b32_e64 v3, v6, 0, vcc
	;; [unrolled: 2-line block ×4, first 2 shown]
	v_cmp_class_f32_e64 vcc, v10, s2
	s_waitcnt lgkmcnt(0)
	s_cmp_eq_u64 s[0:1], 0
	v_cndmask_b32_e32 v7, 0, v10, vcc
	s_cbranch_scc1 .LBB82_27
; %bb.4:
	v_lshlrev_b32_e32 v16, 2, v27
	global_load_dwordx4 v[8:11], v16, s[0:1]
	global_load_dwordx4 v[12:15], v16, s[0:1] offset:16
	s_waitcnt vmcnt(1)
	v_pk_add_f32 v[8:9], v[8:9], v[0:1]
	v_pk_add_f32 v[10:11], v[10:11], v[2:3]
	s_waitcnt vmcnt(0)
	v_pk_add_f32 v[12:13], v[12:13], v[4:5]
	v_pk_add_f32 v[14:15], v[14:15], v[6:7]
	s_cbranch_execnz .LBB82_6
.LBB82_5:
	v_pk_mov_b32 v[14:15], v[6:7], v[6:7] op_sel:[0,1]
	v_pk_mov_b32 v[12:13], v[4:5], v[4:5] op_sel:[0,1]
	;; [unrolled: 1-line block ×4, first 2 shown]
.LBB82_6:
	s_load_dwordx4 s[8:11], s[4:5], 0x30
	s_mov_b32 s25, 0
	v_cmp_eq_u32_e64 s[0:1], 0, v21
	s_waitcnt lgkmcnt(0)
	s_bitcmp1_b32 s11, 0
	s_cselect_b64 vcc, -1, 0
	s_cmp_gt_i32 s8, 0
	s_cselect_b64 s[20:21], -1, 0
	s_cmp_lt_i32 s8, 1
	s_cbranch_scc1 .LBB82_28
; %bb.7:
	s_load_dwordx4 s[12:15], s[4:5], 0x20
	v_mul_lo_u32 v29, v17, s8
	v_mov_b32_e32 v28, 0
	v_mov_b32_e32 v30, 0x100
	;; [unrolled: 1-line block ×4, first 2 shown]
	s_branch .LBB82_10
.LBB82_8:                               ;   in Loop: Header=BB82_10 Depth=1
	s_or_b64 exec, exec, s[4:5]
.LBB82_9:                               ;   in Loop: Header=BB82_10 Depth=1
	s_cmp_eq_u32 s8, s25
	v_add_u32_e32 v32, s24, v32
	s_cbranch_scc1 .LBB82_29
.LBB82_10:                              ; =>This Inner Loop Header: Depth=1
	v_cmp_gt_f32_e64 s[2:3], v9, v8
	v_cndmask_b32_e64 v16, v8, v9, s[2:3]
	v_cndmask_b32_e64 v18, v0, v1, s[2:3]
	s_waitcnt lgkmcnt(0)
	v_cndmask_b32_e64 v19, 0, 1, s[2:3]
	v_cmp_gt_f32_e64 s[2:3], v10, v16
	v_cndmask_b32_e64 v16, v16, v10, s[2:3]
	v_cndmask_b32_e64 v18, v18, v2, s[2:3]
	v_cndmask_b32_e64 v19, v19, 2, s[2:3]
	v_cmp_gt_f32_e64 s[2:3], v11, v16
	v_cndmask_b32_e64 v16, v16, v11, s[2:3]
	v_cndmask_b32_e64 v18, v18, v3, s[2:3]
	v_cndmask_b32_e64 v19, v19, 3, s[2:3]
	v_cmp_gt_f32_e64 s[2:3], v12, v16
	v_cndmask_b32_e64 v16, v16, v12, s[2:3]
	v_cndmask_b32_e64 v18, v18, v4, s[2:3]
	v_cndmask_b32_e64 v19, v19, 4, s[2:3]
	v_cmp_gt_f32_e64 s[2:3], v13, v16
	v_cndmask_b32_e64 v16, v16, v13, s[2:3]
	v_cndmask_b32_e64 v18, v18, v5, s[2:3]
	v_cndmask_b32_e64 v19, v19, 5, s[2:3]
	v_cmp_gt_f32_e64 s[2:3], v14, v16
	v_cndmask_b32_e64 v16, v16, v14, s[2:3]
	v_cndmask_b32_e64 v18, v18, v6, s[2:3]
	v_cndmask_b32_e64 v19, v19, 6, s[2:3]
	v_cmp_gt_f32_e64 s[2:3], v15, v16
	v_cndmask_b32_e64 v19, v19, 7, s[2:3]
	v_cndmask_b32_e64 v16, v16, v15, s[2:3]
	v_or_b32_e32 v19, v27, v19
	ds_bpermute_b32 v20, v22, v16
	ds_bpermute_b32 v33, v22, v19
	v_cndmask_b32_e64 v18, v18, v7, s[2:3]
	ds_bpermute_b32 v35, v22, v18
	s_waitcnt lgkmcnt(0)
	v_cmp_eq_f32_e64 s[4:5], v16, v20
	v_cmp_lt_i32_e64 s[6:7], v33, v19
	v_cmp_lt_f32_e64 s[2:3], v16, v20
	s_and_b64 s[4:5], s[4:5], s[6:7]
	s_or_b64 s[2:3], s[2:3], s[4:5]
	v_cndmask_b32_e64 v34, v19, v33, s[2:3]
	v_cndmask_b32_e64 v33, v16, v20, s[2:3]
	;; [unrolled: 1-line block ×3, first 2 shown]
	ds_bpermute_b32 v36, v23, v33
	ds_bpermute_b32 v20, v23, v16
	;; [unrolled: 1-line block ×3, first 2 shown]
                                        ; implicit-def: $vgpr18_vgpr19
	s_waitcnt lgkmcnt(2)
	v_cmp_lt_f32_e64 s[6:7], v33, v36
	v_cmp_nlt_f32_e64 s[2:3], v33, v36
	s_and_saveexec_b64 s[22:23], s[2:3]
	s_cbranch_execz .LBB82_12
; %bb.11:                               ;   in Loop: Header=BB82_10 Depth=1
	v_cmp_eq_f32_e64 s[2:3], v33, v36
	s_waitcnt lgkmcnt(0)
	v_cmp_lt_i32_e64 s[4:5], v35, v34
	s_and_b64 s[2:3], s[2:3], s[4:5]
	s_andn2_b64 s[4:5], s[6:7], exec
	s_and_b64 s[2:3], s[2:3], exec
	s_or_b64 s[6:7], s[4:5], s[2:3]
	v_pk_mov_b32 v[18:19], v[16:17], v[16:17] op_sel:[0,1]
.LBB82_12:                              ;   in Loop: Header=BB82_10 Depth=1
	s_or_b64 exec, exec, s[22:23]
	s_and_saveexec_b64 s[2:3], s[6:7]
	s_cbranch_execz .LBB82_14
; %bb.13:                               ;   in Loop: Header=BB82_10 Depth=1
	v_mov_b32_e32 v33, v36
	s_waitcnt lgkmcnt(1)
	v_mov_b32_e32 v16, v20
	s_waitcnt lgkmcnt(0)
	v_mov_b32_e32 v34, v35
	v_pk_mov_b32 v[18:19], v[20:21], v[20:21] op_sel:[0,1]
.LBB82_14:                              ;   in Loop: Header=BB82_10 Depth=1
	s_or_b64 exec, exec, s[2:3]
	s_waitcnt lgkmcnt(0)
	ds_bpermute_b32 v35, v24, v33
	ds_bpermute_b32 v20, v24, v16
	;; [unrolled: 1-line block ×3, first 2 shown]
	s_waitcnt lgkmcnt(2)
	v_cmp_lt_f32_e64 s[6:7], v33, v35
	v_cmp_nlt_f32_e64 s[2:3], v33, v35
	s_and_saveexec_b64 s[22:23], s[2:3]
	s_cbranch_execz .LBB82_16
; %bb.15:                               ;   in Loop: Header=BB82_10 Depth=1
	v_cmp_eq_f32_e64 s[2:3], v33, v35
	s_waitcnt lgkmcnt(0)
	v_cmp_lt_i32_e64 s[4:5], v19, v34
	s_and_b64 s[2:3], s[2:3], s[4:5]
	s_andn2_b64 s[4:5], s[6:7], exec
	s_and_b64 s[2:3], s[2:3], exec
	s_or_b64 s[6:7], s[4:5], s[2:3]
.LBB82_16:                              ;   in Loop: Header=BB82_10 Depth=1
	s_or_b64 exec, exec, s[22:23]
	s_and_saveexec_b64 s[2:3], s[6:7]
	s_cbranch_execz .LBB82_18
; %bb.17:                               ;   in Loop: Header=BB82_10 Depth=1
	v_mov_b32_e32 v33, v35
	s_waitcnt lgkmcnt(1)
	v_mov_b32_e32 v16, v20
	s_waitcnt lgkmcnt(0)
	v_mov_b32_e32 v34, v19
	v_pk_mov_b32 v[18:19], v[20:21], v[20:21] op_sel:[0,1]
.LBB82_18:                              ;   in Loop: Header=BB82_10 Depth=1
	s_or_b64 exec, exec, s[2:3]
	ds_bpermute_b32 v35, v25, v33
	s_waitcnt lgkmcnt(2)
	ds_bpermute_b32 v20, v25, v16
	s_waitcnt lgkmcnt(2)
	;; [unrolled: 2-line block ×3, first 2 shown]
	v_cmp_lt_f32_e64 s[6:7], v33, v35
	v_cmp_nlt_f32_e64 s[2:3], v33, v35
	s_and_saveexec_b64 s[22:23], s[2:3]
	s_cbranch_execz .LBB82_20
; %bb.19:                               ;   in Loop: Header=BB82_10 Depth=1
	v_cmp_eq_f32_e64 s[2:3], v33, v35
	s_waitcnt lgkmcnt(0)
	v_cmp_lt_i32_e64 s[4:5], v19, v34
	s_and_b64 s[2:3], s[2:3], s[4:5]
	s_andn2_b64 s[4:5], s[6:7], exec
	s_and_b64 s[2:3], s[2:3], exec
	s_or_b64 s[6:7], s[4:5], s[2:3]
.LBB82_20:                              ;   in Loop: Header=BB82_10 Depth=1
	s_or_b64 exec, exec, s[22:23]
	s_and_saveexec_b64 s[2:3], s[6:7]
	s_cbranch_execz .LBB82_22
; %bb.21:                               ;   in Loop: Header=BB82_10 Depth=1
	v_mov_b32_e32 v33, v35
	s_waitcnt lgkmcnt(1)
	v_mov_b32_e32 v16, v20
	s_waitcnt lgkmcnt(0)
	v_mov_b32_e32 v34, v19
	v_pk_mov_b32 v[18:19], v[20:21], v[20:21] op_sel:[0,1]
.LBB82_22:                              ;   in Loop: Header=BB82_10 Depth=1
	s_or_b64 exec, exec, s[2:3]
	s_waitcnt lgkmcnt(1)
	ds_bpermute_b32 v20, v26, v33
	ds_bpermute_b32 v35, v26, v34
	s_waitcnt lgkmcnt(2)
	ds_bpermute_b32 v19, v26, v16
	s_waitcnt lgkmcnt(2)
	v_cmp_eq_f32_e64 s[4:5], v33, v20
	s_waitcnt lgkmcnt(1)
	v_cmp_lt_i32_e64 s[6:7], v35, v34
	v_cmp_lt_f32_e64 s[2:3], v33, v20
	s_and_b64 s[4:5], s[4:5], s[6:7]
	s_or_b64 s[2:3], s[2:3], s[4:5]
	v_cndmask_b32_e64 v16, v34, v35, s[2:3]
	s_and_saveexec_b64 s[6:7], s[0:1]
	s_cbranch_execnz .LBB82_24
; %bb.23:                               ;   in Loop: Header=BB82_10 Depth=1
	s_or_b64 exec, exec, s[6:7]
	s_add_i32 s25, s25, 1
	s_cmp_ge_i32 s25, s8
	s_cbranch_scc1 .LBB82_9
	s_branch .LBB82_25
.LBB82_24:                              ;   in Loop: Header=BB82_10 Depth=1
	s_waitcnt lgkmcnt(0)
	v_cndmask_b32_e64 v20, v18, v19, s[2:3]
	v_add_u32_e32 v18, s25, v29
	v_ashrrev_i32_e32 v19, 31, v18
	v_cmp_le_i32_e64 s[2:3], s9, v16
	v_cmp_gt_i32_e64 s[4:5], s10, v16
	v_lshlrev_b64 v[18:19], 2, v[18:19]
	s_and_b64 s[4:5], s[2:3], s[4:5]
	v_mov_b32_e32 v33, s17
	v_add_co_u32_e64 v34, s[2:3], s16, v18
	v_addc_co_u32_e64 v35, s[2:3], v33, v19, s[2:3]
	v_subrev_u32_e32 v33, s9, v16
	s_and_b64 s[2:3], s[18:19], s[4:5]
	global_store_dword v[34:35], v20, off
	v_cndmask_b32_e64 v33, v30, v33, s[2:3]
	v_mov_b32_e32 v35, s13
	v_add_co_u32_e64 v34, s[2:3], s12, v18
	v_addc_co_u32_e64 v35, s[2:3], v35, v19, s[2:3]
	global_store_dword v[34:35], v33, off
	v_mov_b32_e32 v33, s15
	v_add_co_u32_e64 v18, s[2:3], s14, v18
	v_addc_co_u32_e64 v19, s[2:3], v33, v19, s[2:3]
	global_store_dword v[18:19], v32, off
	v_add_f32_e32 v18, v28, v20
	v_cndmask_b32_e32 v28, v28, v18, vcc
	s_or_b64 exec, exec, s[6:7]
	s_add_i32 s25, s25, 1
	s_cmp_ge_i32 s25, s8
	s_cbranch_scc1 .LBB82_9
.LBB82_25:                              ;   in Loop: Header=BB82_10 Depth=1
	v_ashrrev_i32_e32 v18, 31, v16
	s_waitcnt lgkmcnt(0)
	v_lshrrev_b32_e32 v19, 29, v18
	v_add_u32_e32 v20, v16, v19
	v_ashrrev_i32_e32 v19, 3, v20
	v_ashrrev_i32_e32 v20, 31, v20
	v_lshrrev_b32_e32 v20, 27, v20
	v_add_u32_e32 v20, v19, v20
	v_and_b32_e32 v20, 0xffffffe0, v20
	v_sub_u32_e32 v20, v19, v20
	v_cmp_eq_u32_e64 s[2:3], v21, v20
	s_and_saveexec_b64 s[4:5], s[2:3]
	s_cbranch_execz .LBB82_8
; %bb.26:                               ;   in Loop: Header=BB82_10 Depth=1
	v_add_u32_sdwa v18, v16, v18 dst_sel:DWORD dst_unused:UNUSED_PAD src0_sel:DWORD src1_sel:BYTE_3
	v_lshlrev_b32_e32 v19, 3, v19
	v_ashrrev_i32_e32 v18, 8, v18
	v_sub_u32_e32 v16, v16, v19
	v_lshl_add_u32 v16, v18, 3, v16
	v_cmp_ne_u32_e64 s[2:3], 7, v16
	v_cndmask_b32_e64 v15, v31, v15, s[2:3]
	v_cmp_ne_u32_e64 s[2:3], 6, v16
	v_cndmask_b32_e64 v14, v31, v14, s[2:3]
	;; [unrolled: 2-line block ×8, first 2 shown]
	s_branch .LBB82_8
.LBB82_27:
                                        ; implicit-def: $vgpr8_vgpr9_vgpr10_vgpr11_vgpr12_vgpr13_vgpr14_vgpr15
	s_andn2_b64 vcc, exec, s[6:7]
	s_cbranch_vccz .LBB82_5
	s_branch .LBB82_6
.LBB82_28:
	v_mov_b32_e32 v28, 0
.LBB82_29:
	v_cmp_eq_u32_e64 s[0:1], 0, v21
	s_and_b64 s[0:1], s[0:1], vcc
	s_and_b64 exec, exec, s[0:1]
	s_cbranch_execz .LBB82_38
; %bb.30:
	s_andn2_b64 vcc, exec, s[20:21]
	s_cbranch_vccnz .LBB82_38
; %bb.31:
	v_cmp_lt_f32_e32 vcc, 0, v28
	s_mov_b32 s2, 0
	v_cndmask_b32_e32 v0, 1.0, v28, vcc
	v_mul_lo_u32 v4, v17, s8
	s_cmp_eq_u32 s8, 1
	s_mov_b64 s[0:1], -1
	s_cbranch_scc1 .LBB82_35
; %bb.32:
	s_and_b32 s2, s8, 0x7ffffffe
	v_mov_b32_e32 v1, v0
	v_mov_b32_e32 v5, s17
	s_mov_b32 s3, s2
	v_mov_b32_e32 v2, v4
.LBB82_33:                              ; =>This Inner Loop Header: Depth=1
	v_ashrrev_i32_e32 v3, 31, v2
	v_lshlrev_b64 v[6:7], 2, v[2:3]
	v_add_co_u32_e32 v6, vcc, s16, v6
	v_addc_co_u32_e32 v7, vcc, v5, v7, vcc
	global_load_dwordx2 v[8:9], v[6:7], off
	s_add_i32 s3, s3, -2
	s_cmp_lg_u32 s3, 0
	v_add_u32_e32 v2, 2, v2
	s_waitcnt vmcnt(0)
	v_div_scale_f32 v3, s[0:1], v1, v1, v9
	v_div_scale_f32 v11, s[0:1], v0, v0, v8
	v_rcp_f32_e32 v12, v3
	v_rcp_f32_e32 v13, v11
	v_div_scale_f32 v10, vcc, v9, v1, v9
	v_fma_f32 v15, -v3, v12, 1.0
	v_fma_f32 v16, -v11, v13, 1.0
	v_fmac_f32_e32 v12, v15, v12
	v_div_scale_f32 v14, s[0:1], v8, v0, v8
	v_fmac_f32_e32 v13, v16, v13
	v_mul_f32_e32 v15, v10, v12
	v_mul_f32_e32 v16, v14, v13
	v_fma_f32 v17, -v3, v15, v10
	v_fma_f32 v18, -v11, v16, v14
	v_fmac_f32_e32 v15, v17, v12
	v_fmac_f32_e32 v16, v18, v13
	v_fma_f32 v3, -v3, v15, v10
	v_fma_f32 v10, -v11, v16, v14
	v_div_fmas_f32 v3, v3, v12, v15
	s_mov_b64 vcc, s[0:1]
	v_div_fixup_f32 v9, v3, v1, v9
	v_div_fmas_f32 v3, v10, v13, v16
	v_div_fixup_f32 v8, v3, v0, v8
	global_store_dwordx2 v[6:7], v[8:9], off
	s_cbranch_scc1 .LBB82_33
; %bb.34:
	s_cmp_lg_u32 s2, s8
	s_cselect_b64 s[0:1], -1, 0
.LBB82_35:
	s_and_b64 vcc, exec, s[0:1]
	s_cbranch_vccz .LBB82_38
; %bb.36:
	v_ashrrev_i32_e32 v1, 31, v4
	v_add_co_u32_e32 v2, vcc, s2, v4
	v_addc_co_u32_e32 v3, vcc, 0, v1, vcc
	v_lshlrev_b64 v[2:3], 2, v[2:3]
	v_mov_b32_e32 v1, s17
	v_add_co_u32_e32 v2, vcc, s16, v2
	s_sub_i32 s0, s8, s2
	v_addc_co_u32_e32 v3, vcc, v1, v3, vcc
.LBB82_37:                              ; =>This Inner Loop Header: Depth=1
	global_load_dword v1, v[2:3], off
	s_add_i32 s0, s0, -1
	s_cmp_lg_u32 s0, 0
	s_waitcnt vmcnt(0)
	v_div_scale_f32 v4, s[2:3], v0, v0, v1
	v_rcp_f32_e32 v5, v4
	v_div_scale_f32 v6, vcc, v1, v0, v1
	v_fma_f32 v7, -v4, v5, 1.0
	v_fmac_f32_e32 v5, v7, v5
	v_mul_f32_e32 v7, v6, v5
	v_fma_f32 v8, -v4, v7, v6
	v_fmac_f32_e32 v7, v8, v5
	v_fma_f32 v4, -v4, v7, v6
	v_div_fmas_f32 v4, v4, v5, v7
	v_div_fixup_f32 v1, v4, v0, v1
	global_store_dword v[2:3], v1, off
	v_add_co_u32_e32 v2, vcc, 4, v2
	v_addc_co_u32_e32 v3, vcc, 0, v3, vcc
	s_cbranch_scc1 .LBB82_37
.LBB82_38:
	s_endpgm
	.section	.rodata,"a",@progbits
	.p2align	6, 0x0
	.amdhsa_kernel _ZN4vllm3moe10topkGatingILi8ELi256ELi4ELi16ELi64Ei6__halfLNS0_11ScoringFuncE0EEEvPKT5_PKbPfiPT4_PiiiibPKf
		.amdhsa_group_segment_fixed_size 0
		.amdhsa_private_segment_fixed_size 0
		.amdhsa_kernarg_size 72
		.amdhsa_user_sgpr_count 6
		.amdhsa_user_sgpr_private_segment_buffer 1
		.amdhsa_user_sgpr_dispatch_ptr 0
		.amdhsa_user_sgpr_queue_ptr 0
		.amdhsa_user_sgpr_kernarg_segment_ptr 1
		.amdhsa_user_sgpr_dispatch_id 0
		.amdhsa_user_sgpr_flat_scratch_init 0
		.amdhsa_user_sgpr_kernarg_preload_length 0
		.amdhsa_user_sgpr_kernarg_preload_offset 0
		.amdhsa_user_sgpr_private_segment_size 0
		.amdhsa_uses_dynamic_stack 0
		.amdhsa_system_sgpr_private_segment_wavefront_offset 0
		.amdhsa_system_sgpr_workgroup_id_x 1
		.amdhsa_system_sgpr_workgroup_id_y 0
		.amdhsa_system_sgpr_workgroup_id_z 0
		.amdhsa_system_sgpr_workgroup_info 0
		.amdhsa_system_vgpr_workitem_id 1
		.amdhsa_next_free_vgpr 37
		.amdhsa_next_free_sgpr 26
		.amdhsa_accum_offset 40
		.amdhsa_reserve_vcc 1
		.amdhsa_reserve_flat_scratch 0
		.amdhsa_float_round_mode_32 0
		.amdhsa_float_round_mode_16_64 0
		.amdhsa_float_denorm_mode_32 3
		.amdhsa_float_denorm_mode_16_64 3
		.amdhsa_dx10_clamp 1
		.amdhsa_ieee_mode 1
		.amdhsa_fp16_overflow 0
		.amdhsa_tg_split 0
		.amdhsa_exception_fp_ieee_invalid_op 0
		.amdhsa_exception_fp_denorm_src 0
		.amdhsa_exception_fp_ieee_div_zero 0
		.amdhsa_exception_fp_ieee_overflow 0
		.amdhsa_exception_fp_ieee_underflow 0
		.amdhsa_exception_fp_ieee_inexact 0
		.amdhsa_exception_int_div_zero 0
	.end_amdhsa_kernel
	.section	.text._ZN4vllm3moe10topkGatingILi8ELi256ELi4ELi16ELi64Ei6__halfLNS0_11ScoringFuncE0EEEvPKT5_PKbPfiPT4_PiiiibPKf,"axG",@progbits,_ZN4vllm3moe10topkGatingILi8ELi256ELi4ELi16ELi64Ei6__halfLNS0_11ScoringFuncE0EEEvPKT5_PKbPfiPT4_PiiiibPKf,comdat
.Lfunc_end82:
	.size	_ZN4vllm3moe10topkGatingILi8ELi256ELi4ELi16ELi64Ei6__halfLNS0_11ScoringFuncE0EEEvPKT5_PKbPfiPT4_PiiiibPKf, .Lfunc_end82-_ZN4vllm3moe10topkGatingILi8ELi256ELi4ELi16ELi64Ei6__halfLNS0_11ScoringFuncE0EEEvPKT5_PKbPfiPT4_PiiiibPKf
                                        ; -- End function
	.section	.AMDGPU.csdata,"",@progbits
; Kernel info:
; codeLenInByte = 3340
; NumSgprs: 30
; NumVgprs: 37
; NumAgprs: 0
; TotalNumVgprs: 37
; ScratchSize: 0
; MemoryBound: 0
; FloatMode: 240
; IeeeMode: 1
; LDSByteSize: 0 bytes/workgroup (compile time only)
; SGPRBlocks: 3
; VGPRBlocks: 4
; NumSGPRsForWavesPerEU: 30
; NumVGPRsForWavesPerEU: 37
; AccumOffset: 40
; Occupancy: 8
; WaveLimiterHint : 0
; COMPUTE_PGM_RSRC2:SCRATCH_EN: 0
; COMPUTE_PGM_RSRC2:USER_SGPR: 6
; COMPUTE_PGM_RSRC2:TRAP_HANDLER: 0
; COMPUTE_PGM_RSRC2:TGID_X_EN: 1
; COMPUTE_PGM_RSRC2:TGID_Y_EN: 0
; COMPUTE_PGM_RSRC2:TGID_Z_EN: 0
; COMPUTE_PGM_RSRC2:TIDIG_COMP_CNT: 1
; COMPUTE_PGM_RSRC3_GFX90A:ACCUM_OFFSET: 9
; COMPUTE_PGM_RSRC3_GFX90A:TG_SPLIT: 0
	.section	.text._ZN4vllm3moe10topkGatingILi8ELi256ELi4ELi16ELi32Ei6__halfLNS0_11ScoringFuncE0EEEvPKT5_PKbPfiPT4_PiiiibPKf,"axG",@progbits,_ZN4vllm3moe10topkGatingILi8ELi256ELi4ELi16ELi32Ei6__halfLNS0_11ScoringFuncE0EEEvPKT5_PKbPfiPT4_PiiiibPKf,comdat
	.protected	_ZN4vllm3moe10topkGatingILi8ELi256ELi4ELi16ELi32Ei6__halfLNS0_11ScoringFuncE0EEEvPKT5_PKbPfiPT4_PiiiibPKf ; -- Begin function _ZN4vllm3moe10topkGatingILi8ELi256ELi4ELi16ELi32Ei6__halfLNS0_11ScoringFuncE0EEEvPKT5_PKbPfiPT4_PiiiibPKf
	.globl	_ZN4vllm3moe10topkGatingILi8ELi256ELi4ELi16ELi32Ei6__halfLNS0_11ScoringFuncE0EEEvPKT5_PKbPfiPT4_PiiiibPKf
	.p2align	8
	.type	_ZN4vllm3moe10topkGatingILi8ELi256ELi4ELi16ELi32Ei6__halfLNS0_11ScoringFuncE0EEEvPKT5_PKbPfiPT4_PiiiibPKf,@function
_ZN4vllm3moe10topkGatingILi8ELi256ELi4ELi16ELi32Ei6__halfLNS0_11ScoringFuncE0EEEvPKT5_PKbPfiPT4_PiiiibPKf: ; @_ZN4vllm3moe10topkGatingILi8ELi256ELi4ELi16ELi32Ei6__halfLNS0_11ScoringFuncE0EEEvPKT5_PKbPfiPT4_PiiiibPKf
; %bb.0:
	s_load_dword s24, s[4:5], 0x18
	v_and_b32_e32 v1, 0x3ff, v0
	s_lshl_b32 s0, s6, 2
	v_lshrrev_b32_e32 v2, 5, v1
	v_bfe_u32 v0, v0, 10, 10
	v_add3_u32 v17, s0, v0, v2
	s_waitcnt lgkmcnt(0)
	v_cmp_gt_i32_e32 vcc, s24, v17
	s_and_saveexec_b64 s[0:1], vcc
	s_cbranch_execz .LBB83_38
; %bb.1:
	s_load_dwordx4 s[0:3], s[4:5], 0x0
	s_load_dwordx2 s[16:17], s[4:5], 0x10
	s_mov_b64 s[6:7], -1
	s_mov_b64 s[18:19], -1
	s_waitcnt lgkmcnt(0)
	s_cmp_eq_u64 s[2:3], 0
	s_cbranch_scc1 .LBB83_3
; %bb.2:
	v_ashrrev_i32_e32 v0, 31, v17
	v_mov_b32_e32 v3, s3
	v_add_co_u32_e32 v2, vcc, s2, v17
	v_addc_co_u32_e32 v3, vcc, v3, v0, vcc
	global_load_ubyte v0, v[2:3], off
	s_waitcnt vmcnt(0)
	v_and_b32_e32 v0, 1, v0
	v_cmp_eq_u32_e32 vcc, 1, v0
	s_xor_b64 s[2:3], vcc, -1
	s_orn2_b64 s[18:19], s[2:3], exec
.LBB83_3:
	v_lshlrev_b32_e32 v2, 8, v17
	v_ashrrev_i32_e32 v3, 31, v2
	v_lshlrev_b64 v[2:3], 1, v[2:3]
	v_mov_b32_e32 v0, s1
	v_add_co_u32_e32 v2, vcc, s0, v2
	v_and_b32_e32 v21, 31, v1
	v_addc_co_u32_e32 v3, vcc, v0, v3, vcc
	v_lshlrev_b32_e32 v0, 4, v21
	v_add_co_u32_e32 v0, vcc, v2, v0
	v_addc_co_u32_e32 v1, vcc, 0, v3, vcc
	global_load_dwordx4 v[0:3], v[0:1], off
	v_mbcnt_lo_u32_b32 v4, -1, 0
	v_mbcnt_hi_u32_b32 v6, -1, v4
	v_and_b32_e32 v4, 0x60, v6
	v_xor_b32_e32 v5, 16, v6
	v_add_u32_e32 v7, 32, v4
	v_cmp_lt_i32_e32 vcc, v5, v7
	v_cndmask_b32_e32 v4, v6, v5, vcc
	v_lshlrev_b32_e32 v22, 2, v4
	v_xor_b32_e32 v12, 8, v6
	v_cmp_lt_i32_e32 vcc, v12, v7
	v_cndmask_b32_e32 v12, v6, v12, vcc
	v_lshlrev_b32_e32 v23, 2, v12
	v_xor_b32_e32 v12, 4, v6
	;; [unrolled: 4-line block ×4, first 2 shown]
	v_cmp_lt_i32_e32 vcc, v12, v7
	v_cndmask_b32_e32 v6, v6, v12, vcc
	v_lshlrev_b32_e32 v26, 2, v6
	s_mov_b32 s2, 0x3fb8aa3b
	s_mov_b32 s0, 0xc2ce8ed0
	;; [unrolled: 1-line block ×3, first 2 shown]
	v_mov_b32_e32 v6, 0x7f800000
	s_waitcnt vmcnt(0)
	v_cvt_f32_f16_e32 v8, v0
	v_cvt_f32_f16_sdwa v9, v0 dst_sel:DWORD dst_unused:UNUSED_PAD src0_sel:WORD_1
	v_cvt_f32_f16_e32 v10, v1
	v_cvt_f32_f16_sdwa v4, v1 dst_sel:DWORD dst_unused:UNUSED_PAD src0_sel:WORD_1
	v_cvt_f32_f16_e32 v5, v2
	v_cvt_f32_f16_sdwa v0, v2 dst_sel:DWORD dst_unused:UNUSED_PAD src0_sel:WORD_1
	v_cvt_f32_f16_sdwa v11, v3 dst_sel:DWORD dst_unused:UNUSED_PAD src0_sel:WORD_1
	v_cvt_f32_f16_e32 v1, v3
	v_max_f32_e32 v2, v8, v9
	v_max3_f32 v2, v2, v10, v4
	v_max3_f32 v2, v2, v5, v0
	;; [unrolled: 1-line block ×3, first 2 shown]
	ds_bpermute_b32 v3, v22, v2
	s_waitcnt lgkmcnt(0)
	v_max_f32_e32 v3, v3, v3
	v_max_f32_e32 v2, v2, v3
	ds_bpermute_b32 v3, v23, v2
	s_waitcnt lgkmcnt(0)
	v_max_f32_e32 v3, v3, v3
	v_max_f32_e32 v2, v2, v3
	;; [unrolled: 4-line block ×5, first 2 shown]
	v_sub_f32_e32 v3, v8, v2
	v_sub_f32_e32 v7, v9, v2
	v_mul_f32_e32 v9, 0x3fb8aa3b, v3
	v_sub_f32_e32 v8, v10, v2
	v_mul_f32_e32 v10, 0x3fb8aa3b, v7
	v_fma_f32 v16, v3, s2, -v9
	v_rndne_f32_e32 v18, v9
	v_pk_add_f32 v[4:5], v[4:5], v[2:3] op_sel_hi:[1,0] neg_lo:[0,1] neg_hi:[0,1]
	v_mul_f32_e32 v12, 0x3fb8aa3b, v8
	v_fma_f32 v19, v7, s2, -v10
	v_rndne_f32_e32 v20, v10
	v_fmac_f32_e32 v16, 0x32a5705f, v3
	v_sub_f32_e32 v9, v9, v18
	v_mul_f32_e32 v13, 0x3fb8aa3b, v5
	v_fma_f32 v27, v8, s2, -v12
	v_rndne_f32_e32 v28, v12
	v_fmac_f32_e32 v19, 0x32a5705f, v7
	v_sub_f32_e32 v10, v10, v20
	v_add_f32_e32 v9, v9, v16
	v_mul_f32_e32 v14, 0x3fb8aa3b, v4
	v_fma_f32 v29, v5, s2, -v13
	v_rndne_f32_e32 v30, v13
	v_cvt_i32_f32_e32 v18, v18
	v_fmac_f32_e32 v27, 0x32a5705f, v8
	v_sub_f32_e32 v12, v12, v28
	v_add_f32_e32 v10, v10, v19
	v_exp_f32_e32 v9, v9
	v_fma_f32 v31, v4, s2, -v14
	v_rndne_f32_e32 v32, v14
	v_cvt_i32_f32_e32 v20, v20
	v_fmac_f32_e32 v29, 0x32a5705f, v5
	v_sub_f32_e32 v13, v13, v30
	v_add_f32_e32 v12, v12, v27
	v_exp_f32_e32 v10, v10
	v_cvt_i32_f32_e32 v28, v28
	v_fmac_f32_e32 v31, 0x32a5705f, v4
	v_sub_f32_e32 v14, v14, v32
	v_add_f32_e32 v13, v13, v29
	v_exp_f32_e32 v12, v12
	v_cvt_i32_f32_e32 v30, v30
	v_add_f32_e32 v14, v14, v31
	v_exp_f32_e32 v13, v13
	v_cvt_i32_f32_e32 v32, v32
	v_exp_f32_e32 v14, v14
	v_ldexp_f32 v9, v9, v18
	v_cmp_ngt_f32_e32 vcc, s0, v3
	v_ldexp_f32 v10, v10, v20
	v_cndmask_b32_e32 v9, 0, v9, vcc
	v_cmp_ngt_f32_e32 vcc, s0, v7
	v_ldexp_f32 v12, v12, v28
	v_cndmask_b32_e32 v10, 0, v10, vcc
	;; [unrolled: 3-line block ×4, first 2 shown]
	v_cmp_ngt_f32_e32 vcc, s0, v4
	v_pk_add_f32 v[0:1], v[0:1], v[2:3] op_sel_hi:[1,0] neg_lo:[0,1] neg_hi:[0,1]
	v_cndmask_b32_e32 v14, 0, v14, vcc
	v_cmp_nlt_f32_e32 vcc, s1, v3
	v_mul_f32_e32 v15, 0x3fb8aa3b, v1
	v_cndmask_b32_e32 v3, v6, v9, vcc
	v_cmp_nlt_f32_e32 vcc, s1, v7
	v_fma_f32 v33, v1, s2, -v15
	v_cndmask_b32_e32 v7, v6, v10, vcc
	v_cmp_nlt_f32_e32 vcc, s1, v8
	v_rndne_f32_e32 v10, v15
	v_cndmask_b32_e32 v8, v6, v12, vcc
	v_fmac_f32_e32 v33, 0x32a5705f, v1
	v_sub_f32_e32 v12, v15, v10
	v_add_f32_e32 v12, v12, v33
	v_exp_f32_e32 v12, v12
	v_cvt_i32_f32_e32 v10, v10
	v_cmp_nlt_f32_e32 vcc, s1, v5
	v_cndmask_b32_e32 v5, v6, v13, vcc
	v_cmp_nlt_f32_e32 vcc, s1, v4
	v_ldexp_f32 v10, v12, v10
	v_mul_f32_e32 v12, 0x3fb8aa3b, v0
	v_cndmask_b32_e32 v4, v6, v14, vcc
	v_fma_f32 v13, v0, s2, -v12
	v_rndne_f32_e32 v14, v12
	v_fmac_f32_e32 v13, 0x32a5705f, v0
	v_sub_f32_e32 v12, v12, v14
	v_add_f32_e32 v12, v12, v13
	v_exp_f32_e32 v12, v12
	v_cvt_i32_f32_e32 v13, v14
	v_cmp_ngt_f32_e32 vcc, s0, v1
	v_sub_f32_e32 v2, v11, v2
	v_cndmask_b32_e32 v10, 0, v10, vcc
	v_cmp_nlt_f32_e32 vcc, s1, v1
	v_mul_f32_e32 v11, 0x3fb8aa3b, v2
	v_cndmask_b32_e32 v1, v6, v10, vcc
	v_ldexp_f32 v10, v12, v13
	v_fma_f32 v12, v2, s2, -v11
	v_rndne_f32_e32 v13, v11
	v_fmac_f32_e32 v12, 0x32a5705f, v2
	v_sub_f32_e32 v11, v11, v13
	v_add_f32_e32 v11, v11, v12
	v_exp_f32_e32 v11, v11
	v_cvt_i32_f32_e32 v12, v13
	v_add_f32_e32 v9, v3, v7
	v_add_f32_e32 v9, v9, v8
	v_cmp_ngt_f32_e32 vcc, s0, v0
	v_add_f32_e32 v9, v9, v4
	v_cndmask_b32_e32 v10, 0, v10, vcc
	v_cmp_nlt_f32_e32 vcc, s1, v0
	v_add_f32_e32 v9, v9, v5
	v_cndmask_b32_e32 v0, v6, v10, vcc
	v_ldexp_f32 v10, v11, v12
	v_cmp_ngt_f32_e32 vcc, s0, v2
	v_add_f32_e32 v9, v9, v0
	v_cndmask_b32_e32 v10, 0, v10, vcc
	v_cmp_nlt_f32_e32 vcc, s1, v2
	v_add_f32_e32 v9, v9, v1
	v_cndmask_b32_e32 v10, v6, v10, vcc
	v_add_f32_e32 v2, v9, v10
	ds_bpermute_b32 v6, v22, v2
	s_movk_i32 s2, 0x1f8
	v_lshlrev_b32_e32 v27, 3, v21
	s_waitcnt lgkmcnt(0)
	v_add_f32_e32 v2, v2, v6
	ds_bpermute_b32 v6, v23, v2
	s_waitcnt lgkmcnt(0)
	v_add_f32_e32 v2, v2, v6
	ds_bpermute_b32 v6, v24, v2
	;; [unrolled: 3-line block ×4, first 2 shown]
	s_waitcnt lgkmcnt(0)
	v_add_f32_e32 v2, v2, v6
	v_div_scale_f32 v6, s[0:1], v2, v2, 1.0
	v_rcp_f32_e32 v9, v6
	s_load_dwordx2 s[0:1], s[4:5], 0x40
	v_fma_f32 v11, -v6, v9, 1.0
	v_fmac_f32_e32 v9, v11, v9
	v_div_scale_f32 v11, vcc, 1.0, v2, 1.0
	v_mul_f32_e32 v12, v11, v9
	v_fma_f32 v13, -v6, v12, v11
	v_fmac_f32_e32 v12, v13, v9
	v_fma_f32 v6, -v6, v12, v11
	v_div_fmas_f32 v6, v6, v9, v12
	v_div_fixup_f32 v2, v6, v2, 1.0
	v_mul_f32_e32 v3, v2, v3
	v_mul_f32_e32 v11, v2, v7
	v_cmp_class_f32_e64 vcc, v3, s2
	v_mul_f32_e32 v12, v2, v8
	v_pk_mul_f32 v[8:9], v[2:3], v[0:1] op_sel_hi:[0,1]
	v_cndmask_b32_e32 v0, 0, v3, vcc
	v_cmp_class_f32_e64 vcc, v11, s2
	v_pk_mul_f32 v[6:7], v[2:3], v[4:5] op_sel_hi:[0,1]
	v_cndmask_b32_e32 v1, 0, v11, vcc
	v_cmp_class_f32_e64 vcc, v12, s2
	v_mov_b32_e32 v5, 0x207
	v_mul_f32_e32 v10, v2, v10
	v_cndmask_b32_e32 v2, 0, v12, vcc
	v_cmp_class_f32_e32 vcc, v7, v5
	v_cndmask_b32_e64 v4, v7, 0, vcc
	v_cmp_class_f32_e32 vcc, v6, v5
	v_cndmask_b32_e64 v3, v6, 0, vcc
	v_cmp_class_f32_e32 vcc, v9, v5
	v_cndmask_b32_e64 v6, v9, 0, vcc
	v_cmp_class_f32_e32 vcc, v8, v5
	v_cndmask_b32_e64 v5, v8, 0, vcc
	v_cmp_class_f32_e64 vcc, v10, s2
	s_waitcnt lgkmcnt(0)
	s_cmp_eq_u64 s[0:1], 0
	v_cndmask_b32_e32 v7, 0, v10, vcc
	s_cbranch_scc1 .LBB83_27
; %bb.4:
	v_lshlrev_b32_e32 v16, 2, v27
	global_load_dwordx4 v[8:11], v16, s[0:1]
	global_load_dwordx4 v[12:15], v16, s[0:1] offset:16
	s_waitcnt vmcnt(1)
	v_pk_add_f32 v[8:9], v[8:9], v[0:1]
	v_pk_add_f32 v[10:11], v[10:11], v[2:3]
	s_waitcnt vmcnt(0)
	v_pk_add_f32 v[12:13], v[12:13], v[4:5]
	v_pk_add_f32 v[14:15], v[14:15], v[6:7]
	s_cbranch_execnz .LBB83_6
.LBB83_5:
	v_pk_mov_b32 v[14:15], v[6:7], v[6:7] op_sel:[0,1]
	v_pk_mov_b32 v[12:13], v[4:5], v[4:5] op_sel:[0,1]
	;; [unrolled: 1-line block ×4, first 2 shown]
.LBB83_6:
	s_load_dwordx4 s[8:11], s[4:5], 0x30
	s_mov_b32 s25, 0
	v_cmp_eq_u32_e64 s[0:1], 0, v21
	s_waitcnt lgkmcnt(0)
	s_bitcmp1_b32 s11, 0
	s_cselect_b64 vcc, -1, 0
	s_cmp_gt_i32 s8, 0
	s_cselect_b64 s[20:21], -1, 0
	s_cmp_lt_i32 s8, 1
	s_cbranch_scc1 .LBB83_28
; %bb.7:
	s_load_dwordx4 s[12:15], s[4:5], 0x20
	v_mul_lo_u32 v29, v17, s8
	v_mov_b32_e32 v28, 0
	v_mov_b32_e32 v30, 0x100
	;; [unrolled: 1-line block ×4, first 2 shown]
	s_branch .LBB83_10
.LBB83_8:                               ;   in Loop: Header=BB83_10 Depth=1
	s_or_b64 exec, exec, s[4:5]
.LBB83_9:                               ;   in Loop: Header=BB83_10 Depth=1
	s_cmp_eq_u32 s8, s25
	v_add_u32_e32 v32, s24, v32
	s_cbranch_scc1 .LBB83_29
.LBB83_10:                              ; =>This Inner Loop Header: Depth=1
	v_cmp_gt_f32_e64 s[2:3], v9, v8
	v_cndmask_b32_e64 v16, v8, v9, s[2:3]
	v_cndmask_b32_e64 v18, v0, v1, s[2:3]
	s_waitcnt lgkmcnt(0)
	v_cndmask_b32_e64 v19, 0, 1, s[2:3]
	v_cmp_gt_f32_e64 s[2:3], v10, v16
	v_cndmask_b32_e64 v16, v16, v10, s[2:3]
	v_cndmask_b32_e64 v18, v18, v2, s[2:3]
	v_cndmask_b32_e64 v19, v19, 2, s[2:3]
	v_cmp_gt_f32_e64 s[2:3], v11, v16
	v_cndmask_b32_e64 v16, v16, v11, s[2:3]
	v_cndmask_b32_e64 v18, v18, v3, s[2:3]
	v_cndmask_b32_e64 v19, v19, 3, s[2:3]
	v_cmp_gt_f32_e64 s[2:3], v12, v16
	v_cndmask_b32_e64 v16, v16, v12, s[2:3]
	v_cndmask_b32_e64 v18, v18, v4, s[2:3]
	v_cndmask_b32_e64 v19, v19, 4, s[2:3]
	v_cmp_gt_f32_e64 s[2:3], v13, v16
	v_cndmask_b32_e64 v16, v16, v13, s[2:3]
	v_cndmask_b32_e64 v18, v18, v5, s[2:3]
	v_cndmask_b32_e64 v19, v19, 5, s[2:3]
	v_cmp_gt_f32_e64 s[2:3], v14, v16
	v_cndmask_b32_e64 v16, v16, v14, s[2:3]
	v_cndmask_b32_e64 v18, v18, v6, s[2:3]
	v_cndmask_b32_e64 v19, v19, 6, s[2:3]
	v_cmp_gt_f32_e64 s[2:3], v15, v16
	v_cndmask_b32_e64 v19, v19, 7, s[2:3]
	v_cndmask_b32_e64 v16, v16, v15, s[2:3]
	v_or_b32_e32 v19, v27, v19
	ds_bpermute_b32 v20, v22, v16
	ds_bpermute_b32 v33, v22, v19
	v_cndmask_b32_e64 v18, v18, v7, s[2:3]
	ds_bpermute_b32 v35, v22, v18
	s_waitcnt lgkmcnt(0)
	v_cmp_eq_f32_e64 s[4:5], v16, v20
	v_cmp_lt_i32_e64 s[6:7], v33, v19
	v_cmp_lt_f32_e64 s[2:3], v16, v20
	s_and_b64 s[4:5], s[4:5], s[6:7]
	s_or_b64 s[2:3], s[2:3], s[4:5]
	v_cndmask_b32_e64 v34, v19, v33, s[2:3]
	v_cndmask_b32_e64 v33, v16, v20, s[2:3]
	v_cndmask_b32_e64 v16, v18, v35, s[2:3]
	ds_bpermute_b32 v36, v23, v33
	ds_bpermute_b32 v20, v23, v16
	;; [unrolled: 1-line block ×3, first 2 shown]
                                        ; implicit-def: $vgpr18_vgpr19
	s_waitcnt lgkmcnt(2)
	v_cmp_lt_f32_e64 s[6:7], v33, v36
	v_cmp_nlt_f32_e64 s[2:3], v33, v36
	s_and_saveexec_b64 s[22:23], s[2:3]
	s_cbranch_execz .LBB83_12
; %bb.11:                               ;   in Loop: Header=BB83_10 Depth=1
	v_cmp_eq_f32_e64 s[2:3], v33, v36
	s_waitcnt lgkmcnt(0)
	v_cmp_lt_i32_e64 s[4:5], v35, v34
	s_and_b64 s[2:3], s[2:3], s[4:5]
	s_andn2_b64 s[4:5], s[6:7], exec
	s_and_b64 s[2:3], s[2:3], exec
	s_or_b64 s[6:7], s[4:5], s[2:3]
	v_pk_mov_b32 v[18:19], v[16:17], v[16:17] op_sel:[0,1]
.LBB83_12:                              ;   in Loop: Header=BB83_10 Depth=1
	s_or_b64 exec, exec, s[22:23]
	s_and_saveexec_b64 s[2:3], s[6:7]
	s_cbranch_execz .LBB83_14
; %bb.13:                               ;   in Loop: Header=BB83_10 Depth=1
	v_mov_b32_e32 v33, v36
	s_waitcnt lgkmcnt(1)
	v_mov_b32_e32 v16, v20
	s_waitcnt lgkmcnt(0)
	v_mov_b32_e32 v34, v35
	v_pk_mov_b32 v[18:19], v[20:21], v[20:21] op_sel:[0,1]
.LBB83_14:                              ;   in Loop: Header=BB83_10 Depth=1
	s_or_b64 exec, exec, s[2:3]
	s_waitcnt lgkmcnt(0)
	ds_bpermute_b32 v35, v24, v33
	ds_bpermute_b32 v20, v24, v16
	;; [unrolled: 1-line block ×3, first 2 shown]
	s_waitcnt lgkmcnt(2)
	v_cmp_lt_f32_e64 s[6:7], v33, v35
	v_cmp_nlt_f32_e64 s[2:3], v33, v35
	s_and_saveexec_b64 s[22:23], s[2:3]
	s_cbranch_execz .LBB83_16
; %bb.15:                               ;   in Loop: Header=BB83_10 Depth=1
	v_cmp_eq_f32_e64 s[2:3], v33, v35
	s_waitcnt lgkmcnt(0)
	v_cmp_lt_i32_e64 s[4:5], v19, v34
	s_and_b64 s[2:3], s[2:3], s[4:5]
	s_andn2_b64 s[4:5], s[6:7], exec
	s_and_b64 s[2:3], s[2:3], exec
	s_or_b64 s[6:7], s[4:5], s[2:3]
.LBB83_16:                              ;   in Loop: Header=BB83_10 Depth=1
	s_or_b64 exec, exec, s[22:23]
	s_and_saveexec_b64 s[2:3], s[6:7]
	s_cbranch_execz .LBB83_18
; %bb.17:                               ;   in Loop: Header=BB83_10 Depth=1
	v_mov_b32_e32 v33, v35
	s_waitcnt lgkmcnt(1)
	v_mov_b32_e32 v16, v20
	s_waitcnt lgkmcnt(0)
	v_mov_b32_e32 v34, v19
	v_pk_mov_b32 v[18:19], v[20:21], v[20:21] op_sel:[0,1]
.LBB83_18:                              ;   in Loop: Header=BB83_10 Depth=1
	s_or_b64 exec, exec, s[2:3]
	ds_bpermute_b32 v35, v25, v33
	s_waitcnt lgkmcnt(2)
	ds_bpermute_b32 v20, v25, v16
	s_waitcnt lgkmcnt(2)
	;; [unrolled: 2-line block ×3, first 2 shown]
	v_cmp_lt_f32_e64 s[6:7], v33, v35
	v_cmp_nlt_f32_e64 s[2:3], v33, v35
	s_and_saveexec_b64 s[22:23], s[2:3]
	s_cbranch_execz .LBB83_20
; %bb.19:                               ;   in Loop: Header=BB83_10 Depth=1
	v_cmp_eq_f32_e64 s[2:3], v33, v35
	s_waitcnt lgkmcnt(0)
	v_cmp_lt_i32_e64 s[4:5], v19, v34
	s_and_b64 s[2:3], s[2:3], s[4:5]
	s_andn2_b64 s[4:5], s[6:7], exec
	s_and_b64 s[2:3], s[2:3], exec
	s_or_b64 s[6:7], s[4:5], s[2:3]
.LBB83_20:                              ;   in Loop: Header=BB83_10 Depth=1
	s_or_b64 exec, exec, s[22:23]
	s_and_saveexec_b64 s[2:3], s[6:7]
	s_cbranch_execz .LBB83_22
; %bb.21:                               ;   in Loop: Header=BB83_10 Depth=1
	v_mov_b32_e32 v33, v35
	s_waitcnt lgkmcnt(1)
	v_mov_b32_e32 v16, v20
	s_waitcnt lgkmcnt(0)
	v_mov_b32_e32 v34, v19
	v_pk_mov_b32 v[18:19], v[20:21], v[20:21] op_sel:[0,1]
.LBB83_22:                              ;   in Loop: Header=BB83_10 Depth=1
	s_or_b64 exec, exec, s[2:3]
	s_waitcnt lgkmcnt(1)
	ds_bpermute_b32 v20, v26, v33
	ds_bpermute_b32 v35, v26, v34
	s_waitcnt lgkmcnt(2)
	ds_bpermute_b32 v19, v26, v16
	s_waitcnt lgkmcnt(2)
	v_cmp_eq_f32_e64 s[4:5], v33, v20
	s_waitcnt lgkmcnt(1)
	v_cmp_lt_i32_e64 s[6:7], v35, v34
	v_cmp_lt_f32_e64 s[2:3], v33, v20
	s_and_b64 s[4:5], s[4:5], s[6:7]
	s_or_b64 s[2:3], s[2:3], s[4:5]
	v_cndmask_b32_e64 v16, v34, v35, s[2:3]
	s_and_saveexec_b64 s[6:7], s[0:1]
	s_cbranch_execnz .LBB83_24
; %bb.23:                               ;   in Loop: Header=BB83_10 Depth=1
	s_or_b64 exec, exec, s[6:7]
	s_add_i32 s25, s25, 1
	s_cmp_ge_i32 s25, s8
	s_cbranch_scc1 .LBB83_9
	s_branch .LBB83_25
.LBB83_24:                              ;   in Loop: Header=BB83_10 Depth=1
	s_waitcnt lgkmcnt(0)
	v_cndmask_b32_e64 v20, v18, v19, s[2:3]
	v_add_u32_e32 v18, s25, v29
	v_ashrrev_i32_e32 v19, 31, v18
	v_cmp_le_i32_e64 s[2:3], s9, v16
	v_cmp_gt_i32_e64 s[4:5], s10, v16
	v_lshlrev_b64 v[18:19], 2, v[18:19]
	s_and_b64 s[4:5], s[2:3], s[4:5]
	v_mov_b32_e32 v33, s17
	v_add_co_u32_e64 v34, s[2:3], s16, v18
	v_addc_co_u32_e64 v35, s[2:3], v33, v19, s[2:3]
	v_subrev_u32_e32 v33, s9, v16
	s_and_b64 s[2:3], s[18:19], s[4:5]
	global_store_dword v[34:35], v20, off
	v_cndmask_b32_e64 v33, v30, v33, s[2:3]
	v_mov_b32_e32 v35, s13
	v_add_co_u32_e64 v34, s[2:3], s12, v18
	v_addc_co_u32_e64 v35, s[2:3], v35, v19, s[2:3]
	global_store_dword v[34:35], v33, off
	v_mov_b32_e32 v33, s15
	v_add_co_u32_e64 v18, s[2:3], s14, v18
	v_addc_co_u32_e64 v19, s[2:3], v33, v19, s[2:3]
	global_store_dword v[18:19], v32, off
	v_add_f32_e32 v18, v28, v20
	v_cndmask_b32_e32 v28, v28, v18, vcc
	s_or_b64 exec, exec, s[6:7]
	s_add_i32 s25, s25, 1
	s_cmp_ge_i32 s25, s8
	s_cbranch_scc1 .LBB83_9
.LBB83_25:                              ;   in Loop: Header=BB83_10 Depth=1
	v_ashrrev_i32_e32 v18, 31, v16
	s_waitcnt lgkmcnt(0)
	v_lshrrev_b32_e32 v19, 29, v18
	v_add_u32_e32 v20, v16, v19
	v_ashrrev_i32_e32 v19, 3, v20
	v_ashrrev_i32_e32 v20, 31, v20
	v_lshrrev_b32_e32 v20, 27, v20
	v_add_u32_e32 v20, v19, v20
	v_and_b32_e32 v20, 0xffffffe0, v20
	v_sub_u32_e32 v20, v19, v20
	v_cmp_eq_u32_e64 s[2:3], v21, v20
	s_and_saveexec_b64 s[4:5], s[2:3]
	s_cbranch_execz .LBB83_8
; %bb.26:                               ;   in Loop: Header=BB83_10 Depth=1
	v_add_u32_sdwa v18, v16, v18 dst_sel:DWORD dst_unused:UNUSED_PAD src0_sel:DWORD src1_sel:BYTE_3
	v_lshlrev_b32_e32 v19, 3, v19
	v_ashrrev_i32_e32 v18, 8, v18
	v_sub_u32_e32 v16, v16, v19
	v_lshl_add_u32 v16, v18, 3, v16
	v_cmp_ne_u32_e64 s[2:3], 7, v16
	v_cndmask_b32_e64 v15, v31, v15, s[2:3]
	v_cmp_ne_u32_e64 s[2:3], 6, v16
	v_cndmask_b32_e64 v14, v31, v14, s[2:3]
	;; [unrolled: 2-line block ×8, first 2 shown]
	s_branch .LBB83_8
.LBB83_27:
                                        ; implicit-def: $vgpr8_vgpr9_vgpr10_vgpr11_vgpr12_vgpr13_vgpr14_vgpr15
	s_andn2_b64 vcc, exec, s[6:7]
	s_cbranch_vccz .LBB83_5
	s_branch .LBB83_6
.LBB83_28:
	v_mov_b32_e32 v28, 0
.LBB83_29:
	v_cmp_eq_u32_e64 s[0:1], 0, v21
	s_and_b64 s[0:1], s[0:1], vcc
	s_and_b64 exec, exec, s[0:1]
	s_cbranch_execz .LBB83_38
; %bb.30:
	s_andn2_b64 vcc, exec, s[20:21]
	s_cbranch_vccnz .LBB83_38
; %bb.31:
	v_cmp_lt_f32_e32 vcc, 0, v28
	s_mov_b32 s2, 0
	v_cndmask_b32_e32 v0, 1.0, v28, vcc
	v_mul_lo_u32 v4, v17, s8
	s_cmp_eq_u32 s8, 1
	s_mov_b64 s[0:1], -1
	s_cbranch_scc1 .LBB83_35
; %bb.32:
	s_and_b32 s2, s8, 0x7ffffffe
	v_mov_b32_e32 v1, v0
	v_mov_b32_e32 v5, s17
	s_mov_b32 s3, s2
	v_mov_b32_e32 v2, v4
.LBB83_33:                              ; =>This Inner Loop Header: Depth=1
	v_ashrrev_i32_e32 v3, 31, v2
	v_lshlrev_b64 v[6:7], 2, v[2:3]
	v_add_co_u32_e32 v6, vcc, s16, v6
	v_addc_co_u32_e32 v7, vcc, v5, v7, vcc
	global_load_dwordx2 v[8:9], v[6:7], off
	s_add_i32 s3, s3, -2
	s_cmp_lg_u32 s3, 0
	v_add_u32_e32 v2, 2, v2
	s_waitcnt vmcnt(0)
	v_div_scale_f32 v3, s[0:1], v1, v1, v9
	v_div_scale_f32 v11, s[0:1], v0, v0, v8
	v_rcp_f32_e32 v12, v3
	v_rcp_f32_e32 v13, v11
	v_div_scale_f32 v10, vcc, v9, v1, v9
	v_fma_f32 v15, -v3, v12, 1.0
	v_fma_f32 v16, -v11, v13, 1.0
	v_fmac_f32_e32 v12, v15, v12
	v_div_scale_f32 v14, s[0:1], v8, v0, v8
	v_fmac_f32_e32 v13, v16, v13
	v_mul_f32_e32 v15, v10, v12
	v_mul_f32_e32 v16, v14, v13
	v_fma_f32 v17, -v3, v15, v10
	v_fma_f32 v18, -v11, v16, v14
	v_fmac_f32_e32 v15, v17, v12
	v_fmac_f32_e32 v16, v18, v13
	v_fma_f32 v3, -v3, v15, v10
	v_fma_f32 v10, -v11, v16, v14
	v_div_fmas_f32 v3, v3, v12, v15
	s_mov_b64 vcc, s[0:1]
	v_div_fixup_f32 v9, v3, v1, v9
	v_div_fmas_f32 v3, v10, v13, v16
	v_div_fixup_f32 v8, v3, v0, v8
	global_store_dwordx2 v[6:7], v[8:9], off
	s_cbranch_scc1 .LBB83_33
; %bb.34:
	s_cmp_lg_u32 s2, s8
	s_cselect_b64 s[0:1], -1, 0
.LBB83_35:
	s_and_b64 vcc, exec, s[0:1]
	s_cbranch_vccz .LBB83_38
; %bb.36:
	v_ashrrev_i32_e32 v1, 31, v4
	v_add_co_u32_e32 v2, vcc, s2, v4
	v_addc_co_u32_e32 v3, vcc, 0, v1, vcc
	v_lshlrev_b64 v[2:3], 2, v[2:3]
	v_mov_b32_e32 v1, s17
	v_add_co_u32_e32 v2, vcc, s16, v2
	s_sub_i32 s0, s8, s2
	v_addc_co_u32_e32 v3, vcc, v1, v3, vcc
.LBB83_37:                              ; =>This Inner Loop Header: Depth=1
	global_load_dword v1, v[2:3], off
	s_add_i32 s0, s0, -1
	s_cmp_lg_u32 s0, 0
	s_waitcnt vmcnt(0)
	v_div_scale_f32 v4, s[2:3], v0, v0, v1
	v_rcp_f32_e32 v5, v4
	v_div_scale_f32 v6, vcc, v1, v0, v1
	v_fma_f32 v7, -v4, v5, 1.0
	v_fmac_f32_e32 v5, v7, v5
	v_mul_f32_e32 v7, v6, v5
	v_fma_f32 v8, -v4, v7, v6
	v_fmac_f32_e32 v7, v8, v5
	v_fma_f32 v4, -v4, v7, v6
	v_div_fmas_f32 v4, v4, v5, v7
	v_div_fixup_f32 v1, v4, v0, v1
	global_store_dword v[2:3], v1, off
	v_add_co_u32_e32 v2, vcc, 4, v2
	v_addc_co_u32_e32 v3, vcc, 0, v3, vcc
	s_cbranch_scc1 .LBB83_37
.LBB83_38:
	s_endpgm
	.section	.rodata,"a",@progbits
	.p2align	6, 0x0
	.amdhsa_kernel _ZN4vllm3moe10topkGatingILi8ELi256ELi4ELi16ELi32Ei6__halfLNS0_11ScoringFuncE0EEEvPKT5_PKbPfiPT4_PiiiibPKf
		.amdhsa_group_segment_fixed_size 0
		.amdhsa_private_segment_fixed_size 0
		.amdhsa_kernarg_size 72
		.amdhsa_user_sgpr_count 6
		.amdhsa_user_sgpr_private_segment_buffer 1
		.amdhsa_user_sgpr_dispatch_ptr 0
		.amdhsa_user_sgpr_queue_ptr 0
		.amdhsa_user_sgpr_kernarg_segment_ptr 1
		.amdhsa_user_sgpr_dispatch_id 0
		.amdhsa_user_sgpr_flat_scratch_init 0
		.amdhsa_user_sgpr_kernarg_preload_length 0
		.amdhsa_user_sgpr_kernarg_preload_offset 0
		.amdhsa_user_sgpr_private_segment_size 0
		.amdhsa_uses_dynamic_stack 0
		.amdhsa_system_sgpr_private_segment_wavefront_offset 0
		.amdhsa_system_sgpr_workgroup_id_x 1
		.amdhsa_system_sgpr_workgroup_id_y 0
		.amdhsa_system_sgpr_workgroup_id_z 0
		.amdhsa_system_sgpr_workgroup_info 0
		.amdhsa_system_vgpr_workitem_id 1
		.amdhsa_next_free_vgpr 37
		.amdhsa_next_free_sgpr 26
		.amdhsa_accum_offset 40
		.amdhsa_reserve_vcc 1
		.amdhsa_reserve_flat_scratch 0
		.amdhsa_float_round_mode_32 0
		.amdhsa_float_round_mode_16_64 0
		.amdhsa_float_denorm_mode_32 3
		.amdhsa_float_denorm_mode_16_64 3
		.amdhsa_dx10_clamp 1
		.amdhsa_ieee_mode 1
		.amdhsa_fp16_overflow 0
		.amdhsa_tg_split 0
		.amdhsa_exception_fp_ieee_invalid_op 0
		.amdhsa_exception_fp_denorm_src 0
		.amdhsa_exception_fp_ieee_div_zero 0
		.amdhsa_exception_fp_ieee_overflow 0
		.amdhsa_exception_fp_ieee_underflow 0
		.amdhsa_exception_fp_ieee_inexact 0
		.amdhsa_exception_int_div_zero 0
	.end_amdhsa_kernel
	.section	.text._ZN4vllm3moe10topkGatingILi8ELi256ELi4ELi16ELi32Ei6__halfLNS0_11ScoringFuncE0EEEvPKT5_PKbPfiPT4_PiiiibPKf,"axG",@progbits,_ZN4vllm3moe10topkGatingILi8ELi256ELi4ELi16ELi32Ei6__halfLNS0_11ScoringFuncE0EEEvPKT5_PKbPfiPT4_PiiiibPKf,comdat
.Lfunc_end83:
	.size	_ZN4vllm3moe10topkGatingILi8ELi256ELi4ELi16ELi32Ei6__halfLNS0_11ScoringFuncE0EEEvPKT5_PKbPfiPT4_PiiiibPKf, .Lfunc_end83-_ZN4vllm3moe10topkGatingILi8ELi256ELi4ELi16ELi32Ei6__halfLNS0_11ScoringFuncE0EEEvPKT5_PKbPfiPT4_PiiiibPKf
                                        ; -- End function
	.section	.AMDGPU.csdata,"",@progbits
; Kernel info:
; codeLenInByte = 3336
; NumSgprs: 30
; NumVgprs: 37
; NumAgprs: 0
; TotalNumVgprs: 37
; ScratchSize: 0
; MemoryBound: 0
; FloatMode: 240
; IeeeMode: 1
; LDSByteSize: 0 bytes/workgroup (compile time only)
; SGPRBlocks: 3
; VGPRBlocks: 4
; NumSGPRsForWavesPerEU: 30
; NumVGPRsForWavesPerEU: 37
; AccumOffset: 40
; Occupancy: 8
; WaveLimiterHint : 0
; COMPUTE_PGM_RSRC2:SCRATCH_EN: 0
; COMPUTE_PGM_RSRC2:USER_SGPR: 6
; COMPUTE_PGM_RSRC2:TRAP_HANDLER: 0
; COMPUTE_PGM_RSRC2:TGID_X_EN: 1
; COMPUTE_PGM_RSRC2:TGID_Y_EN: 0
; COMPUTE_PGM_RSRC2:TGID_Z_EN: 0
; COMPUTE_PGM_RSRC2:TIDIG_COMP_CNT: 1
; COMPUTE_PGM_RSRC3_GFX90A:ACCUM_OFFSET: 9
; COMPUTE_PGM_RSRC3_GFX90A:TG_SPLIT: 0
	.section	.text._ZN4vllm3moe10topkGatingILi8ELi512ELi4ELi16ELi64Ei6__halfLNS0_11ScoringFuncE0EEEvPKT5_PKbPfiPT4_PiiiibPKf,"axG",@progbits,_ZN4vllm3moe10topkGatingILi8ELi512ELi4ELi16ELi64Ei6__halfLNS0_11ScoringFuncE0EEEvPKT5_PKbPfiPT4_PiiiibPKf,comdat
	.protected	_ZN4vllm3moe10topkGatingILi8ELi512ELi4ELi16ELi64Ei6__halfLNS0_11ScoringFuncE0EEEvPKT5_PKbPfiPT4_PiiiibPKf ; -- Begin function _ZN4vllm3moe10topkGatingILi8ELi512ELi4ELi16ELi64Ei6__halfLNS0_11ScoringFuncE0EEEvPKT5_PKbPfiPT4_PiiiibPKf
	.globl	_ZN4vllm3moe10topkGatingILi8ELi512ELi4ELi16ELi64Ei6__halfLNS0_11ScoringFuncE0EEEvPKT5_PKbPfiPT4_PiiiibPKf
	.p2align	8
	.type	_ZN4vllm3moe10topkGatingILi8ELi512ELi4ELi16ELi64Ei6__halfLNS0_11ScoringFuncE0EEEvPKT5_PKbPfiPT4_PiiiibPKf,@function
_ZN4vllm3moe10topkGatingILi8ELi512ELi4ELi16ELi64Ei6__halfLNS0_11ScoringFuncE0EEEvPKT5_PKbPfiPT4_PiiiibPKf: ; @_ZN4vllm3moe10topkGatingILi8ELi512ELi4ELi16ELi64Ei6__halfLNS0_11ScoringFuncE0EEEvPKT5_PKbPfiPT4_PiiiibPKf
; %bb.0:
	s_load_dword s24, s[4:5], 0x18
	v_and_b32_e32 v1, 0x3ff, v0
	s_lshl_b32 s0, s6, 2
	v_lshrrev_b32_e32 v2, 6, v1
	v_bfe_u32 v0, v0, 10, 10
	v_add3_u32 v17, s0, v0, v2
	s_waitcnt lgkmcnt(0)
	v_cmp_gt_i32_e32 vcc, s24, v17
	s_and_saveexec_b64 s[0:1], vcc
	s_cbranch_execz .LBB84_42
; %bb.1:
	s_load_dwordx4 s[0:3], s[4:5], 0x0
	s_load_dwordx2 s[16:17], s[4:5], 0x10
	s_mov_b64 s[6:7], -1
	s_mov_b64 s[18:19], -1
	s_waitcnt lgkmcnt(0)
	s_cmp_eq_u64 s[2:3], 0
	s_cbranch_scc1 .LBB84_3
; %bb.2:
	v_ashrrev_i32_e32 v0, 31, v17
	v_mov_b32_e32 v3, s3
	v_add_co_u32_e32 v2, vcc, s2, v17
	v_addc_co_u32_e32 v3, vcc, v3, v0, vcc
	global_load_ubyte v0, v[2:3], off
	s_waitcnt vmcnt(0)
	v_and_b32_e32 v0, 1, v0
	v_cmp_eq_u32_e32 vcc, 1, v0
	s_xor_b64 s[2:3], vcc, -1
	s_orn2_b64 s[18:19], s[2:3], exec
.LBB84_3:
	v_lshlrev_b32_e32 v2, 9, v17
	v_ashrrev_i32_e32 v3, 31, v2
	v_lshlrev_b64 v[2:3], 1, v[2:3]
	v_mov_b32_e32 v0, s1
	v_add_co_u32_e32 v2, vcc, s0, v2
	v_and_b32_e32 v21, 63, v1
	v_addc_co_u32_e32 v3, vcc, v0, v3, vcc
	v_lshlrev_b32_e32 v0, 4, v21
	v_add_co_u32_e32 v0, vcc, v2, v0
	v_addc_co_u32_e32 v1, vcc, 0, v3, vcc
	global_load_dwordx4 v[0:3], v[0:1], off
	v_mbcnt_lo_u32_b32 v4, -1, 0
	v_mbcnt_hi_u32_b32 v6, -1, v4
	v_and_b32_e32 v4, 64, v6
	v_xor_b32_e32 v5, 32, v6
	v_add_u32_e32 v7, 64, v4
	v_cmp_lt_i32_e32 vcc, v5, v7
	v_cndmask_b32_e32 v4, v6, v5, vcc
	v_lshlrev_b32_e32 v22, 2, v4
	v_xor_b32_e32 v12, 16, v6
	v_cmp_lt_i32_e32 vcc, v12, v7
	v_cndmask_b32_e32 v12, v6, v12, vcc
	v_lshlrev_b32_e32 v23, 2, v12
	v_xor_b32_e32 v12, 8, v6
	;; [unrolled: 4-line block ×5, first 2 shown]
	v_cmp_lt_i32_e32 vcc, v12, v7
	v_cndmask_b32_e32 v6, v6, v12, vcc
	v_lshlrev_b32_e32 v27, 2, v6
	s_mov_b32 s2, 0x3fb8aa3b
	s_mov_b32 s0, 0xc2ce8ed0
	;; [unrolled: 1-line block ×3, first 2 shown]
	v_mov_b32_e32 v6, 0x7f800000
	s_waitcnt vmcnt(0)
	v_cvt_f32_f16_e32 v8, v0
	v_cvt_f32_f16_sdwa v9, v0 dst_sel:DWORD dst_unused:UNUSED_PAD src0_sel:WORD_1
	v_cvt_f32_f16_e32 v10, v1
	v_cvt_f32_f16_sdwa v4, v1 dst_sel:DWORD dst_unused:UNUSED_PAD src0_sel:WORD_1
	;; [unrolled: 2-line block ×3, first 2 shown]
	v_cvt_f32_f16_sdwa v11, v3 dst_sel:DWORD dst_unused:UNUSED_PAD src0_sel:WORD_1
	v_cvt_f32_f16_e32 v1, v3
	v_max_f32_e32 v2, v8, v9
	v_max3_f32 v2, v2, v10, v4
	v_max3_f32 v2, v2, v5, v0
	;; [unrolled: 1-line block ×3, first 2 shown]
	ds_bpermute_b32 v3, v22, v2
	s_waitcnt lgkmcnt(0)
	v_max_f32_e32 v3, v3, v3
	v_max_f32_e32 v2, v2, v3
	ds_bpermute_b32 v3, v23, v2
	s_waitcnt lgkmcnt(0)
	v_max_f32_e32 v3, v3, v3
	v_max_f32_e32 v2, v2, v3
	;; [unrolled: 4-line block ×6, first 2 shown]
	v_sub_f32_e32 v3, v8, v2
	v_sub_f32_e32 v7, v9, v2
	v_mul_f32_e32 v9, 0x3fb8aa3b, v3
	v_sub_f32_e32 v8, v10, v2
	v_mul_f32_e32 v10, 0x3fb8aa3b, v7
	v_fma_f32 v16, v3, s2, -v9
	v_rndne_f32_e32 v18, v9
	v_pk_add_f32 v[4:5], v[4:5], v[2:3] op_sel_hi:[1,0] neg_lo:[0,1] neg_hi:[0,1]
	v_mul_f32_e32 v12, 0x3fb8aa3b, v8
	v_fma_f32 v19, v7, s2, -v10
	v_rndne_f32_e32 v20, v10
	v_fmac_f32_e32 v16, 0x32a5705f, v3
	v_sub_f32_e32 v9, v9, v18
	v_mul_f32_e32 v13, 0x3fb8aa3b, v5
	v_fma_f32 v28, v8, s2, -v12
	v_rndne_f32_e32 v29, v12
	v_fmac_f32_e32 v19, 0x32a5705f, v7
	v_sub_f32_e32 v10, v10, v20
	v_add_f32_e32 v9, v9, v16
	v_mul_f32_e32 v14, 0x3fb8aa3b, v4
	v_fma_f32 v30, v5, s2, -v13
	v_rndne_f32_e32 v31, v13
	v_cvt_i32_f32_e32 v18, v18
	v_fmac_f32_e32 v28, 0x32a5705f, v8
	v_sub_f32_e32 v12, v12, v29
	v_add_f32_e32 v10, v10, v19
	v_exp_f32_e32 v9, v9
	v_fma_f32 v32, v4, s2, -v14
	v_rndne_f32_e32 v33, v14
	v_cvt_i32_f32_e32 v20, v20
	v_fmac_f32_e32 v30, 0x32a5705f, v5
	v_sub_f32_e32 v13, v13, v31
	v_add_f32_e32 v12, v12, v28
	v_exp_f32_e32 v10, v10
	v_cvt_i32_f32_e32 v29, v29
	v_fmac_f32_e32 v32, 0x32a5705f, v4
	v_sub_f32_e32 v14, v14, v33
	v_add_f32_e32 v13, v13, v30
	v_exp_f32_e32 v12, v12
	v_cvt_i32_f32_e32 v31, v31
	v_add_f32_e32 v14, v14, v32
	v_exp_f32_e32 v13, v13
	v_cvt_i32_f32_e32 v33, v33
	v_exp_f32_e32 v14, v14
	v_ldexp_f32 v9, v9, v18
	v_cmp_ngt_f32_e32 vcc, s0, v3
	v_ldexp_f32 v10, v10, v20
	v_cndmask_b32_e32 v9, 0, v9, vcc
	v_cmp_ngt_f32_e32 vcc, s0, v7
	v_ldexp_f32 v12, v12, v29
	v_cndmask_b32_e32 v10, 0, v10, vcc
	;; [unrolled: 3-line block ×4, first 2 shown]
	v_cmp_ngt_f32_e32 vcc, s0, v4
	v_pk_add_f32 v[0:1], v[0:1], v[2:3] op_sel_hi:[1,0] neg_lo:[0,1] neg_hi:[0,1]
	v_cndmask_b32_e32 v14, 0, v14, vcc
	v_cmp_nlt_f32_e32 vcc, s1, v3
	v_mul_f32_e32 v15, 0x3fb8aa3b, v1
	v_cndmask_b32_e32 v3, v6, v9, vcc
	v_cmp_nlt_f32_e32 vcc, s1, v7
	v_fma_f32 v34, v1, s2, -v15
	v_cndmask_b32_e32 v7, v6, v10, vcc
	v_cmp_nlt_f32_e32 vcc, s1, v8
	v_rndne_f32_e32 v10, v15
	v_cndmask_b32_e32 v8, v6, v12, vcc
	v_fmac_f32_e32 v34, 0x32a5705f, v1
	v_sub_f32_e32 v12, v15, v10
	v_add_f32_e32 v12, v12, v34
	v_exp_f32_e32 v12, v12
	v_cvt_i32_f32_e32 v10, v10
	v_cmp_nlt_f32_e32 vcc, s1, v5
	v_cndmask_b32_e32 v5, v6, v13, vcc
	v_cmp_nlt_f32_e32 vcc, s1, v4
	v_ldexp_f32 v10, v12, v10
	v_mul_f32_e32 v12, 0x3fb8aa3b, v0
	v_cndmask_b32_e32 v4, v6, v14, vcc
	v_fma_f32 v13, v0, s2, -v12
	v_rndne_f32_e32 v14, v12
	v_fmac_f32_e32 v13, 0x32a5705f, v0
	v_sub_f32_e32 v12, v12, v14
	v_add_f32_e32 v12, v12, v13
	v_exp_f32_e32 v12, v12
	v_cvt_i32_f32_e32 v13, v14
	v_cmp_ngt_f32_e32 vcc, s0, v1
	v_sub_f32_e32 v2, v11, v2
	v_cndmask_b32_e32 v10, 0, v10, vcc
	v_cmp_nlt_f32_e32 vcc, s1, v1
	v_mul_f32_e32 v11, 0x3fb8aa3b, v2
	v_cndmask_b32_e32 v1, v6, v10, vcc
	v_ldexp_f32 v10, v12, v13
	v_fma_f32 v12, v2, s2, -v11
	v_rndne_f32_e32 v13, v11
	v_fmac_f32_e32 v12, 0x32a5705f, v2
	v_sub_f32_e32 v11, v11, v13
	v_add_f32_e32 v11, v11, v12
	v_exp_f32_e32 v11, v11
	v_cvt_i32_f32_e32 v12, v13
	v_add_f32_e32 v9, v3, v7
	v_add_f32_e32 v9, v9, v8
	v_cmp_ngt_f32_e32 vcc, s0, v0
	v_add_f32_e32 v9, v9, v4
	v_cndmask_b32_e32 v10, 0, v10, vcc
	v_cmp_nlt_f32_e32 vcc, s1, v0
	v_add_f32_e32 v9, v9, v5
	v_cndmask_b32_e32 v0, v6, v10, vcc
	v_ldexp_f32 v10, v11, v12
	v_cmp_ngt_f32_e32 vcc, s0, v2
	v_add_f32_e32 v9, v9, v0
	v_cndmask_b32_e32 v10, 0, v10, vcc
	v_cmp_nlt_f32_e32 vcc, s1, v2
	v_add_f32_e32 v9, v9, v1
	v_cndmask_b32_e32 v10, v6, v10, vcc
	v_add_f32_e32 v2, v9, v10
	ds_bpermute_b32 v6, v22, v2
	s_movk_i32 s2, 0x1f8
	v_lshlrev_b32_e32 v28, 3, v21
	s_waitcnt lgkmcnt(0)
	v_add_f32_e32 v2, v2, v6
	ds_bpermute_b32 v6, v23, v2
	s_waitcnt lgkmcnt(0)
	v_add_f32_e32 v2, v2, v6
	ds_bpermute_b32 v6, v24, v2
	;; [unrolled: 3-line block ×5, first 2 shown]
	s_waitcnt lgkmcnt(0)
	v_add_f32_e32 v2, v2, v6
	v_div_scale_f32 v6, s[0:1], v2, v2, 1.0
	v_rcp_f32_e32 v9, v6
	s_load_dwordx2 s[0:1], s[4:5], 0x40
	v_fma_f32 v11, -v6, v9, 1.0
	v_fmac_f32_e32 v9, v11, v9
	v_div_scale_f32 v11, vcc, 1.0, v2, 1.0
	v_mul_f32_e32 v12, v11, v9
	v_fma_f32 v13, -v6, v12, v11
	v_fmac_f32_e32 v12, v13, v9
	v_fma_f32 v6, -v6, v12, v11
	v_div_fmas_f32 v6, v6, v9, v12
	v_div_fixup_f32 v2, v6, v2, 1.0
	v_mul_f32_e32 v3, v2, v3
	v_mul_f32_e32 v11, v2, v7
	v_cmp_class_f32_e64 vcc, v3, s2
	v_mul_f32_e32 v12, v2, v8
	v_pk_mul_f32 v[8:9], v[2:3], v[0:1] op_sel_hi:[0,1]
	v_cndmask_b32_e32 v0, 0, v3, vcc
	v_cmp_class_f32_e64 vcc, v11, s2
	v_pk_mul_f32 v[6:7], v[2:3], v[4:5] op_sel_hi:[0,1]
	v_cndmask_b32_e32 v1, 0, v11, vcc
	v_cmp_class_f32_e64 vcc, v12, s2
	v_mov_b32_e32 v5, 0x207
	v_mul_f32_e32 v10, v2, v10
	v_cndmask_b32_e32 v2, 0, v12, vcc
	v_cmp_class_f32_e32 vcc, v7, v5
	v_cndmask_b32_e64 v4, v7, 0, vcc
	v_cmp_class_f32_e32 vcc, v6, v5
	v_cndmask_b32_e64 v3, v6, 0, vcc
	v_cmp_class_f32_e32 vcc, v9, v5
	v_cndmask_b32_e64 v6, v9, 0, vcc
	v_cmp_class_f32_e32 vcc, v8, v5
	v_cndmask_b32_e64 v5, v8, 0, vcc
	v_cmp_class_f32_e64 vcc, v10, s2
	s_waitcnt lgkmcnt(0)
	s_cmp_eq_u64 s[0:1], 0
	v_cndmask_b32_e32 v7, 0, v10, vcc
	s_cbranch_scc1 .LBB84_31
; %bb.4:
	v_lshlrev_b32_e32 v16, 2, v28
	global_load_dwordx4 v[8:11], v16, s[0:1]
	global_load_dwordx4 v[12:15], v16, s[0:1] offset:16
	s_waitcnt vmcnt(1)
	v_pk_add_f32 v[8:9], v[8:9], v[0:1]
	v_pk_add_f32 v[10:11], v[10:11], v[2:3]
	s_waitcnt vmcnt(0)
	v_pk_add_f32 v[12:13], v[12:13], v[4:5]
	v_pk_add_f32 v[14:15], v[14:15], v[6:7]
	s_cbranch_execnz .LBB84_6
.LBB84_5:
	v_pk_mov_b32 v[14:15], v[6:7], v[6:7] op_sel:[0,1]
	v_pk_mov_b32 v[12:13], v[4:5], v[4:5] op_sel:[0,1]
	;; [unrolled: 1-line block ×4, first 2 shown]
.LBB84_6:
	s_load_dwordx4 s[8:11], s[4:5], 0x30
	s_mov_b32 s25, 0
	v_cmp_eq_u32_e64 s[0:1], 0, v21
	s_waitcnt lgkmcnt(0)
	s_bitcmp1_b32 s11, 0
	s_cselect_b64 vcc, -1, 0
	s_cmp_gt_i32 s8, 0
	s_cselect_b64 s[20:21], -1, 0
	s_cmp_lt_i32 s8, 1
	s_cbranch_scc1 .LBB84_32
; %bb.7:
	s_load_dwordx4 s[12:15], s[4:5], 0x20
	v_mul_lo_u32 v30, v17, s8
	v_mov_b32_e32 v29, 0
	v_mov_b32_e32 v31, 0x200
	v_mov_b32_e32 v32, 0xc61c4000
	v_mov_b32_e32 v33, v17
	s_branch .LBB84_10
.LBB84_8:                               ;   in Loop: Header=BB84_10 Depth=1
	s_or_b64 exec, exec, s[4:5]
.LBB84_9:                               ;   in Loop: Header=BB84_10 Depth=1
	s_cmp_eq_u32 s8, s25
	v_add_u32_e32 v33, s24, v33
	s_cbranch_scc1 .LBB84_33
.LBB84_10:                              ; =>This Inner Loop Header: Depth=1
	v_cmp_gt_f32_e64 s[2:3], v9, v8
	v_cndmask_b32_e64 v16, v8, v9, s[2:3]
	v_cndmask_b32_e64 v18, v0, v1, s[2:3]
	s_waitcnt lgkmcnt(0)
	v_cndmask_b32_e64 v19, 0, 1, s[2:3]
	v_cmp_gt_f32_e64 s[2:3], v10, v16
	v_cndmask_b32_e64 v16, v16, v10, s[2:3]
	v_cndmask_b32_e64 v18, v18, v2, s[2:3]
	v_cndmask_b32_e64 v19, v19, 2, s[2:3]
	v_cmp_gt_f32_e64 s[2:3], v11, v16
	v_cndmask_b32_e64 v16, v16, v11, s[2:3]
	v_cndmask_b32_e64 v18, v18, v3, s[2:3]
	;; [unrolled: 4-line block ×6, first 2 shown]
	v_or_b32_e32 v19, v28, v19
	ds_bpermute_b32 v20, v22, v16
	ds_bpermute_b32 v34, v22, v19
	v_cndmask_b32_e64 v18, v18, v7, s[2:3]
	ds_bpermute_b32 v36, v22, v18
	s_waitcnt lgkmcnt(0)
	v_cmp_eq_f32_e64 s[4:5], v16, v20
	v_cmp_lt_i32_e64 s[6:7], v34, v19
	v_cmp_lt_f32_e64 s[2:3], v16, v20
	s_and_b64 s[4:5], s[4:5], s[6:7]
	s_or_b64 s[2:3], s[2:3], s[4:5]
	v_cndmask_b32_e64 v35, v19, v34, s[2:3]
	v_cndmask_b32_e64 v34, v16, v20, s[2:3]
	;; [unrolled: 1-line block ×3, first 2 shown]
	ds_bpermute_b32 v37, v23, v34
	ds_bpermute_b32 v20, v23, v16
	;; [unrolled: 1-line block ×3, first 2 shown]
                                        ; implicit-def: $vgpr18_vgpr19
	s_waitcnt lgkmcnt(2)
	v_cmp_lt_f32_e64 s[6:7], v34, v37
	v_cmp_nlt_f32_e64 s[2:3], v34, v37
	s_and_saveexec_b64 s[22:23], s[2:3]
	s_cbranch_execz .LBB84_12
; %bb.11:                               ;   in Loop: Header=BB84_10 Depth=1
	v_cmp_eq_f32_e64 s[2:3], v34, v37
	s_waitcnt lgkmcnt(0)
	v_cmp_lt_i32_e64 s[4:5], v36, v35
	s_and_b64 s[2:3], s[2:3], s[4:5]
	s_andn2_b64 s[4:5], s[6:7], exec
	s_and_b64 s[2:3], s[2:3], exec
	s_or_b64 s[6:7], s[4:5], s[2:3]
	v_pk_mov_b32 v[18:19], v[16:17], v[16:17] op_sel:[0,1]
.LBB84_12:                              ;   in Loop: Header=BB84_10 Depth=1
	s_or_b64 exec, exec, s[22:23]
	s_and_saveexec_b64 s[2:3], s[6:7]
	s_cbranch_execz .LBB84_14
; %bb.13:                               ;   in Loop: Header=BB84_10 Depth=1
	v_mov_b32_e32 v34, v37
	s_waitcnt lgkmcnt(1)
	v_mov_b32_e32 v16, v20
	s_waitcnt lgkmcnt(0)
	v_mov_b32_e32 v35, v36
	v_pk_mov_b32 v[18:19], v[20:21], v[20:21] op_sel:[0,1]
.LBB84_14:                              ;   in Loop: Header=BB84_10 Depth=1
	s_or_b64 exec, exec, s[2:3]
	s_waitcnt lgkmcnt(0)
	ds_bpermute_b32 v36, v24, v34
	ds_bpermute_b32 v20, v24, v16
	;; [unrolled: 1-line block ×3, first 2 shown]
	s_waitcnt lgkmcnt(2)
	v_cmp_lt_f32_e64 s[6:7], v34, v36
	v_cmp_nlt_f32_e64 s[2:3], v34, v36
	s_and_saveexec_b64 s[22:23], s[2:3]
	s_cbranch_execz .LBB84_16
; %bb.15:                               ;   in Loop: Header=BB84_10 Depth=1
	v_cmp_eq_f32_e64 s[2:3], v34, v36
	s_waitcnt lgkmcnt(0)
	v_cmp_lt_i32_e64 s[4:5], v19, v35
	s_and_b64 s[2:3], s[2:3], s[4:5]
	s_andn2_b64 s[4:5], s[6:7], exec
	s_and_b64 s[2:3], s[2:3], exec
	s_or_b64 s[6:7], s[4:5], s[2:3]
.LBB84_16:                              ;   in Loop: Header=BB84_10 Depth=1
	s_or_b64 exec, exec, s[22:23]
	s_and_saveexec_b64 s[2:3], s[6:7]
	s_cbranch_execz .LBB84_18
; %bb.17:                               ;   in Loop: Header=BB84_10 Depth=1
	v_mov_b32_e32 v34, v36
	s_waitcnt lgkmcnt(1)
	v_mov_b32_e32 v16, v20
	s_waitcnt lgkmcnt(0)
	v_mov_b32_e32 v35, v19
	v_pk_mov_b32 v[18:19], v[20:21], v[20:21] op_sel:[0,1]
.LBB84_18:                              ;   in Loop: Header=BB84_10 Depth=1
	s_or_b64 exec, exec, s[2:3]
	ds_bpermute_b32 v36, v25, v34
	s_waitcnt lgkmcnt(2)
	ds_bpermute_b32 v20, v25, v16
	s_waitcnt lgkmcnt(2)
	;; [unrolled: 2-line block ×3, first 2 shown]
	v_cmp_lt_f32_e64 s[6:7], v34, v36
	v_cmp_nlt_f32_e64 s[2:3], v34, v36
	s_and_saveexec_b64 s[22:23], s[2:3]
	s_cbranch_execz .LBB84_20
; %bb.19:                               ;   in Loop: Header=BB84_10 Depth=1
	v_cmp_eq_f32_e64 s[2:3], v34, v36
	s_waitcnt lgkmcnt(0)
	v_cmp_lt_i32_e64 s[4:5], v19, v35
	s_and_b64 s[2:3], s[2:3], s[4:5]
	s_andn2_b64 s[4:5], s[6:7], exec
	s_and_b64 s[2:3], s[2:3], exec
	s_or_b64 s[6:7], s[4:5], s[2:3]
.LBB84_20:                              ;   in Loop: Header=BB84_10 Depth=1
	s_or_b64 exec, exec, s[22:23]
	s_and_saveexec_b64 s[2:3], s[6:7]
	s_cbranch_execz .LBB84_22
; %bb.21:                               ;   in Loop: Header=BB84_10 Depth=1
	v_mov_b32_e32 v34, v36
	s_waitcnt lgkmcnt(1)
	v_mov_b32_e32 v16, v20
	s_waitcnt lgkmcnt(0)
	v_mov_b32_e32 v35, v19
	v_pk_mov_b32 v[18:19], v[20:21], v[20:21] op_sel:[0,1]
.LBB84_22:                              ;   in Loop: Header=BB84_10 Depth=1
	s_or_b64 exec, exec, s[2:3]
	ds_bpermute_b32 v36, v26, v34
	s_waitcnt lgkmcnt(2)
	ds_bpermute_b32 v20, v26, v16
	s_waitcnt lgkmcnt(2)
	;; [unrolled: 2-line block ×3, first 2 shown]
	v_cmp_lt_f32_e64 s[6:7], v34, v36
	v_cmp_nlt_f32_e64 s[2:3], v34, v36
	s_and_saveexec_b64 s[22:23], s[2:3]
	s_cbranch_execz .LBB84_24
; %bb.23:                               ;   in Loop: Header=BB84_10 Depth=1
	v_cmp_eq_f32_e64 s[2:3], v34, v36
	s_waitcnt lgkmcnt(0)
	v_cmp_lt_i32_e64 s[4:5], v19, v35
	s_and_b64 s[2:3], s[2:3], s[4:5]
	s_andn2_b64 s[4:5], s[6:7], exec
	s_and_b64 s[2:3], s[2:3], exec
	s_or_b64 s[6:7], s[4:5], s[2:3]
.LBB84_24:                              ;   in Loop: Header=BB84_10 Depth=1
	s_or_b64 exec, exec, s[22:23]
	s_and_saveexec_b64 s[2:3], s[6:7]
	s_cbranch_execz .LBB84_26
; %bb.25:                               ;   in Loop: Header=BB84_10 Depth=1
	v_mov_b32_e32 v34, v36
	s_waitcnt lgkmcnt(1)
	v_mov_b32_e32 v16, v20
	s_waitcnt lgkmcnt(0)
	v_mov_b32_e32 v35, v19
	v_pk_mov_b32 v[18:19], v[20:21], v[20:21] op_sel:[0,1]
.LBB84_26:                              ;   in Loop: Header=BB84_10 Depth=1
	s_or_b64 exec, exec, s[2:3]
	s_waitcnt lgkmcnt(1)
	ds_bpermute_b32 v20, v27, v34
	ds_bpermute_b32 v36, v27, v35
	s_waitcnt lgkmcnt(2)
	ds_bpermute_b32 v19, v27, v16
	s_waitcnt lgkmcnt(2)
	v_cmp_eq_f32_e64 s[4:5], v34, v20
	s_waitcnt lgkmcnt(1)
	v_cmp_lt_i32_e64 s[6:7], v36, v35
	v_cmp_lt_f32_e64 s[2:3], v34, v20
	s_and_b64 s[4:5], s[4:5], s[6:7]
	s_or_b64 s[2:3], s[2:3], s[4:5]
	v_cndmask_b32_e64 v16, v35, v36, s[2:3]
	s_and_saveexec_b64 s[6:7], s[0:1]
	s_cbranch_execnz .LBB84_28
; %bb.27:                               ;   in Loop: Header=BB84_10 Depth=1
	s_or_b64 exec, exec, s[6:7]
	s_add_i32 s25, s25, 1
	s_cmp_ge_i32 s25, s8
	s_cbranch_scc1 .LBB84_9
	s_branch .LBB84_29
.LBB84_28:                              ;   in Loop: Header=BB84_10 Depth=1
	s_waitcnt lgkmcnt(0)
	v_cndmask_b32_e64 v20, v18, v19, s[2:3]
	v_add_u32_e32 v18, s25, v30
	v_ashrrev_i32_e32 v19, 31, v18
	v_cmp_le_i32_e64 s[2:3], s9, v16
	v_cmp_gt_i32_e64 s[4:5], s10, v16
	v_lshlrev_b64 v[18:19], 2, v[18:19]
	s_and_b64 s[4:5], s[2:3], s[4:5]
	v_mov_b32_e32 v35, s17
	v_add_co_u32_e64 v34, s[2:3], s16, v18
	v_addc_co_u32_e64 v35, s[2:3], v35, v19, s[2:3]
	global_store_dword v[34:35], v20, off
	v_subrev_u32_e32 v34, s9, v16
	s_and_b64 s[2:3], s[18:19], s[4:5]
	v_cndmask_b32_e64 v36, v31, v34, s[2:3]
	v_mov_b32_e32 v35, s13
	v_add_co_u32_e64 v34, s[2:3], s12, v18
	v_addc_co_u32_e64 v35, s[2:3], v35, v19, s[2:3]
	global_store_dword v[34:35], v36, off
	v_mov_b32_e32 v34, s15
	v_add_co_u32_e64 v18, s[2:3], s14, v18
	v_addc_co_u32_e64 v19, s[2:3], v34, v19, s[2:3]
	global_store_dword v[18:19], v33, off
	v_add_f32_e32 v18, v29, v20
	v_cndmask_b32_e32 v29, v29, v18, vcc
	s_or_b64 exec, exec, s[6:7]
	s_add_i32 s25, s25, 1
	s_cmp_ge_i32 s25, s8
	s_cbranch_scc1 .LBB84_9
.LBB84_29:                              ;   in Loop: Header=BB84_10 Depth=1
	s_waitcnt lgkmcnt(0)
	v_ashrrev_i32_e32 v19, 31, v16
	v_lshrrev_b32_e32 v18, 29, v19
	v_add_u32_e32 v20, v16, v18
	v_ashrrev_i32_e32 v18, 3, v20
	v_ashrrev_i32_e32 v20, 31, v20
	v_lshrrev_b32_e32 v20, 26, v20
	v_add_u32_e32 v20, v18, v20
	v_and_b32_e32 v20, 0xffffffc0, v20
	v_sub_u32_e32 v20, v18, v20
	v_cmp_eq_u32_e64 s[2:3], v21, v20
	s_and_saveexec_b64 s[4:5], s[2:3]
	s_cbranch_execz .LBB84_8
; %bb.30:                               ;   in Loop: Header=BB84_10 Depth=1
	v_lshrrev_b32_e32 v19, 23, v19
	v_add_u32_e32 v19, v16, v19
	v_lshlrev_b32_e32 v18, 3, v18
	v_ashrrev_i32_e32 v19, 9, v19
	v_sub_u32_e32 v16, v16, v18
	v_lshl_add_u32 v16, v19, 3, v16
	v_cmp_ne_u32_e64 s[2:3], 7, v16
	v_cndmask_b32_e64 v15, v32, v15, s[2:3]
	v_cmp_ne_u32_e64 s[2:3], 6, v16
	v_cndmask_b32_e64 v14, v32, v14, s[2:3]
	;; [unrolled: 2-line block ×8, first 2 shown]
	s_branch .LBB84_8
.LBB84_31:
                                        ; implicit-def: $vgpr8_vgpr9_vgpr10_vgpr11_vgpr12_vgpr13_vgpr14_vgpr15
	s_andn2_b64 vcc, exec, s[6:7]
	s_cbranch_vccz .LBB84_5
	s_branch .LBB84_6
.LBB84_32:
	v_mov_b32_e32 v29, 0
.LBB84_33:
	v_cmp_eq_u32_e64 s[0:1], 0, v21
	s_and_b64 s[0:1], s[0:1], vcc
	s_and_b64 exec, exec, s[0:1]
	s_cbranch_execz .LBB84_42
; %bb.34:
	s_andn2_b64 vcc, exec, s[20:21]
	s_cbranch_vccnz .LBB84_42
; %bb.35:
	v_cmp_lt_f32_e32 vcc, 0, v29
	s_mov_b32 s2, 0
	v_cndmask_b32_e32 v0, 1.0, v29, vcc
	v_mul_lo_u32 v4, v17, s8
	s_cmp_eq_u32 s8, 1
	s_mov_b64 s[0:1], -1
	s_cbranch_scc1 .LBB84_39
; %bb.36:
	s_and_b32 s2, s8, 0x7ffffffe
	v_mov_b32_e32 v1, v0
	v_mov_b32_e32 v5, s17
	s_mov_b32 s3, s2
	v_mov_b32_e32 v2, v4
.LBB84_37:                              ; =>This Inner Loop Header: Depth=1
	v_ashrrev_i32_e32 v3, 31, v2
	v_lshlrev_b64 v[6:7], 2, v[2:3]
	v_add_co_u32_e32 v6, vcc, s16, v6
	v_addc_co_u32_e32 v7, vcc, v5, v7, vcc
	global_load_dwordx2 v[8:9], v[6:7], off
	s_add_i32 s3, s3, -2
	s_cmp_lg_u32 s3, 0
	v_add_u32_e32 v2, 2, v2
	s_waitcnt vmcnt(0)
	v_div_scale_f32 v3, s[0:1], v1, v1, v9
	v_div_scale_f32 v11, s[0:1], v0, v0, v8
	v_rcp_f32_e32 v12, v3
	v_rcp_f32_e32 v13, v11
	v_div_scale_f32 v10, vcc, v9, v1, v9
	v_fma_f32 v15, -v3, v12, 1.0
	v_fma_f32 v16, -v11, v13, 1.0
	v_fmac_f32_e32 v12, v15, v12
	v_div_scale_f32 v14, s[0:1], v8, v0, v8
	v_fmac_f32_e32 v13, v16, v13
	v_mul_f32_e32 v15, v10, v12
	v_mul_f32_e32 v16, v14, v13
	v_fma_f32 v17, -v3, v15, v10
	v_fma_f32 v18, -v11, v16, v14
	v_fmac_f32_e32 v15, v17, v12
	v_fmac_f32_e32 v16, v18, v13
	v_fma_f32 v3, -v3, v15, v10
	v_fma_f32 v10, -v11, v16, v14
	v_div_fmas_f32 v3, v3, v12, v15
	s_mov_b64 vcc, s[0:1]
	v_div_fixup_f32 v9, v3, v1, v9
	v_div_fmas_f32 v3, v10, v13, v16
	v_div_fixup_f32 v8, v3, v0, v8
	global_store_dwordx2 v[6:7], v[8:9], off
	s_cbranch_scc1 .LBB84_37
; %bb.38:
	s_cmp_lg_u32 s2, s8
	s_cselect_b64 s[0:1], -1, 0
.LBB84_39:
	s_and_b64 vcc, exec, s[0:1]
	s_cbranch_vccz .LBB84_42
; %bb.40:
	v_ashrrev_i32_e32 v1, 31, v4
	v_add_co_u32_e32 v2, vcc, s2, v4
	v_addc_co_u32_e32 v3, vcc, 0, v1, vcc
	v_lshlrev_b64 v[2:3], 2, v[2:3]
	v_mov_b32_e32 v1, s17
	v_add_co_u32_e32 v2, vcc, s16, v2
	s_sub_i32 s0, s8, s2
	v_addc_co_u32_e32 v3, vcc, v1, v3, vcc
.LBB84_41:                              ; =>This Inner Loop Header: Depth=1
	global_load_dword v1, v[2:3], off
	s_add_i32 s0, s0, -1
	s_cmp_lg_u32 s0, 0
	s_waitcnt vmcnt(0)
	v_div_scale_f32 v4, s[2:3], v0, v0, v1
	v_rcp_f32_e32 v5, v4
	v_div_scale_f32 v6, vcc, v1, v0, v1
	v_fma_f32 v7, -v4, v5, 1.0
	v_fmac_f32_e32 v5, v7, v5
	v_mul_f32_e32 v7, v6, v5
	v_fma_f32 v8, -v4, v7, v6
	v_fmac_f32_e32 v7, v8, v5
	v_fma_f32 v4, -v4, v7, v6
	v_div_fmas_f32 v4, v4, v5, v7
	v_div_fixup_f32 v1, v4, v0, v1
	global_store_dword v[2:3], v1, off
	v_add_co_u32_e32 v2, vcc, 4, v2
	v_addc_co_u32_e32 v3, vcc, 0, v3, vcc
	s_cbranch_scc1 .LBB84_41
.LBB84_42:
	s_endpgm
	.section	.rodata,"a",@progbits
	.p2align	6, 0x0
	.amdhsa_kernel _ZN4vllm3moe10topkGatingILi8ELi512ELi4ELi16ELi64Ei6__halfLNS0_11ScoringFuncE0EEEvPKT5_PKbPfiPT4_PiiiibPKf
		.amdhsa_group_segment_fixed_size 0
		.amdhsa_private_segment_fixed_size 0
		.amdhsa_kernarg_size 72
		.amdhsa_user_sgpr_count 6
		.amdhsa_user_sgpr_private_segment_buffer 1
		.amdhsa_user_sgpr_dispatch_ptr 0
		.amdhsa_user_sgpr_queue_ptr 0
		.amdhsa_user_sgpr_kernarg_segment_ptr 1
		.amdhsa_user_sgpr_dispatch_id 0
		.amdhsa_user_sgpr_flat_scratch_init 0
		.amdhsa_user_sgpr_kernarg_preload_length 0
		.amdhsa_user_sgpr_kernarg_preload_offset 0
		.amdhsa_user_sgpr_private_segment_size 0
		.amdhsa_uses_dynamic_stack 0
		.amdhsa_system_sgpr_private_segment_wavefront_offset 0
		.amdhsa_system_sgpr_workgroup_id_x 1
		.amdhsa_system_sgpr_workgroup_id_y 0
		.amdhsa_system_sgpr_workgroup_id_z 0
		.amdhsa_system_sgpr_workgroup_info 0
		.amdhsa_system_vgpr_workitem_id 1
		.amdhsa_next_free_vgpr 38
		.amdhsa_next_free_sgpr 26
		.amdhsa_accum_offset 40
		.amdhsa_reserve_vcc 1
		.amdhsa_reserve_flat_scratch 0
		.amdhsa_float_round_mode_32 0
		.amdhsa_float_round_mode_16_64 0
		.amdhsa_float_denorm_mode_32 3
		.amdhsa_float_denorm_mode_16_64 3
		.amdhsa_dx10_clamp 1
		.amdhsa_ieee_mode 1
		.amdhsa_fp16_overflow 0
		.amdhsa_tg_split 0
		.amdhsa_exception_fp_ieee_invalid_op 0
		.amdhsa_exception_fp_denorm_src 0
		.amdhsa_exception_fp_ieee_div_zero 0
		.amdhsa_exception_fp_ieee_overflow 0
		.amdhsa_exception_fp_ieee_underflow 0
		.amdhsa_exception_fp_ieee_inexact 0
		.amdhsa_exception_int_div_zero 0
	.end_amdhsa_kernel
	.section	.text._ZN4vllm3moe10topkGatingILi8ELi512ELi4ELi16ELi64Ei6__halfLNS0_11ScoringFuncE0EEEvPKT5_PKbPfiPT4_PiiiibPKf,"axG",@progbits,_ZN4vllm3moe10topkGatingILi8ELi512ELi4ELi16ELi64Ei6__halfLNS0_11ScoringFuncE0EEEvPKT5_PKbPfiPT4_PiiiibPKf,comdat
.Lfunc_end84:
	.size	_ZN4vllm3moe10topkGatingILi8ELi512ELi4ELi16ELi64Ei6__halfLNS0_11ScoringFuncE0EEEvPKT5_PKbPfiPT4_PiiiibPKf, .Lfunc_end84-_ZN4vllm3moe10topkGatingILi8ELi512ELi4ELi16ELi64Ei6__halfLNS0_11ScoringFuncE0EEEvPKT5_PKbPfiPT4_PiiiibPKf
                                        ; -- End function
	.section	.AMDGPU.csdata,"",@progbits
; Kernel info:
; codeLenInByte = 3524
; NumSgprs: 30
; NumVgprs: 38
; NumAgprs: 0
; TotalNumVgprs: 38
; ScratchSize: 0
; MemoryBound: 0
; FloatMode: 240
; IeeeMode: 1
; LDSByteSize: 0 bytes/workgroup (compile time only)
; SGPRBlocks: 3
; VGPRBlocks: 4
; NumSGPRsForWavesPerEU: 30
; NumVGPRsForWavesPerEU: 38
; AccumOffset: 40
; Occupancy: 8
; WaveLimiterHint : 0
; COMPUTE_PGM_RSRC2:SCRATCH_EN: 0
; COMPUTE_PGM_RSRC2:USER_SGPR: 6
; COMPUTE_PGM_RSRC2:TRAP_HANDLER: 0
; COMPUTE_PGM_RSRC2:TGID_X_EN: 1
; COMPUTE_PGM_RSRC2:TGID_Y_EN: 0
; COMPUTE_PGM_RSRC2:TGID_Z_EN: 0
; COMPUTE_PGM_RSRC2:TIDIG_COMP_CNT: 1
; COMPUTE_PGM_RSRC3_GFX90A:ACCUM_OFFSET: 9
; COMPUTE_PGM_RSRC3_GFX90A:TG_SPLIT: 0
	.section	.text._ZN4vllm3moe10topkGatingILi16ELi512ELi4ELi16ELi32Ei6__halfLNS0_11ScoringFuncE0EEEvPKT5_PKbPfiPT4_PiiiibPKf,"axG",@progbits,_ZN4vllm3moe10topkGatingILi16ELi512ELi4ELi16ELi32Ei6__halfLNS0_11ScoringFuncE0EEEvPKT5_PKbPfiPT4_PiiiibPKf,comdat
	.protected	_ZN4vllm3moe10topkGatingILi16ELi512ELi4ELi16ELi32Ei6__halfLNS0_11ScoringFuncE0EEEvPKT5_PKbPfiPT4_PiiiibPKf ; -- Begin function _ZN4vllm3moe10topkGatingILi16ELi512ELi4ELi16ELi32Ei6__halfLNS0_11ScoringFuncE0EEEvPKT5_PKbPfiPT4_PiiiibPKf
	.globl	_ZN4vllm3moe10topkGatingILi16ELi512ELi4ELi16ELi32Ei6__halfLNS0_11ScoringFuncE0EEEvPKT5_PKbPfiPT4_PiiiibPKf
	.p2align	8
	.type	_ZN4vllm3moe10topkGatingILi16ELi512ELi4ELi16ELi32Ei6__halfLNS0_11ScoringFuncE0EEEvPKT5_PKbPfiPT4_PiiiibPKf,@function
_ZN4vllm3moe10topkGatingILi16ELi512ELi4ELi16ELi32Ei6__halfLNS0_11ScoringFuncE0EEEvPKT5_PKbPfiPT4_PiiiibPKf: ; @_ZN4vllm3moe10topkGatingILi16ELi512ELi4ELi16ELi32Ei6__halfLNS0_11ScoringFuncE0EEEvPKT5_PKbPfiPT4_PiiiibPKf
; %bb.0:
	s_load_dword s24, s[4:5], 0x18
	v_and_b32_e32 v1, 0x3ff, v0
	s_lshl_b32 s0, s6, 2
	v_lshrrev_b32_e32 v2, 5, v1
	v_bfe_u32 v0, v0, 10, 10
	v_add3_u32 v33, s0, v0, v2
	s_waitcnt lgkmcnt(0)
	v_cmp_gt_i32_e32 vcc, s24, v33
	s_and_saveexec_b64 s[0:1], vcc
	s_cbranch_execz .LBB85_38
; %bb.1:
	s_load_dwordx4 s[0:3], s[4:5], 0x0
	s_load_dwordx2 s[16:17], s[4:5], 0x10
	s_mov_b64 s[6:7], -1
	s_mov_b64 s[18:19], -1
	s_waitcnt lgkmcnt(0)
	s_cmp_eq_u64 s[2:3], 0
	s_cbranch_scc1 .LBB85_3
; %bb.2:
	v_ashrrev_i32_e32 v0, 31, v33
	v_mov_b32_e32 v3, s3
	v_add_co_u32_e32 v2, vcc, s2, v33
	v_addc_co_u32_e32 v3, vcc, v3, v0, vcc
	global_load_ubyte v0, v[2:3], off
	s_waitcnt vmcnt(0)
	v_and_b32_e32 v0, 1, v0
	v_cmp_eq_u32_e32 vcc, 1, v0
	s_xor_b64 s[2:3], vcc, -1
	s_orn2_b64 s[18:19], s[2:3], exec
.LBB85_3:
	v_lshlrev_b32_e32 v2, 9, v33
	v_ashrrev_i32_e32 v3, 31, v2
	v_lshlrev_b64 v[2:3], 1, v[2:3]
	v_mov_b32_e32 v0, s1
	v_add_co_u32_e32 v2, vcc, s0, v2
	v_and_b32_e32 v37, 31, v1
	v_addc_co_u32_e32 v0, vcc, v0, v3, vcc
	v_lshlrev_b32_e32 v1, 4, v37
	v_add_co_u32_e32 v8, vcc, v2, v1
	v_addc_co_u32_e32 v9, vcc, 0, v0, vcc
	global_load_dwordx4 v[0:3], v[8:9], off
	global_load_dwordx4 v[4:7], v[8:9], off offset:512
	v_mbcnt_lo_u32_b32 v8, -1, 0
	v_mbcnt_hi_u32_b32 v14, -1, v8
	v_and_b32_e32 v8, 0x60, v14
	v_xor_b32_e32 v9, 16, v14
	v_add_u32_e32 v15, 32, v8
	v_cmp_lt_i32_e32 vcc, v9, v15
	v_cndmask_b32_e32 v8, v14, v9, vcc
	v_lshlrev_b32_e32 v38, 2, v8
	s_mov_b32 s2, 0x3fb8aa3b
	s_mov_b32 s0, 0xc2ce8ed0
	;; [unrolled: 1-line block ×3, first 2 shown]
	v_lshlrev_b32_e32 v43, 3, v37
	s_waitcnt vmcnt(1)
	v_cvt_f32_f16_e32 v16, v0
	v_cvt_f32_f16_sdwa v17, v0 dst_sel:DWORD dst_unused:UNUSED_PAD src0_sel:WORD_1
	v_cvt_f32_f16_e32 v18, v1
	v_cvt_f32_f16_sdwa v8, v1 dst_sel:DWORD dst_unused:UNUSED_PAD src0_sel:WORD_1
	;; [unrolled: 2-line block ×4, first 2 shown]
	s_waitcnt vmcnt(0)
	v_cvt_f32_f16_sdwa v19, v4 dst_sel:DWORD dst_unused:UNUSED_PAD src0_sel:WORD_1
	v_cvt_f32_f16_e32 v13, v4
	v_max_f32_e32 v4, v16, v17
	v_cvt_f32_f16_e32 v20, v5
	v_cvt_f32_f16_sdwa v5, v5 dst_sel:DWORD dst_unused:UNUSED_PAD src0_sel:WORD_1
	v_max3_f32 v4, v4, v18, v8
	v_cvt_f32_f16_e32 v2, v6
	v_cvt_f32_f16_sdwa v3, v6 dst_sel:DWORD dst_unused:UNUSED_PAD src0_sel:WORD_1
	v_max3_f32 v4, v4, v9, v10
	;; [unrolled: 3-line block ×3, first 2 shown]
	v_max3_f32 v4, v4, v13, v19
	v_max3_f32 v4, v4, v20, v5
	;; [unrolled: 1-line block ×4, first 2 shown]
	ds_bpermute_b32 v6, v38, v4
	v_xor_b32_e32 v7, 8, v14
	v_cmp_lt_i32_e32 vcc, v7, v15
	v_cndmask_b32_e32 v7, v14, v7, vcc
	v_lshlrev_b32_e32 v39, 2, v7
	s_waitcnt lgkmcnt(0)
	v_max_f32_e32 v6, v6, v6
	v_max_f32_e32 v4, v4, v6
	ds_bpermute_b32 v6, v39, v4
	v_xor_b32_e32 v7, 4, v14
	v_cmp_lt_i32_e32 vcc, v7, v15
	v_cndmask_b32_e32 v7, v14, v7, vcc
	v_lshlrev_b32_e32 v40, 2, v7
	s_waitcnt lgkmcnt(0)
	v_max_f32_e32 v6, v6, v6
	v_max_f32_e32 v4, v4, v6
	;; [unrolled: 8-line block ×4, first 2 shown]
	ds_bpermute_b32 v6, v42, v4
	v_mov_b32_e32 v14, 0x7f800000
	s_waitcnt lgkmcnt(0)
	v_max_f32_e32 v6, v6, v6
	v_max_f32_e32 v4, v4, v6
	v_sub_f32_e32 v15, v16, v4
	v_sub_f32_e32 v16, v17, v4
	v_pk_add_f32 v[6:7], v[8:9], v[4:5] op_sel_hi:[1,0] neg_lo:[0,1] neg_hi:[0,1]
	v_mul_f32_e32 v8, 0x3fb8aa3b, v15
	v_sub_f32_e32 v17, v18, v4
	v_mul_f32_e32 v9, 0x3fb8aa3b, v16
	v_fma_f32 v23, v15, s2, -v8
	v_rndne_f32_e32 v24, v8
	v_mul_f32_e32 v18, 0x3fb8aa3b, v17
	v_fma_f32 v25, v16, s2, -v9
	v_rndne_f32_e32 v26, v9
	v_fmac_f32_e32 v23, 0x32a5705f, v15
	v_sub_f32_e32 v8, v8, v24
	v_fma_f32 v27, v17, s2, -v18
	v_rndne_f32_e32 v28, v18
	v_fmac_f32_e32 v25, 0x32a5705f, v16
	v_sub_f32_e32 v9, v9, v26
	v_add_f32_e32 v8, v8, v23
	v_cvt_i32_f32_e32 v24, v24
	v_fmac_f32_e32 v27, 0x32a5705f, v17
	v_sub_f32_e32 v18, v18, v28
	v_add_f32_e32 v9, v9, v25
	v_exp_f32_e32 v8, v8
	v_cvt_i32_f32_e32 v26, v26
	v_add_f32_e32 v18, v18, v27
	v_exp_f32_e32 v9, v9
	v_mul_f32_e32 v21, 0x3fb8aa3b, v7
	v_cvt_i32_f32_e32 v28, v28
	v_exp_f32_e32 v18, v18
	v_fma_f32 v29, v7, s2, -v21
	v_rndne_f32_e32 v30, v21
	v_mul_f32_e32 v22, 0x3fb8aa3b, v6
	v_fmac_f32_e32 v29, 0x32a5705f, v7
	v_sub_f32_e32 v21, v21, v30
	v_ldexp_f32 v8, v8, v24
	v_cmp_ngt_f32_e32 vcc, s0, v15
	v_fma_f32 v31, v6, s2, -v22
	v_rndne_f32_e32 v32, v22
	v_add_f32_e32 v21, v21, v29
	v_ldexp_f32 v9, v9, v26
	v_cndmask_b32_e32 v8, 0, v8, vcc
	v_cmp_ngt_f32_e32 vcc, s0, v16
	v_cvt_i32_f32_e32 v30, v30
	v_fmac_f32_e32 v31, 0x32a5705f, v6
	v_sub_f32_e32 v22, v22, v32
	v_exp_f32_e32 v21, v21
	v_ldexp_f32 v18, v18, v28
	v_cndmask_b32_e32 v9, 0, v9, vcc
	v_cmp_ngt_f32_e32 vcc, s0, v17
	v_add_f32_e32 v22, v22, v31
	v_cndmask_b32_e32 v18, 0, v18, vcc
	v_cmp_nlt_f32_e32 vcc, s1, v15
	v_cvt_i32_f32_e32 v32, v32
	v_exp_f32_e32 v22, v22
	v_cndmask_b32_e32 v15, v14, v8, vcc
	v_cmp_nlt_f32_e32 vcc, s1, v16
	v_cndmask_b32_e32 v16, v14, v9, vcc
	v_cmp_nlt_f32_e32 vcc, s1, v17
	v_ldexp_f32 v21, v21, v30
	v_cndmask_b32_e32 v17, v14, v18, vcc
	v_add_f32_e32 v8, v15, v16
	v_cmp_ngt_f32_e32 vcc, s0, v7
	v_add_f32_e32 v18, v8, v17
	v_cndmask_b32_e32 v8, 0, v21, vcc
	v_cmp_nlt_f32_e32 vcc, s1, v7
	v_cndmask_b32_e32 v7, v14, v8, vcc
	v_ldexp_f32 v8, v22, v32
	v_cmp_ngt_f32_e32 vcc, s0, v6
	v_cndmask_b32_e32 v21, 0, v8, vcc
	v_pk_add_f32 v[8:9], v[10:11], v[4:5] op_sel_hi:[1,0] neg_lo:[0,1] neg_hi:[0,1]
	v_mul_f32_e32 v10, 0x3fb8aa3b, v9
	v_fma_f32 v11, v9, s2, -v10
	v_rndne_f32_e32 v22, v10
	v_fmac_f32_e32 v11, 0x32a5705f, v9
	v_sub_f32_e32 v10, v10, v22
	v_add_f32_e32 v10, v10, v11
	v_exp_f32_e32 v10, v10
	v_cvt_i32_f32_e32 v11, v22
	v_cmp_nlt_f32_e32 vcc, s1, v6
	v_cndmask_b32_e32 v6, v14, v21, vcc
	v_cmp_ngt_f32_e32 vcc, s0, v9
	v_ldexp_f32 v10, v10, v11
	v_mul_f32_e32 v11, 0x3fb8aa3b, v8
	v_fma_f32 v21, v8, s2, -v11
	v_rndne_f32_e32 v22, v11
	v_fmac_f32_e32 v21, 0x32a5705f, v8
	v_sub_f32_e32 v11, v11, v22
	v_add_f32_e32 v11, v11, v21
	v_exp_f32_e32 v11, v11
	v_cvt_i32_f32_e32 v21, v22
	v_cndmask_b32_e32 v10, 0, v10, vcc
	v_cmp_nlt_f32_e32 vcc, s1, v9
	v_cndmask_b32_e32 v9, v14, v10, vcc
	v_ldexp_f32 v10, v11, v21
	v_cmp_ngt_f32_e32 vcc, s0, v8
	v_cndmask_b32_e32 v21, 0, v10, vcc
	v_pk_add_f32 v[10:11], v[12:13], v[4:5] op_sel_hi:[1,0] neg_lo:[0,1] neg_hi:[0,1]
	v_mul_f32_e32 v12, 0x3fb8aa3b, v11
	v_fma_f32 v13, v11, s2, -v12
	v_rndne_f32_e32 v22, v12
	v_fmac_f32_e32 v13, 0x32a5705f, v11
	v_sub_f32_e32 v12, v12, v22
	v_add_f32_e32 v12, v12, v13
	v_exp_f32_e32 v12, v12
	v_cvt_i32_f32_e32 v13, v22
	v_cmp_nlt_f32_e32 vcc, s1, v8
	v_cndmask_b32_e32 v8, v14, v21, vcc
	v_cmp_ngt_f32_e32 vcc, s0, v11
	v_ldexp_f32 v12, v12, v13
	v_mul_f32_e32 v13, 0x3fb8aa3b, v10
	v_fma_f32 v21, v10, s2, -v13
	v_rndne_f32_e32 v22, v13
	v_fmac_f32_e32 v21, 0x32a5705f, v10
	v_sub_f32_e32 v13, v13, v22
	v_add_f32_e32 v13, v13, v21
	v_exp_f32_e32 v13, v13
	v_cvt_i32_f32_e32 v21, v22
	v_cndmask_b32_e32 v12, 0, v12, vcc
	v_cmp_nlt_f32_e32 vcc, s1, v11
	v_cndmask_b32_e32 v11, v14, v12, vcc
	v_ldexp_f32 v12, v13, v21
	v_sub_f32_e32 v13, v19, v4
	v_mul_f32_e32 v19, 0x3fb8aa3b, v13
	v_fma_f32 v21, v13, s2, -v19
	v_rndne_f32_e32 v22, v19
	v_fmac_f32_e32 v21, 0x32a5705f, v13
	v_sub_f32_e32 v19, v19, v22
	v_add_f32_e32 v19, v19, v21
	v_add_f32_e32 v18, v18, v6
	v_exp_f32_e32 v19, v19
	v_cvt_i32_f32_e32 v21, v22
	v_add_f32_e32 v18, v18, v7
	v_cmp_ngt_f32_e32 vcc, s0, v10
	v_add_f32_e32 v18, v18, v8
	v_cndmask_b32_e32 v12, 0, v12, vcc
	v_cmp_nlt_f32_e32 vcc, s1, v10
	v_add_f32_e32 v18, v18, v9
	v_cndmask_b32_e32 v10, v14, v12, vcc
	v_add_f32_e32 v12, v18, v10
	v_ldexp_f32 v18, v19, v21
	v_sub_f32_e32 v19, v20, v4
	v_mul_f32_e32 v20, 0x3fb8aa3b, v19
	v_fma_f32 v21, v19, s2, -v20
	v_rndne_f32_e32 v22, v20
	v_fmac_f32_e32 v21, 0x32a5705f, v19
	v_sub_f32_e32 v20, v20, v22
	v_add_f32_e32 v20, v20, v21
	v_exp_f32_e32 v20, v20
	v_cvt_i32_f32_e32 v21, v22
	v_cmp_ngt_f32_e32 vcc, s0, v13
	v_cndmask_b32_e32 v18, 0, v18, vcc
	v_cmp_nlt_f32_e32 vcc, s1, v13
	v_sub_f32_e32 v5, v5, v4
	v_cndmask_b32_e32 v13, v14, v18, vcc
	v_ldexp_f32 v18, v20, v21
	v_mul_f32_e32 v20, 0x3fb8aa3b, v5
	v_fma_f32 v21, v5, s2, -v20
	v_rndne_f32_e32 v22, v20
	v_fmac_f32_e32 v21, 0x32a5705f, v5
	v_sub_f32_e32 v20, v20, v22
	v_add_f32_e32 v20, v20, v21
	v_exp_f32_e32 v20, v20
	v_cvt_i32_f32_e32 v21, v22
	v_cmp_ngt_f32_e32 vcc, s0, v19
	v_pk_add_f32 v[2:3], v[2:3], v[4:5] op_sel_hi:[1,0] neg_lo:[0,1] neg_hi:[0,1]
	v_cndmask_b32_e32 v18, 0, v18, vcc
	v_cmp_nlt_f32_e32 vcc, s1, v19
	v_ldexp_f32 v19, v20, v21
	v_mul_f32_e32 v20, 0x3fb8aa3b, v3
	v_fma_f32 v21, v3, s2, -v20
	v_rndne_f32_e32 v22, v20
	v_fmac_f32_e32 v21, 0x32a5705f, v3
	v_sub_f32_e32 v20, v20, v22
	v_add_f32_e32 v20, v20, v21
	v_exp_f32_e32 v20, v20
	v_cvt_i32_f32_e32 v21, v22
	v_cndmask_b32_e32 v18, v14, v18, vcc
	v_cmp_ngt_f32_e32 vcc, s0, v5
	v_cndmask_b32_e32 v19, 0, v19, vcc
	v_cmp_nlt_f32_e32 vcc, s1, v5
	v_cndmask_b32_e32 v5, v14, v19, vcc
	v_ldexp_f32 v19, v20, v21
	v_mul_f32_e32 v20, 0x3fb8aa3b, v2
	v_fma_f32 v21, v2, s2, -v20
	v_rndne_f32_e32 v22, v20
	v_fmac_f32_e32 v21, 0x32a5705f, v2
	v_sub_f32_e32 v20, v20, v22
	v_add_f32_e32 v20, v20, v21
	v_exp_f32_e32 v20, v20
	v_cvt_i32_f32_e32 v21, v22
	v_cmp_ngt_f32_e32 vcc, s0, v3
	v_pk_add_f32 v[0:1], v[0:1], v[4:5] op_sel_hi:[1,0] neg_lo:[0,1] neg_hi:[0,1]
	v_cndmask_b32_e32 v19, 0, v19, vcc
	v_cmp_nlt_f32_e32 vcc, s1, v3
	v_mul_f32_e32 v4, 0x3fb8aa3b, v1
	v_cndmask_b32_e32 v3, v14, v19, vcc
	v_ldexp_f32 v19, v20, v21
	v_fma_f32 v20, v1, s2, -v4
	v_rndne_f32_e32 v21, v4
	v_fmac_f32_e32 v20, 0x32a5705f, v1
	v_sub_f32_e32 v4, v4, v21
	v_add_f32_e32 v4, v4, v20
	v_exp_f32_e32 v4, v4
	v_cvt_i32_f32_e32 v20, v21
	v_cmp_ngt_f32_e32 vcc, s0, v2
	v_cndmask_b32_e32 v19, 0, v19, vcc
	v_cmp_nlt_f32_e32 vcc, s1, v2
	v_cndmask_b32_e32 v2, v14, v19, vcc
	v_mul_f32_e32 v19, 0x3fb8aa3b, v0
	v_ldexp_f32 v4, v4, v20
	v_fma_f32 v20, v0, s2, -v19
	v_rndne_f32_e32 v21, v19
	v_fmac_f32_e32 v20, 0x32a5705f, v0
	v_sub_f32_e32 v19, v19, v21
	v_add_f32_e32 v19, v19, v20
	v_exp_f32_e32 v19, v19
	v_cvt_i32_f32_e32 v20, v21
	v_add_f32_e32 v12, v12, v11
	v_add_f32_e32 v12, v12, v13
	v_cmp_ngt_f32_e32 vcc, s0, v1
	v_add_f32_e32 v12, v12, v18
	v_cndmask_b32_e32 v4, 0, v4, vcc
	v_cmp_nlt_f32_e32 vcc, s1, v1
	v_add_f32_e32 v12, v12, v5
	v_cndmask_b32_e32 v1, v14, v4, vcc
	v_ldexp_f32 v4, v19, v20
	v_cmp_ngt_f32_e32 vcc, s0, v0
	v_add_f32_e32 v12, v12, v2
	v_cndmask_b32_e32 v4, 0, v4, vcc
	v_cmp_nlt_f32_e32 vcc, s1, v0
	v_add_f32_e32 v12, v12, v3
	v_cndmask_b32_e32 v0, v14, v4, vcc
	v_add_f32_e32 v4, v12, v0
	v_add_f32_e32 v4, v4, v1
	ds_bpermute_b32 v12, v38, v4
	s_movk_i32 s2, 0x1f8
	s_waitcnt lgkmcnt(0)
	v_add_f32_e32 v4, v4, v12
	ds_bpermute_b32 v12, v39, v4
	s_waitcnt lgkmcnt(0)
	v_add_f32_e32 v4, v4, v12
	ds_bpermute_b32 v12, v40, v4
	;; [unrolled: 3-line block ×4, first 2 shown]
	s_waitcnt lgkmcnt(0)
	v_add_f32_e32 v4, v4, v12
	v_div_scale_f32 v12, s[0:1], v4, v4, 1.0
	v_rcp_f32_e32 v14, v12
	s_load_dwordx2 s[0:1], s[4:5], 0x40
	v_fma_f32 v19, -v12, v14, 1.0
	v_fmac_f32_e32 v14, v19, v14
	v_div_scale_f32 v19, vcc, 1.0, v4, 1.0
	v_mul_f32_e32 v20, v19, v14
	v_fma_f32 v21, -v12, v20, v19
	v_fmac_f32_e32 v20, v21, v14
	v_fma_f32 v12, -v12, v20, v19
	v_div_fmas_f32 v12, v12, v14, v20
	v_div_fixup_f32 v4, v12, v4, 1.0
	v_mul_f32_e32 v19, v4, v15
	v_mul_f32_e32 v16, v4, v16
	v_cmp_class_f32_e64 vcc, v19, s2
	v_mul_f32_e32 v17, v4, v17
	v_pk_mul_f32 v[14:15], v[4:5], v[0:1] op_sel_hi:[0,1]
	v_cndmask_b32_e32 v0, 0, v19, vcc
	v_cmp_class_f32_e64 vcc, v16, s2
	v_pk_mul_f32 v[6:7], v[4:5], v[6:7] op_sel_hi:[0,1]
	v_cndmask_b32_e32 v1, 0, v16, vcc
	v_cmp_class_f32_e64 vcc, v17, s2
	v_mov_b32_e32 v16, 0x207
	v_mul_f32_e32 v20, v4, v13
	v_pk_mul_f32 v[12:13], v[4:5], v[2:3] op_sel_hi:[0,1]
	v_cndmask_b32_e32 v2, 0, v17, vcc
	v_cmp_class_f32_e32 vcc, v7, v16
	v_pk_mul_f32 v[8:9], v[4:5], v[8:9] op_sel_hi:[0,1]
	v_pk_mul_f32 v[10:11], v[4:5], v[10:11] op_sel_hi:[0,1]
	v_mul_f32_e32 v18, v4, v18
	v_mul_f32_e32 v21, v4, v5
	v_cndmask_b32_e64 v4, v7, 0, vcc
	v_cmp_class_f32_e32 vcc, v6, v16
	v_cndmask_b32_e64 v3, v6, 0, vcc
	v_cmp_class_f32_e32 vcc, v9, v16
	v_cndmask_b32_e64 v6, v9, 0, vcc
	v_cmp_class_f32_e32 vcc, v8, v16
	v_cndmask_b32_e64 v5, v8, 0, vcc
	v_cmp_class_f32_e32 vcc, v11, v16
	v_cndmask_b32_e64 v8, v11, 0, vcc
	v_cmp_class_f32_e32 vcc, v10, v16
	v_cndmask_b32_e64 v7, v10, 0, vcc
	v_cmp_class_f32_e64 vcc, v20, s2
	v_cndmask_b32_e32 v9, 0, v20, vcc
	v_cmp_class_f32_e64 vcc, v18, s2
	v_cndmask_b32_e32 v10, 0, v18, vcc
	;; [unrolled: 2-line block ×3, first 2 shown]
	v_cmp_class_f32_e32 vcc, v13, v16
	v_cndmask_b32_e64 v13, v13, 0, vcc
	v_cmp_class_f32_e32 vcc, v12, v16
	v_cndmask_b32_e64 v12, v12, 0, vcc
	;; [unrolled: 2-line block ×3, first 2 shown]
	v_cmp_class_f32_e32 vcc, v14, v16
	s_waitcnt lgkmcnt(0)
	s_cmp_eq_u64 s[0:1], 0
	v_cndmask_b32_e64 v14, v14, 0, vcc
	s_cbranch_scc1 .LBB85_27
; %bb.4:
	v_lshlrev_b32_e32 v32, 2, v43
	global_load_dwordx4 v[16:19], v32, s[0:1]
	global_load_dwordx4 v[20:23], v32, s[0:1] offset:16
	global_load_dwordx4 v[24:27], v32, s[0:1] offset:1024
	;; [unrolled: 1-line block ×3, first 2 shown]
	s_waitcnt vmcnt(3)
	v_pk_add_f32 v[16:17], v[16:17], v[0:1]
	v_pk_add_f32 v[18:19], v[18:19], v[2:3]
	s_waitcnt vmcnt(2)
	v_pk_add_f32 v[20:21], v[20:21], v[4:5]
	v_pk_add_f32 v[22:23], v[22:23], v[6:7]
	;; [unrolled: 3-line block ×4, first 2 shown]
	s_cbranch_execnz .LBB85_6
.LBB85_5:
	v_pk_mov_b32 v[30:31], v[14:15], v[14:15] op_sel:[0,1]
	v_pk_mov_b32 v[28:29], v[12:13], v[12:13] op_sel:[0,1]
	;; [unrolled: 1-line block ×8, first 2 shown]
.LBB85_6:
	s_load_dwordx4 s[8:11], s[4:5], 0x30
	s_mov_b32 s25, 0
	v_cmp_eq_u32_e64 s[0:1], 0, v37
	s_waitcnt lgkmcnt(0)
	s_bitcmp1_b32 s11, 0
	s_cselect_b64 vcc, -1, 0
	s_cmp_gt_i32 s8, 0
	s_cselect_b64 s[20:21], -1, 0
	s_cmp_lt_i32 s8, 1
	s_cbranch_scc1 .LBB85_28
; %bb.7:
	s_load_dwordx4 s[12:15], s[4:5], 0x20
	v_mul_lo_u32 v45, v33, s8
	v_mov_b32_e32 v44, 0
	v_mov_b32_e32 v46, 0x100
	;; [unrolled: 1-line block ×3, first 2 shown]
	v_bfrev_b32_e32 v48, 4.0
	v_bfrev_b32_e32 v49, -4.0
	v_mov_b32_e32 v50, 0x104
	v_mov_b32_e32 v51, 0x105
	;; [unrolled: 1-line block ×7, first 2 shown]
	s_branch .LBB85_10
.LBB85_8:                               ;   in Loop: Header=BB85_10 Depth=1
	s_or_b64 exec, exec, s[4:5]
.LBB85_9:                               ;   in Loop: Header=BB85_10 Depth=1
	s_cmp_eq_u32 s8, s25
	v_add_u32_e32 v56, s24, v56
	s_cbranch_scc1 .LBB85_29
.LBB85_10:                              ; =>This Inner Loop Header: Depth=1
	v_cmp_gt_f32_e64 s[2:3], v17, v16
	v_cndmask_b32_e64 v32, v16, v17, s[2:3]
	v_cndmask_b32_e64 v34, v0, v1, s[2:3]
	s_waitcnt lgkmcnt(0)
	v_cndmask_b32_e64 v35, 0, 1, s[2:3]
	v_cmp_gt_f32_e64 s[2:3], v18, v32
	v_cndmask_b32_e64 v32, v32, v18, s[2:3]
	v_cndmask_b32_e64 v34, v34, v2, s[2:3]
	v_cndmask_b32_e64 v35, v35, 2, s[2:3]
	v_cmp_gt_f32_e64 s[2:3], v19, v32
	v_cndmask_b32_e64 v32, v32, v19, s[2:3]
	v_cndmask_b32_e64 v34, v34, v3, s[2:3]
	;; [unrolled: 4-line block ×14, first 2 shown]
	v_or_b32_e32 v35, v43, v35
	ds_bpermute_b32 v36, v38, v32
	ds_bpermute_b32 v57, v38, v35
	v_cndmask_b32_e64 v34, v34, v15, s[2:3]
	ds_bpermute_b32 v59, v38, v34
	s_waitcnt lgkmcnt(0)
	v_cmp_eq_f32_e64 s[4:5], v32, v36
	v_cmp_lt_i32_e64 s[6:7], v57, v35
	v_cmp_lt_f32_e64 s[2:3], v32, v36
	s_and_b64 s[4:5], s[4:5], s[6:7]
	s_or_b64 s[2:3], s[2:3], s[4:5]
	v_cndmask_b32_e64 v58, v35, v57, s[2:3]
	v_cndmask_b32_e64 v57, v32, v36, s[2:3]
	;; [unrolled: 1-line block ×3, first 2 shown]
	ds_bpermute_b32 v60, v39, v57
	ds_bpermute_b32 v36, v39, v32
	;; [unrolled: 1-line block ×3, first 2 shown]
                                        ; implicit-def: $vgpr34_vgpr35
	s_waitcnt lgkmcnt(2)
	v_cmp_lt_f32_e64 s[6:7], v57, v60
	v_cmp_nlt_f32_e64 s[2:3], v57, v60
	s_and_saveexec_b64 s[22:23], s[2:3]
	s_cbranch_execz .LBB85_12
; %bb.11:                               ;   in Loop: Header=BB85_10 Depth=1
	v_cmp_eq_f32_e64 s[2:3], v57, v60
	s_waitcnt lgkmcnt(0)
	v_cmp_lt_i32_e64 s[4:5], v59, v58
	s_and_b64 s[2:3], s[2:3], s[4:5]
	s_andn2_b64 s[4:5], s[6:7], exec
	s_and_b64 s[2:3], s[2:3], exec
	s_or_b64 s[6:7], s[4:5], s[2:3]
	v_pk_mov_b32 v[34:35], v[32:33], v[32:33] op_sel:[0,1]
.LBB85_12:                              ;   in Loop: Header=BB85_10 Depth=1
	s_or_b64 exec, exec, s[22:23]
	s_and_saveexec_b64 s[2:3], s[6:7]
	s_cbranch_execz .LBB85_14
; %bb.13:                               ;   in Loop: Header=BB85_10 Depth=1
	v_mov_b32_e32 v57, v60
	s_waitcnt lgkmcnt(1)
	v_mov_b32_e32 v32, v36
	s_waitcnt lgkmcnt(0)
	v_mov_b32_e32 v58, v59
	v_pk_mov_b32 v[34:35], v[36:37], v[36:37] op_sel:[0,1]
.LBB85_14:                              ;   in Loop: Header=BB85_10 Depth=1
	s_or_b64 exec, exec, s[2:3]
	s_waitcnt lgkmcnt(0)
	ds_bpermute_b32 v59, v40, v57
	ds_bpermute_b32 v36, v40, v32
	;; [unrolled: 1-line block ×3, first 2 shown]
	s_waitcnt lgkmcnt(2)
	v_cmp_lt_f32_e64 s[6:7], v57, v59
	v_cmp_nlt_f32_e64 s[2:3], v57, v59
	s_and_saveexec_b64 s[22:23], s[2:3]
	s_cbranch_execz .LBB85_16
; %bb.15:                               ;   in Loop: Header=BB85_10 Depth=1
	v_cmp_eq_f32_e64 s[2:3], v57, v59
	s_waitcnt lgkmcnt(0)
	v_cmp_lt_i32_e64 s[4:5], v35, v58
	s_and_b64 s[2:3], s[2:3], s[4:5]
	s_andn2_b64 s[4:5], s[6:7], exec
	s_and_b64 s[2:3], s[2:3], exec
	s_or_b64 s[6:7], s[4:5], s[2:3]
.LBB85_16:                              ;   in Loop: Header=BB85_10 Depth=1
	s_or_b64 exec, exec, s[22:23]
	s_and_saveexec_b64 s[2:3], s[6:7]
	s_cbranch_execz .LBB85_18
; %bb.17:                               ;   in Loop: Header=BB85_10 Depth=1
	v_mov_b32_e32 v57, v59
	s_waitcnt lgkmcnt(1)
	v_mov_b32_e32 v32, v36
	s_waitcnt lgkmcnt(0)
	v_mov_b32_e32 v58, v35
	v_pk_mov_b32 v[34:35], v[36:37], v[36:37] op_sel:[0,1]
.LBB85_18:                              ;   in Loop: Header=BB85_10 Depth=1
	s_or_b64 exec, exec, s[2:3]
	ds_bpermute_b32 v59, v41, v57
	s_waitcnt lgkmcnt(2)
	ds_bpermute_b32 v36, v41, v32
	s_waitcnt lgkmcnt(2)
	;; [unrolled: 2-line block ×3, first 2 shown]
	v_cmp_lt_f32_e64 s[6:7], v57, v59
	v_cmp_nlt_f32_e64 s[2:3], v57, v59
	s_and_saveexec_b64 s[22:23], s[2:3]
	s_cbranch_execz .LBB85_20
; %bb.19:                               ;   in Loop: Header=BB85_10 Depth=1
	v_cmp_eq_f32_e64 s[2:3], v57, v59
	s_waitcnt lgkmcnt(0)
	v_cmp_lt_i32_e64 s[4:5], v35, v58
	s_and_b64 s[2:3], s[2:3], s[4:5]
	s_andn2_b64 s[4:5], s[6:7], exec
	s_and_b64 s[2:3], s[2:3], exec
	s_or_b64 s[6:7], s[4:5], s[2:3]
.LBB85_20:                              ;   in Loop: Header=BB85_10 Depth=1
	s_or_b64 exec, exec, s[22:23]
	s_and_saveexec_b64 s[2:3], s[6:7]
	s_cbranch_execz .LBB85_22
; %bb.21:                               ;   in Loop: Header=BB85_10 Depth=1
	v_mov_b32_e32 v57, v59
	s_waitcnt lgkmcnt(1)
	v_mov_b32_e32 v32, v36
	s_waitcnt lgkmcnt(0)
	v_mov_b32_e32 v58, v35
	v_pk_mov_b32 v[34:35], v[36:37], v[36:37] op_sel:[0,1]
.LBB85_22:                              ;   in Loop: Header=BB85_10 Depth=1
	s_or_b64 exec, exec, s[2:3]
	s_waitcnt lgkmcnt(1)
	ds_bpermute_b32 v36, v42, v57
	ds_bpermute_b32 v59, v42, v58
	s_waitcnt lgkmcnt(2)
	ds_bpermute_b32 v35, v42, v32
	s_waitcnt lgkmcnt(2)
	v_cmp_eq_f32_e64 s[4:5], v57, v36
	s_waitcnt lgkmcnt(1)
	v_cmp_lt_i32_e64 s[6:7], v59, v58
	v_cmp_lt_f32_e64 s[2:3], v57, v36
	s_and_b64 s[4:5], s[4:5], s[6:7]
	s_or_b64 s[2:3], s[2:3], s[4:5]
	v_cndmask_b32_e64 v32, v58, v59, s[2:3]
	s_and_saveexec_b64 s[6:7], s[0:1]
	s_cbranch_execnz .LBB85_24
; %bb.23:                               ;   in Loop: Header=BB85_10 Depth=1
	s_or_b64 exec, exec, s[6:7]
	s_add_i32 s25, s25, 1
	s_cmp_ge_i32 s25, s8
	s_cbranch_scc1 .LBB85_9
	s_branch .LBB85_25
.LBB85_24:                              ;   in Loop: Header=BB85_10 Depth=1
	s_waitcnt lgkmcnt(0)
	v_cndmask_b32_e64 v36, v34, v35, s[2:3]
	v_add_u32_e32 v34, s25, v45
	v_ashrrev_i32_e32 v35, 31, v34
	v_cmp_le_i32_e64 s[2:3], s9, v32
	v_cmp_gt_i32_e64 s[4:5], s10, v32
	v_lshlrev_b64 v[34:35], 2, v[34:35]
	s_and_b64 s[4:5], s[2:3], s[4:5]
	v_mov_b32_e32 v57, s17
	v_add_co_u32_e64 v58, s[2:3], s16, v34
	v_addc_co_u32_e64 v59, s[2:3], v57, v35, s[2:3]
	v_subrev_u32_e32 v57, s9, v32
	s_and_b64 s[2:3], s[18:19], s[4:5]
	global_store_dword v[58:59], v36, off
	v_cndmask_b32_e64 v57, v54, v57, s[2:3]
	v_mov_b32_e32 v59, s13
	v_add_co_u32_e64 v58, s[2:3], s12, v34
	v_addc_co_u32_e64 v59, s[2:3], v59, v35, s[2:3]
	global_store_dword v[58:59], v57, off
	v_mov_b32_e32 v57, s15
	v_add_co_u32_e64 v34, s[2:3], s14, v34
	v_addc_co_u32_e64 v35, s[2:3], v57, v35, s[2:3]
	global_store_dword v[34:35], v56, off
	v_add_f32_e32 v34, v44, v36
	v_cndmask_b32_e32 v44, v44, v34, vcc
	s_or_b64 exec, exec, s[6:7]
	s_add_i32 s25, s25, 1
	s_cmp_ge_i32 s25, s8
	s_cbranch_scc1 .LBB85_9
.LBB85_25:                              ;   in Loop: Header=BB85_10 Depth=1
	v_ashrrev_i32_e32 v34, 31, v32
	s_waitcnt lgkmcnt(0)
	v_lshrrev_b32_e32 v35, 29, v34
	v_add_u32_e32 v36, v32, v35
	v_ashrrev_i32_e32 v35, 3, v36
	v_ashrrev_i32_e32 v36, 31, v36
	v_lshrrev_b32_e32 v36, 27, v36
	v_add_u32_e32 v36, v35, v36
	v_and_b32_e32 v36, 0xffffffe0, v36
	v_sub_u32_e32 v36, v35, v36
	v_cmp_eq_u32_e64 s[2:3], v37, v36
	s_and_saveexec_b64 s[4:5], s[2:3]
	s_cbranch_execz .LBB85_8
; %bb.26:                               ;   in Loop: Header=BB85_10 Depth=1
	v_add_u32_sdwa v34, v32, v34 dst_sel:DWORD dst_unused:UNUSED_PAD src0_sel:DWORD src1_sel:BYTE_3
	v_lshlrev_b32_e32 v35, 3, v35
	v_ashrrev_i32_e32 v34, 8, v34
	v_sub_u32_e32 v32, v32, v35
	v_lshl_add_u32 v32, v34, 3, v32
	v_cmp_ne_u32_e64 s[2:3], 15, v32
	v_cndmask_b32_e64 v31, v55, v31, s[2:3]
	v_cmp_ne_u32_e64 s[2:3], 14, v32
	v_cndmask_b32_e64 v30, v55, v30, s[2:3]
	;; [unrolled: 2-line block ×16, first 2 shown]
	s_branch .LBB85_8
.LBB85_27:
                                        ; implicit-def: $vgpr16_vgpr17_vgpr18_vgpr19_vgpr20_vgpr21_vgpr22_vgpr23_vgpr24_vgpr25_vgpr26_vgpr27_vgpr28_vgpr29_vgpr30_vgpr31
	s_andn2_b64 vcc, exec, s[6:7]
	s_cbranch_vccz .LBB85_5
	s_branch .LBB85_6
.LBB85_28:
	v_mov_b32_e32 v44, 0
.LBB85_29:
	v_cmp_eq_u32_e64 s[0:1], 0, v37
	s_and_b64 s[0:1], s[0:1], vcc
	s_and_b64 exec, exec, s[0:1]
	s_cbranch_execz .LBB85_38
; %bb.30:
	s_andn2_b64 vcc, exec, s[20:21]
	s_cbranch_vccnz .LBB85_38
; %bb.31:
	v_cmp_lt_f32_e32 vcc, 0, v44
	s_mov_b32 s2, 0
	v_cndmask_b32_e32 v0, 1.0, v44, vcc
	v_mul_lo_u32 v4, v33, s8
	s_cmp_eq_u32 s8, 1
	s_mov_b64 s[0:1], -1
	s_cbranch_scc1 .LBB85_35
; %bb.32:
	s_and_b32 s2, s8, 0x7ffffffe
	v_mov_b32_e32 v1, v0
	v_mov_b32_e32 v5, s17
	s_mov_b32 s3, s2
	v_mov_b32_e32 v2, v4
.LBB85_33:                              ; =>This Inner Loop Header: Depth=1
	v_ashrrev_i32_e32 v3, 31, v2
	v_lshlrev_b64 v[6:7], 2, v[2:3]
	v_add_co_u32_e32 v6, vcc, s16, v6
	v_addc_co_u32_e32 v7, vcc, v5, v7, vcc
	global_load_dwordx2 v[8:9], v[6:7], off
	s_add_i32 s3, s3, -2
	s_cmp_lg_u32 s3, 0
	v_add_u32_e32 v2, 2, v2
	s_waitcnt vmcnt(0)
	v_div_scale_f32 v3, s[0:1], v1, v1, v9
	v_div_scale_f32 v11, s[0:1], v0, v0, v8
	v_rcp_f32_e32 v12, v3
	v_rcp_f32_e32 v13, v11
	v_div_scale_f32 v10, vcc, v9, v1, v9
	v_fma_f32 v15, -v3, v12, 1.0
	v_fma_f32 v16, -v11, v13, 1.0
	v_fmac_f32_e32 v12, v15, v12
	v_div_scale_f32 v14, s[0:1], v8, v0, v8
	v_fmac_f32_e32 v13, v16, v13
	v_mul_f32_e32 v15, v10, v12
	v_mul_f32_e32 v16, v14, v13
	v_fma_f32 v17, -v3, v15, v10
	v_fma_f32 v18, -v11, v16, v14
	v_fmac_f32_e32 v15, v17, v12
	v_fmac_f32_e32 v16, v18, v13
	v_fma_f32 v3, -v3, v15, v10
	v_fma_f32 v10, -v11, v16, v14
	v_div_fmas_f32 v3, v3, v12, v15
	s_mov_b64 vcc, s[0:1]
	v_div_fixup_f32 v9, v3, v1, v9
	v_div_fmas_f32 v3, v10, v13, v16
	v_div_fixup_f32 v8, v3, v0, v8
	global_store_dwordx2 v[6:7], v[8:9], off
	s_cbranch_scc1 .LBB85_33
; %bb.34:
	s_cmp_lg_u32 s2, s8
	s_cselect_b64 s[0:1], -1, 0
.LBB85_35:
	s_and_b64 vcc, exec, s[0:1]
	s_cbranch_vccz .LBB85_38
; %bb.36:
	v_ashrrev_i32_e32 v1, 31, v4
	v_add_co_u32_e32 v2, vcc, s2, v4
	v_addc_co_u32_e32 v3, vcc, 0, v1, vcc
	v_lshlrev_b64 v[2:3], 2, v[2:3]
	v_mov_b32_e32 v1, s17
	v_add_co_u32_e32 v2, vcc, s16, v2
	s_sub_i32 s0, s8, s2
	v_addc_co_u32_e32 v3, vcc, v1, v3, vcc
.LBB85_37:                              ; =>This Inner Loop Header: Depth=1
	global_load_dword v1, v[2:3], off
	s_add_i32 s0, s0, -1
	s_cmp_lg_u32 s0, 0
	s_waitcnt vmcnt(0)
	v_div_scale_f32 v4, s[2:3], v0, v0, v1
	v_rcp_f32_e32 v5, v4
	v_div_scale_f32 v6, vcc, v1, v0, v1
	v_fma_f32 v7, -v4, v5, 1.0
	v_fmac_f32_e32 v5, v7, v5
	v_mul_f32_e32 v7, v6, v5
	v_fma_f32 v8, -v4, v7, v6
	v_fmac_f32_e32 v7, v8, v5
	v_fma_f32 v4, -v4, v7, v6
	v_div_fmas_f32 v4, v4, v5, v7
	v_div_fixup_f32 v1, v4, v0, v1
	global_store_dword v[2:3], v1, off
	v_add_co_u32_e32 v2, vcc, 4, v2
	v_addc_co_u32_e32 v3, vcc, 0, v3, vcc
	s_cbranch_scc1 .LBB85_37
.LBB85_38:
	s_endpgm
	.section	.rodata,"a",@progbits
	.p2align	6, 0x0
	.amdhsa_kernel _ZN4vllm3moe10topkGatingILi16ELi512ELi4ELi16ELi32Ei6__halfLNS0_11ScoringFuncE0EEEvPKT5_PKbPfiPT4_PiiiibPKf
		.amdhsa_group_segment_fixed_size 0
		.amdhsa_private_segment_fixed_size 0
		.amdhsa_kernarg_size 72
		.amdhsa_user_sgpr_count 6
		.amdhsa_user_sgpr_private_segment_buffer 1
		.amdhsa_user_sgpr_dispatch_ptr 0
		.amdhsa_user_sgpr_queue_ptr 0
		.amdhsa_user_sgpr_kernarg_segment_ptr 1
		.amdhsa_user_sgpr_dispatch_id 0
		.amdhsa_user_sgpr_flat_scratch_init 0
		.amdhsa_user_sgpr_kernarg_preload_length 0
		.amdhsa_user_sgpr_kernarg_preload_offset 0
		.amdhsa_user_sgpr_private_segment_size 0
		.amdhsa_uses_dynamic_stack 0
		.amdhsa_system_sgpr_private_segment_wavefront_offset 0
		.amdhsa_system_sgpr_workgroup_id_x 1
		.amdhsa_system_sgpr_workgroup_id_y 0
		.amdhsa_system_sgpr_workgroup_id_z 0
		.amdhsa_system_sgpr_workgroup_info 0
		.amdhsa_system_vgpr_workitem_id 1
		.amdhsa_next_free_vgpr 61
		.amdhsa_next_free_sgpr 26
		.amdhsa_accum_offset 64
		.amdhsa_reserve_vcc 1
		.amdhsa_reserve_flat_scratch 0
		.amdhsa_float_round_mode_32 0
		.amdhsa_float_round_mode_16_64 0
		.amdhsa_float_denorm_mode_32 3
		.amdhsa_float_denorm_mode_16_64 3
		.amdhsa_dx10_clamp 1
		.amdhsa_ieee_mode 1
		.amdhsa_fp16_overflow 0
		.amdhsa_tg_split 0
		.amdhsa_exception_fp_ieee_invalid_op 0
		.amdhsa_exception_fp_denorm_src 0
		.amdhsa_exception_fp_ieee_div_zero 0
		.amdhsa_exception_fp_ieee_overflow 0
		.amdhsa_exception_fp_ieee_underflow 0
		.amdhsa_exception_fp_ieee_inexact 0
		.amdhsa_exception_int_div_zero 0
	.end_amdhsa_kernel
	.section	.text._ZN4vllm3moe10topkGatingILi16ELi512ELi4ELi16ELi32Ei6__halfLNS0_11ScoringFuncE0EEEvPKT5_PKbPfiPT4_PiiiibPKf,"axG",@progbits,_ZN4vllm3moe10topkGatingILi16ELi512ELi4ELi16ELi32Ei6__halfLNS0_11ScoringFuncE0EEEvPKT5_PKbPfiPT4_PiiiibPKf,comdat
.Lfunc_end85:
	.size	_ZN4vllm3moe10topkGatingILi16ELi512ELi4ELi16ELi32Ei6__halfLNS0_11ScoringFuncE0EEEvPKT5_PKbPfiPT4_PiiiibPKf, .Lfunc_end85-_ZN4vllm3moe10topkGatingILi16ELi512ELi4ELi16ELi32Ei6__halfLNS0_11ScoringFuncE0EEEvPKT5_PKbPfiPT4_PiiiibPKf
                                        ; -- End function
	.section	.AMDGPU.csdata,"",@progbits
; Kernel info:
; codeLenInByte = 4692
; NumSgprs: 30
; NumVgprs: 61
; NumAgprs: 0
; TotalNumVgprs: 61
; ScratchSize: 0
; MemoryBound: 0
; FloatMode: 240
; IeeeMode: 1
; LDSByteSize: 0 bytes/workgroup (compile time only)
; SGPRBlocks: 3
; VGPRBlocks: 7
; NumSGPRsForWavesPerEU: 30
; NumVGPRsForWavesPerEU: 61
; AccumOffset: 64
; Occupancy: 8
; WaveLimiterHint : 1
; COMPUTE_PGM_RSRC2:SCRATCH_EN: 0
; COMPUTE_PGM_RSRC2:USER_SGPR: 6
; COMPUTE_PGM_RSRC2:TRAP_HANDLER: 0
; COMPUTE_PGM_RSRC2:TGID_X_EN: 1
; COMPUTE_PGM_RSRC2:TGID_Y_EN: 0
; COMPUTE_PGM_RSRC2:TGID_Z_EN: 0
; COMPUTE_PGM_RSRC2:TIDIG_COMP_CNT: 1
; COMPUTE_PGM_RSRC3_GFX90A:ACCUM_OFFSET: 15
; COMPUTE_PGM_RSRC3_GFX90A:TG_SPLIT: 0
	.section	.text._ZN4vllm3moe10moeSoftmaxILi256E6__halfEEvPKT0_PKbPfi,"axG",@progbits,_ZN4vllm3moe10moeSoftmaxILi256E6__halfEEvPKT0_PKbPfi,comdat
	.protected	_ZN4vllm3moe10moeSoftmaxILi256E6__halfEEvPKT0_PKbPfi ; -- Begin function _ZN4vllm3moe10moeSoftmaxILi256E6__halfEEvPKT0_PKbPfi
	.globl	_ZN4vllm3moe10moeSoftmaxILi256E6__halfEEvPKT0_PKbPfi
	.p2align	8
	.type	_ZN4vllm3moe10moeSoftmaxILi256E6__halfEEvPKT0_PKbPfi,@function
_ZN4vllm3moe10moeSoftmaxILi256E6__halfEEvPKT0_PKbPfi: ; @_ZN4vllm3moe10moeSoftmaxILi256E6__halfEEvPKT0_PKbPfi
; %bb.0:
	s_load_dwordx4 s[8:11], s[4:5], 0x0
	s_waitcnt lgkmcnt(0)
	s_cmp_eq_u64 s[10:11], 0
	s_cselect_b64 s[0:1], -1, 0
	s_and_b64 vcc, exec, s[0:1]
	s_cbranch_vccnz .LBB86_2
; %bb.1:
	v_mov_b32_e32 v1, s6
	global_load_ubyte v1, v1, s[10:11]
	s_waitcnt vmcnt(0)
	v_and_b32_e32 v1, 1, v1
	v_cmp_eq_u32_e32 vcc, 1, v1
	s_xor_b64 s[0:1], vcc, -1
.LBB86_2:
	s_andn2_b64 vcc, exec, s[0:1]
	s_cbranch_vccnz .LBB86_26
; %bb.3:
	s_load_dword s16, s[4:5], 0x18
	s_load_dwordx2 s[10:11], s[4:5], 0x10
	v_mov_b32_e32 v6, 0xff7fffff
	s_waitcnt lgkmcnt(0)
	s_mul_i32 s6, s6, s16
	v_add_u32_e32 v2, s6, v0
	v_cmp_gt_i32_e64 s[0:1], s16, v0
	v_ashrrev_i32_e32 v3, 31, v2
	s_and_saveexec_b64 s[2:3], s[0:1]
	s_cbranch_execz .LBB86_7
; %bb.4:
	v_lshlrev_b64 v[4:5], 1, v[2:3]
	v_mov_b32_e32 v1, s9
	v_add_co_u32_e32 v4, vcc, s8, v4
	v_addc_co_u32_e32 v5, vcc, v1, v5, vcc
	s_mov_b64 s[4:5], 0
	v_mov_b32_e32 v6, 0xff7fffff
	v_mov_b32_e32 v1, v0
.LBB86_5:                               ; =>This Inner Loop Header: Depth=1
	global_load_ushort v7, v[4:5], off
	v_add_co_u32_e32 v4, vcc, 0x200, v4
	v_add_u32_e32 v1, 0x100, v1
	v_addc_co_u32_e32 v5, vcc, 0, v5, vcc
	v_max_f32_e32 v6, v6, v6
	v_cmp_le_i32_e32 vcc, s16, v1
	s_or_b64 s[4:5], vcc, s[4:5]
	s_waitcnt vmcnt(0)
	v_cvt_f32_f16_e32 v7, v7
	v_max_f32_e32 v6, v7, v6
	s_andn2_b64 exec, exec, s[4:5]
	s_cbranch_execnz .LBB86_5
; %bb.6:
	s_or_b64 exec, exec, s[4:5]
.LBB86_7:
	s_or_b64 exec, exec, s[2:3]
	v_mov_b32_dpp v4, v6 quad_perm:[1,0,3,2] row_mask:0xf bank_mask:0xf
	v_cmp_gt_f32_e32 vcc, v6, v4
	v_cndmask_b32_e32 v4, v4, v6, vcc
	v_mbcnt_lo_u32_b32 v1, -1, 0
	v_mbcnt_hi_u32_b32 v1, -1, v1
	v_mov_b32_dpp v5, v4 quad_perm:[2,3,0,1] row_mask:0xf bank_mask:0xf
	v_cmp_gt_f32_e32 vcc, v4, v5
	v_cndmask_b32_e32 v4, v5, v4, vcc
	v_cmp_eq_u32_e64 s[2:3], 0, v1
	v_lshrrev_b32_e32 v7, 4, v0
	v_mov_b32_dpp v5, v4 row_ror:4 row_mask:0xf bank_mask:0xf
	v_cmp_gt_f32_e32 vcc, v4, v5
	v_cndmask_b32_e32 v4, v5, v4, vcc
	s_nop 1
	v_mov_b32_dpp v5, v4 row_ror:8 row_mask:0xf bank_mask:0xf
	v_cmp_gt_f32_e32 vcc, v4, v5
	v_cndmask_b32_e32 v4, v5, v4, vcc
	s_nop 1
	v_mov_b32_dpp v5, v4 row_bcast:15 row_mask:0xf bank_mask:0xf
	v_cmp_gt_f32_e32 vcc, v4, v5
	v_cndmask_b32_e32 v4, v5, v4, vcc
	s_nop 1
	v_mov_b32_dpp v5, v4 row_bcast:31 row_mask:0xf bank_mask:0xf
	v_cmp_gt_f32_e32 vcc, v4, v5
	v_cndmask_b32_e32 v4, v5, v4, vcc
	v_bfrev_b32_e32 v5, 0.5
	v_lshl_or_b32 v8, v1, 2, v5
	ds_bpermute_b32 v4, v8, v4
	s_and_saveexec_b64 s[4:5], s[2:3]
	s_cbranch_execz .LBB86_9
; %bb.8:
	v_and_b32_e32 v5, 12, v7
	s_waitcnt lgkmcnt(0)
	ds_write_b32 v5, v4
.LBB86_9:
	s_or_b64 exec, exec, s[4:5]
	v_cmp_gt_u32_e64 s[4:5], 64, v0
	v_and_b32_e32 v6, 3, v1
	s_waitcnt lgkmcnt(0)
	s_barrier
	s_and_saveexec_b64 s[6:7], s[4:5]
	s_cbranch_execz .LBB86_11
; %bb.10:
	v_lshlrev_b32_e32 v4, 2, v6
	ds_read_b32 v4, v4
	v_cmp_ne_u32_e32 vcc, 3, v6
	v_addc_co_u32_e32 v5, vcc, 0, v1, vcc
	v_lshlrev_b32_e32 v5, 2, v5
	s_waitcnt lgkmcnt(0)
	ds_bpermute_b32 v5, v5, v4
	v_cmp_gt_u32_e32 vcc, 2, v6
	v_cndmask_b32_e64 v9, 0, 1, vcc
	v_lshlrev_b32_e32 v9, 1, v9
	s_waitcnt lgkmcnt(0)
	v_cmp_lt_f32_e32 vcc, v4, v5
	v_cndmask_b32_e32 v4, v4, v5, vcc
	v_add_lshl_u32 v5, v9, v1, 2
	ds_bpermute_b32 v5, v5, v4
	s_waitcnt lgkmcnt(0)
	v_cmp_lt_f32_e32 vcc, v4, v5
	v_cndmask_b32_e32 v4, v4, v5, vcc
.LBB86_11:
	s_or_b64 exec, exec, s[6:7]
	v_cmp_eq_u32_e64 s[6:7], 0, v0
	s_and_saveexec_b64 s[12:13], s[6:7]
	s_cbranch_execz .LBB86_13
; %bb.12:
	v_mov_b32_e32 v5, 0
	ds_write_b32 v5, v4 offset:20
.LBB86_13:
	s_or_b64 exec, exec, s[12:13]
	v_mov_b32_e32 v9, 0
	s_waitcnt lgkmcnt(0)
	s_barrier
	s_and_saveexec_b64 s[12:13], s[0:1]
	s_cbranch_execz .LBB86_17
; %bb.14:
	v_mov_b32_e32 v9, 0
	ds_read_b32 v10, v9 offset:20
	v_lshlrev_b64 v[4:5], 1, v[2:3]
	v_mov_b32_e32 v11, s9
	v_add_co_u32_e32 v4, vcc, s8, v4
	v_addc_co_u32_e32 v5, vcc, v11, v5, vcc
	s_mov_b64 s[14:15], 0
	s_mov_b32 s17, 0x3fb8aa3b
	s_mov_b32 s18, 0xc2ce8ed0
	s_mov_b32 s19, 0x42b17218
	v_mov_b32_e32 v11, 0x7f800000
	v_mov_b32_e32 v12, v0
.LBB86_15:                              ; =>This Inner Loop Header: Depth=1
	global_load_ushort v13, v[4:5], off
	v_add_co_u32_e32 v4, vcc, 0x200, v4
	v_add_u32_e32 v12, 0x100, v12
	v_addc_co_u32_e32 v5, vcc, 0, v5, vcc
	v_cmp_le_i32_e32 vcc, s16, v12
	s_or_b64 s[14:15], vcc, s[14:15]
	s_waitcnt vmcnt(0)
	v_cvt_f32_f16_e32 v13, v13
	s_waitcnt lgkmcnt(0)
	v_sub_f32_e32 v13, v13, v10
	v_mul_f32_e32 v14, 0x3fb8aa3b, v13
	v_fma_f32 v15, v13, s17, -v14
	v_rndne_f32_e32 v16, v14
	v_fmac_f32_e32 v15, 0x32a5705f, v13
	v_sub_f32_e32 v14, v14, v16
	v_add_f32_e32 v14, v14, v15
	v_cvt_i32_f32_e32 v16, v16
	v_exp_f32_e32 v14, v14
	v_cmp_ngt_f32_e32 vcc, s18, v13
	v_ldexp_f32 v14, v14, v16
	v_cndmask_b32_e32 v14, 0, v14, vcc
	v_cmp_nlt_f32_e32 vcc, s19, v13
	v_cndmask_b32_e32 v13, v11, v14, vcc
	v_add_f32_e32 v9, v9, v13
	s_andn2_b64 exec, exec, s[14:15]
	s_cbranch_execnz .LBB86_15
; %bb.16:
	s_or_b64 exec, exec, s[14:15]
.LBB86_17:
	s_or_b64 exec, exec, s[12:13]
	v_mov_b32_dpp v4, v9 quad_perm:[1,0,3,2] row_mask:0xf bank_mask:0xf
	v_add_f32_e32 v4, v9, v4
	s_nop 1
	v_mov_b32_dpp v5, v4 quad_perm:[2,3,0,1] row_mask:0xf bank_mask:0xf
	v_add_f32_e32 v4, v4, v5
	s_nop 1
	v_mov_b32_dpp v5, v4 row_ror:4 row_mask:0xf bank_mask:0xf
	v_add_f32_e32 v4, v4, v5
	s_nop 1
	v_mov_b32_dpp v5, v4 row_ror:8 row_mask:0xf bank_mask:0xf
	v_add_f32_e32 v4, v4, v5
	s_nop 1
	v_mov_b32_dpp v5, v4 row_bcast:15 row_mask:0xf bank_mask:0xf
	v_add_f32_e32 v4, v4, v5
	s_nop 1
	v_mov_b32_dpp v5, v4 row_bcast:31 row_mask:0xf bank_mask:0xf
	v_add_f32_e32 v4, v4, v5
	ds_bpermute_b32 v4, v8, v4
	s_and_saveexec_b64 s[12:13], s[2:3]
	s_cbranch_execz .LBB86_19
; %bb.18:
	v_and_b32_e32 v5, 12, v7
	s_waitcnt lgkmcnt(0)
	ds_write_b32 v5, v4
.LBB86_19:
	s_or_b64 exec, exec, s[12:13]
	s_waitcnt lgkmcnt(0)
	s_barrier
	s_and_saveexec_b64 s[2:3], s[4:5]
	s_cbranch_execz .LBB86_21
; %bb.20:
	v_lshlrev_b32_e32 v4, 2, v6
	ds_read_b32 v4, v4
	v_cmp_ne_u32_e32 vcc, 3, v6
	v_addc_co_u32_e32 v5, vcc, 0, v1, vcc
	v_lshlrev_b32_e32 v5, 2, v5
	s_waitcnt lgkmcnt(0)
	ds_bpermute_b32 v5, v5, v4
	v_cmp_gt_u32_e32 vcc, 2, v6
	v_cndmask_b32_e64 v6, 0, 1, vcc
	v_lshlrev_b32_e32 v6, 1, v6
	v_add_lshl_u32 v1, v6, v1, 2
	s_waitcnt lgkmcnt(0)
	v_add_f32_e32 v4, v4, v5
	ds_bpermute_b32 v1, v1, v4
	s_waitcnt lgkmcnt(0)
	v_add_f32_e32 v4, v4, v1
.LBB86_21:
	s_or_b64 exec, exec, s[2:3]
	s_and_saveexec_b64 s[2:3], s[6:7]
	s_cbranch_execz .LBB86_23
; %bb.22:
	v_div_scale_f32 v1, s[4:5], v4, v4, 1.0
	v_rcp_f32_e32 v5, v1
	v_div_scale_f32 v6, vcc, 1.0, v4, 1.0
	v_fma_f32 v7, -v1, v5, 1.0
	v_fmac_f32_e32 v5, v7, v5
	v_mul_f32_e32 v7, v6, v5
	v_fma_f32 v8, -v1, v7, v6
	v_fmac_f32_e32 v7, v8, v5
	v_fma_f32 v1, -v1, v7, v6
	v_div_fmas_f32 v1, v1, v5, v7
	v_div_fixup_f32 v1, v1, v4, 1.0
	v_mov_b32_e32 v4, 0
	ds_write_b32 v4, v1 offset:16
.LBB86_23:
	s_or_b64 exec, exec, s[2:3]
	s_waitcnt lgkmcnt(0)
	s_barrier
	s_and_saveexec_b64 s[2:3], s[0:1]
	s_cbranch_execz .LBB86_26
; %bb.24:
	v_mov_b32_e32 v1, 0
	ds_read_b64 v[4:5], v1 offset:16
	v_lshlrev_b64 v[6:7], 1, v[2:3]
	v_mov_b32_e32 v1, s9
	v_add_co_u32_e32 v6, vcc, s8, v6
	v_addc_co_u32_e32 v7, vcc, v1, v7, vcc
	v_lshlrev_b64 v[2:3], 2, v[2:3]
	v_mov_b32_e32 v1, s11
	v_add_co_u32_e32 v2, vcc, s10, v2
	v_addc_co_u32_e32 v3, vcc, v1, v3, vcc
	s_mov_b64 s[0:1], 0
	s_mov_b32 s2, 0x3fb8aa3b
	s_mov_b32 s3, 0xc2ce8ed0
	;; [unrolled: 1-line block ×3, first 2 shown]
	v_mov_b32_e32 v1, 0x7f800000
	s_movk_i32 s5, 0x1f8
.LBB86_25:                              ; =>This Inner Loop Header: Depth=1
	global_load_ushort v8, v[6:7], off
	v_add_co_u32_e32 v6, vcc, 0x200, v6
	v_add_u32_e32 v0, 0x100, v0
	v_addc_co_u32_e32 v7, vcc, 0, v7, vcc
	v_cmp_le_i32_e32 vcc, s16, v0
	s_or_b64 s[0:1], vcc, s[0:1]
	s_waitcnt vmcnt(0)
	v_cvt_f32_f16_e32 v8, v8
	s_waitcnt lgkmcnt(0)
	v_sub_f32_e32 v8, v8, v5
	v_mul_f32_e32 v9, 0x3fb8aa3b, v8
	v_fma_f32 v10, v8, s2, -v9
	v_rndne_f32_e32 v11, v9
	v_fmac_f32_e32 v10, 0x32a5705f, v8
	v_sub_f32_e32 v9, v9, v11
	v_add_f32_e32 v9, v9, v10
	v_cvt_i32_f32_e32 v11, v11
	v_exp_f32_e32 v9, v9
	v_cmp_ngt_f32_e32 vcc, s3, v8
	v_ldexp_f32 v9, v9, v11
	v_cndmask_b32_e32 v9, 0, v9, vcc
	v_cmp_nlt_f32_e32 vcc, s4, v8
	v_cndmask_b32_e32 v8, v1, v9, vcc
	v_mul_f32_e32 v8, v4, v8
	v_cmp_class_f32_e64 vcc, v8, s5
	v_cndmask_b32_e32 v8, 0, v8, vcc
	global_store_dword v[2:3], v8, off
	v_add_co_u32_e32 v2, vcc, 0x400, v2
	v_addc_co_u32_e32 v3, vcc, 0, v3, vcc
	s_andn2_b64 exec, exec, s[0:1]
	s_cbranch_execnz .LBB86_25
.LBB86_26:
	s_endpgm
	.section	.rodata,"a",@progbits
	.p2align	6, 0x0
	.amdhsa_kernel _ZN4vllm3moe10moeSoftmaxILi256E6__halfEEvPKT0_PKbPfi
		.amdhsa_group_segment_fixed_size 24
		.amdhsa_private_segment_fixed_size 0
		.amdhsa_kernarg_size 28
		.amdhsa_user_sgpr_count 6
		.amdhsa_user_sgpr_private_segment_buffer 1
		.amdhsa_user_sgpr_dispatch_ptr 0
		.amdhsa_user_sgpr_queue_ptr 0
		.amdhsa_user_sgpr_kernarg_segment_ptr 1
		.amdhsa_user_sgpr_dispatch_id 0
		.amdhsa_user_sgpr_flat_scratch_init 0
		.amdhsa_user_sgpr_kernarg_preload_length 0
		.amdhsa_user_sgpr_kernarg_preload_offset 0
		.amdhsa_user_sgpr_private_segment_size 0
		.amdhsa_uses_dynamic_stack 0
		.amdhsa_system_sgpr_private_segment_wavefront_offset 0
		.amdhsa_system_sgpr_workgroup_id_x 1
		.amdhsa_system_sgpr_workgroup_id_y 0
		.amdhsa_system_sgpr_workgroup_id_z 0
		.amdhsa_system_sgpr_workgroup_info 0
		.amdhsa_system_vgpr_workitem_id 0
		.amdhsa_next_free_vgpr 17
		.amdhsa_next_free_sgpr 20
		.amdhsa_accum_offset 20
		.amdhsa_reserve_vcc 1
		.amdhsa_reserve_flat_scratch 0
		.amdhsa_float_round_mode_32 0
		.amdhsa_float_round_mode_16_64 0
		.amdhsa_float_denorm_mode_32 3
		.amdhsa_float_denorm_mode_16_64 3
		.amdhsa_dx10_clamp 1
		.amdhsa_ieee_mode 1
		.amdhsa_fp16_overflow 0
		.amdhsa_tg_split 0
		.amdhsa_exception_fp_ieee_invalid_op 0
		.amdhsa_exception_fp_denorm_src 0
		.amdhsa_exception_fp_ieee_div_zero 0
		.amdhsa_exception_fp_ieee_overflow 0
		.amdhsa_exception_fp_ieee_underflow 0
		.amdhsa_exception_fp_ieee_inexact 0
		.amdhsa_exception_int_div_zero 0
	.end_amdhsa_kernel
	.section	.text._ZN4vllm3moe10moeSoftmaxILi256E6__halfEEvPKT0_PKbPfi,"axG",@progbits,_ZN4vllm3moe10moeSoftmaxILi256E6__halfEEvPKT0_PKbPfi,comdat
.Lfunc_end86:
	.size	_ZN4vllm3moe10moeSoftmaxILi256E6__halfEEvPKT0_PKbPfi, .Lfunc_end86-_ZN4vllm3moe10moeSoftmaxILi256E6__halfEEvPKT0_PKbPfi
                                        ; -- End function
	.section	.AMDGPU.csdata,"",@progbits
; Kernel info:
; codeLenInByte = 1400
; NumSgprs: 24
; NumVgprs: 17
; NumAgprs: 0
; TotalNumVgprs: 17
; ScratchSize: 0
; MemoryBound: 0
; FloatMode: 240
; IeeeMode: 1
; LDSByteSize: 24 bytes/workgroup (compile time only)
; SGPRBlocks: 2
; VGPRBlocks: 2
; NumSGPRsForWavesPerEU: 24
; NumVGPRsForWavesPerEU: 17
; AccumOffset: 20
; Occupancy: 8
; WaveLimiterHint : 0
; COMPUTE_PGM_RSRC2:SCRATCH_EN: 0
; COMPUTE_PGM_RSRC2:USER_SGPR: 6
; COMPUTE_PGM_RSRC2:TRAP_HANDLER: 0
; COMPUTE_PGM_RSRC2:TGID_X_EN: 1
; COMPUTE_PGM_RSRC2:TGID_Y_EN: 0
; COMPUTE_PGM_RSRC2:TGID_Z_EN: 0
; COMPUTE_PGM_RSRC2:TIDIG_COMP_CNT: 0
; COMPUTE_PGM_RSRC3_GFX90A:ACCUM_OFFSET: 4
; COMPUTE_PGM_RSRC3_GFX90A:TG_SPLIT: 0
	.section	.text._ZN4vllm3moe10topkGatingILi1ELi1ELi4ELi2ELi64Ej6__halfLNS0_11ScoringFuncE0EEEvPKT5_PKbPfiPT4_PiiiibPKf,"axG",@progbits,_ZN4vllm3moe10topkGatingILi1ELi1ELi4ELi2ELi64Ej6__halfLNS0_11ScoringFuncE0EEEvPKT5_PKbPfiPT4_PiiiibPKf,comdat
	.protected	_ZN4vllm3moe10topkGatingILi1ELi1ELi4ELi2ELi64Ej6__halfLNS0_11ScoringFuncE0EEEvPKT5_PKbPfiPT4_PiiiibPKf ; -- Begin function _ZN4vllm3moe10topkGatingILi1ELi1ELi4ELi2ELi64Ej6__halfLNS0_11ScoringFuncE0EEEvPKT5_PKbPfiPT4_PiiiibPKf
	.globl	_ZN4vllm3moe10topkGatingILi1ELi1ELi4ELi2ELi64Ej6__halfLNS0_11ScoringFuncE0EEEvPKT5_PKbPfiPT4_PiiiibPKf
	.p2align	8
	.type	_ZN4vllm3moe10topkGatingILi1ELi1ELi4ELi2ELi64Ej6__halfLNS0_11ScoringFuncE0EEEvPKT5_PKbPfiPT4_PiiiibPKf,@function
_ZN4vllm3moe10topkGatingILi1ELi1ELi4ELi2ELi64Ej6__halfLNS0_11ScoringFuncE0EEEvPKT5_PKbPfiPT4_PiiiibPKf: ; @_ZN4vllm3moe10topkGatingILi1ELi1ELi4ELi2ELi64Ej6__halfLNS0_11ScoringFuncE0EEEvPKT5_PKbPfiPT4_PiiiibPKf
; %bb.0:
	s_load_dword s18, s[4:5], 0x18
	v_bfe_u32 v1, v0, 10, 10
	s_lshl_b32 s0, s6, 8
	v_lshlrev_b32_e32 v1, 6, v1
	v_and_b32_e32 v0, 0x3ff, v0
	v_add3_u32 v0, v1, v0, s0
	s_waitcnt lgkmcnt(0)
	v_cmp_gt_i32_e32 vcc, s18, v0
	s_and_saveexec_b64 s[0:1], vcc
	s_cbranch_execz .LBB87_17
; %bb.1:
	s_load_dwordx4 s[12:15], s[4:5], 0x0
	s_load_dwordx2 s[2:3], s[4:5], 0x10
	v_ashrrev_i32_e32 v1, 31, v0
	s_waitcnt lgkmcnt(0)
	s_cmp_eq_u64 s[14:15], 0
	s_cbranch_scc1 .LBB87_3
; %bb.2:
	v_mov_b32_e32 v3, s15
	v_add_co_u32_e32 v2, vcc, s14, v0
	v_addc_co_u32_e32 v3, vcc, v3, v1, vcc
	global_load_ubyte v2, v[2:3], off
	s_waitcnt vmcnt(0)
	v_and_b32_e32 v2, 1, v2
	v_cmp_eq_u32_e32 vcc, 1, v2
	s_xor_b64 s[0:1], vcc, -1
	s_orn2_b64 s[16:17], s[0:1], exec
	s_branch .LBB87_4
.LBB87_3:
	s_mov_b64 s[16:17], -1
.LBB87_4:
	s_load_dwordx4 s[8:11], s[4:5], 0x30
	s_waitcnt lgkmcnt(0)
	s_bitcmp1_b32 s11, 0
	s_cselect_b64 s[0:1], -1, 0
	s_cmp_gt_i32 s8, 0
	s_cselect_b64 s[14:15], -1, 0
	s_cmp_lt_i32 s8, 1
	s_cbranch_scc1 .LBB87_8
; %bb.5:
	v_lshlrev_b64 v[2:3], 1, v[0:1]
	v_mov_b32_e32 v1, s13
	v_add_co_u32_e32 v2, vcc, s12, v2
	v_addc_co_u32_e32 v3, vcc, v1, v3, vcc
	global_load_ushort v4, v[2:3], off
	s_mov_b32 s19, 0x3fb8aa3b
	v_mul_lo_u32 v2, v0, s8
	s_load_dwordx4 s[4:7], s[4:5], 0x20
	s_cmp_lt_i32 s9, 1
	v_ashrrev_i32_e32 v3, 31, v2
	s_cselect_b64 s[12:13], -1, 0
	s_cmp_gt_i32 s10, 0
	v_lshlrev_b64 v[6:7], 2, v[2:3]
	v_mov_b32_e32 v5, s3
	s_cselect_b64 s[10:11], -1, 0
	v_add_co_u32_e32 v2, vcc, s2, v6
	s_sub_i32 s9, 0, s9
	s_and_b64 s[10:11], s[12:13], s[10:11]
	v_addc_co_u32_e32 v3, vcc, v5, v7, vcc
	v_mov_b32_e32 v9, s9
	s_and_b64 vcc, s[16:17], s[10:11]
	v_cndmask_b32_e32 v9, 1, v9, vcc
	s_waitcnt lgkmcnt(0)
	v_mov_b32_e32 v5, s5
	s_mov_b32 s20, 0xc2ce8ed0
	s_mov_b32 s21, 0x42b17218
	v_mov_b32_e32 v10, 0x7f800000
	v_mov_b32_e32 v11, s7
	s_movk_i32 s22, 0x1f8
	v_mov_b32_e32 v1, 0
	v_mov_b32_e32 v8, v0
	s_waitcnt vmcnt(0)
	v_cvt_f32_f16_e32 v4, v4
	v_sub_f32_e32 v12, v4, v4
	v_mul_f32_e32 v4, 0x3fb8aa3b, v12
	v_fma_f32 v13, v12, s19, -v4
	v_rndne_f32_e32 v14, v4
	v_fmac_f32_e32 v13, 0x32a5705f, v12
	v_sub_f32_e32 v4, v4, v14
	v_add_f32_e32 v4, v4, v13
	v_cvt_i32_f32_e32 v14, v14
	v_exp_f32_e32 v13, v4
	v_add_co_u32_e32 v4, vcc, s4, v6
	v_addc_co_u32_e32 v5, vcc, v5, v7, vcc
	v_ldexp_f32 v13, v13, v14
	v_cmp_ngt_f32_e32 vcc, s20, v12
	v_cndmask_b32_e32 v13, 0, v13, vcc
	v_cmp_nlt_f32_e32 vcc, s21, v12
	v_cndmask_b32_e32 v10, v10, v13, vcc
	v_div_scale_f32 v12, s[4:5], v10, v10, 1.0
	v_rcp_f32_e32 v13, v12
	v_add_co_u32_e32 v6, vcc, s6, v6
	v_addc_co_u32_e32 v7, vcc, v11, v7, vcc
	v_fma_f32 v14, -v12, v13, 1.0
	v_div_scale_f32 v11, vcc, 1.0, v10, 1.0
	v_fmac_f32_e32 v13, v14, v13
	v_mul_f32_e32 v14, v11, v13
	v_fma_f32 v15, -v12, v14, v11
	v_fmac_f32_e32 v14, v15, v13
	v_fma_f32 v11, -v12, v14, v11
	v_div_fmas_f32 v11, v11, v13, v14
	v_div_fixup_f32 v11, v11, v10, 1.0
	v_mul_f32_e32 v10, v10, v11
	v_cmp_class_f32_e64 vcc, v10, s22
	v_cndmask_b32_e32 v10, 0, v10, vcc
	s_mov_b32 s4, s8
.LBB87_6:                               ; =>This Inner Loop Header: Depth=1
	global_store_dword v[2:3], v10, off
	global_store_dword v[4:5], v9, off
	;; [unrolled: 1-line block ×3, first 2 shown]
	v_add_co_u32_e32 v2, vcc, 4, v2
	v_addc_co_u32_e32 v3, vcc, 0, v3, vcc
	v_add_co_u32_e32 v4, vcc, 4, v4
	v_addc_co_u32_e32 v5, vcc, 0, v5, vcc
	v_add_f32_e32 v11, v1, v10
	s_add_i32 s4, s4, -1
	v_add_co_u32_e32 v6, vcc, 4, v6
	v_cndmask_b32_e64 v1, v1, v11, s[0:1]
	v_add_u32_e32 v8, s18, v8
	s_cmp_lg_u32 s4, 0
	v_addc_co_u32_e32 v7, vcc, 0, v7, vcc
	s_cbranch_scc1 .LBB87_6
; %bb.7:
	s_andn2_b64 vcc, exec, s[0:1]
	s_cbranch_vccz .LBB87_9
	s_branch .LBB87_17
.LBB87_8:
	v_mov_b32_e32 v1, 0
	s_andn2_b64 vcc, exec, s[0:1]
	s_cbranch_vccnz .LBB87_17
.LBB87_9:
	s_andn2_b64 vcc, exec, s[14:15]
	s_cbranch_vccnz .LBB87_17
; %bb.10:
	v_cmp_lt_f32_e32 vcc, 0, v1
	s_mov_b32 s4, 0
	v_cndmask_b32_e32 v2, 1.0, v1, vcc
	v_mul_lo_u32 v0, v0, s8
	s_cmp_eq_u32 s8, 1
	s_mov_b64 s[0:1], -1
	s_cbranch_scc1 .LBB87_14
; %bb.11:
	s_and_b32 s4, s8, 0x7ffffffe
	v_mov_b32_e32 v1, v2
	v_mov_b32_e32 v3, s3
	s_mov_b32 s5, s4
	v_mov_b32_e32 v4, v0
.LBB87_12:                              ; =>This Inner Loop Header: Depth=1
	v_ashrrev_i32_e32 v5, 31, v4
	v_lshlrev_b64 v[6:7], 2, v[4:5]
	v_add_co_u32_e32 v6, vcc, s2, v6
	v_addc_co_u32_e32 v7, vcc, v3, v7, vcc
	global_load_dwordx2 v[8:9], v[6:7], off
	s_add_i32 s5, s5, -2
	s_cmp_lg_u32 s5, 0
	v_add_u32_e32 v4, 2, v4
	s_waitcnt vmcnt(0)
	v_div_scale_f32 v5, s[0:1], v1, v1, v9
	v_div_scale_f32 v11, s[0:1], v2, v2, v8
	v_rcp_f32_e32 v12, v5
	v_rcp_f32_e32 v13, v11
	v_div_scale_f32 v10, vcc, v9, v1, v9
	v_fma_f32 v15, -v5, v12, 1.0
	v_fma_f32 v16, -v11, v13, 1.0
	v_fmac_f32_e32 v12, v15, v12
	v_div_scale_f32 v14, s[0:1], v8, v2, v8
	v_fmac_f32_e32 v13, v16, v13
	v_mul_f32_e32 v15, v10, v12
	v_mul_f32_e32 v16, v14, v13
	v_fma_f32 v17, -v5, v15, v10
	v_fma_f32 v18, -v11, v16, v14
	v_fmac_f32_e32 v15, v17, v12
	v_fmac_f32_e32 v16, v18, v13
	v_fma_f32 v5, -v5, v15, v10
	v_fma_f32 v10, -v11, v16, v14
	v_div_fmas_f32 v5, v5, v12, v15
	s_mov_b64 vcc, s[0:1]
	v_div_fixup_f32 v9, v5, v1, v9
	v_div_fmas_f32 v5, v10, v13, v16
	v_div_fixup_f32 v8, v5, v2, v8
	global_store_dwordx2 v[6:7], v[8:9], off
	s_cbranch_scc1 .LBB87_12
; %bb.13:
	s_cmp_lg_u32 s4, s8
	s_cselect_b64 s[0:1], -1, 0
.LBB87_14:
	s_and_b64 vcc, exec, s[0:1]
	s_cbranch_vccz .LBB87_17
; %bb.15:
	v_ashrrev_i32_e32 v1, 31, v0
	v_add_co_u32_e32 v0, vcc, s4, v0
	v_addc_co_u32_e32 v1, vcc, 0, v1, vcc
	v_lshlrev_b64 v[0:1], 2, v[0:1]
	v_mov_b32_e32 v3, s3
	v_add_co_u32_e32 v0, vcc, s2, v0
	s_sub_i32 s0, s8, s4
	v_addc_co_u32_e32 v1, vcc, v3, v1, vcc
.LBB87_16:                              ; =>This Inner Loop Header: Depth=1
	global_load_dword v3, v[0:1], off
	s_add_i32 s0, s0, -1
	s_cmp_lg_u32 s0, 0
	s_waitcnt vmcnt(0)
	v_div_scale_f32 v4, s[2:3], v2, v2, v3
	v_rcp_f32_e32 v5, v4
	v_div_scale_f32 v6, vcc, v3, v2, v3
	v_fma_f32 v7, -v4, v5, 1.0
	v_fmac_f32_e32 v5, v7, v5
	v_mul_f32_e32 v7, v6, v5
	v_fma_f32 v8, -v4, v7, v6
	v_fmac_f32_e32 v7, v8, v5
	v_fma_f32 v4, -v4, v7, v6
	v_div_fmas_f32 v4, v4, v5, v7
	v_div_fixup_f32 v3, v4, v2, v3
	global_store_dword v[0:1], v3, off
	v_add_co_u32_e32 v0, vcc, 4, v0
	v_addc_co_u32_e32 v1, vcc, 0, v1, vcc
	s_cbranch_scc1 .LBB87_16
.LBB87_17:
	s_endpgm
	.section	.rodata,"a",@progbits
	.p2align	6, 0x0
	.amdhsa_kernel _ZN4vllm3moe10topkGatingILi1ELi1ELi4ELi2ELi64Ej6__halfLNS0_11ScoringFuncE0EEEvPKT5_PKbPfiPT4_PiiiibPKf
		.amdhsa_group_segment_fixed_size 0
		.amdhsa_private_segment_fixed_size 0
		.amdhsa_kernarg_size 72
		.amdhsa_user_sgpr_count 6
		.amdhsa_user_sgpr_private_segment_buffer 1
		.amdhsa_user_sgpr_dispatch_ptr 0
		.amdhsa_user_sgpr_queue_ptr 0
		.amdhsa_user_sgpr_kernarg_segment_ptr 1
		.amdhsa_user_sgpr_dispatch_id 0
		.amdhsa_user_sgpr_flat_scratch_init 0
		.amdhsa_user_sgpr_kernarg_preload_length 0
		.amdhsa_user_sgpr_kernarg_preload_offset 0
		.amdhsa_user_sgpr_private_segment_size 0
		.amdhsa_uses_dynamic_stack 0
		.amdhsa_system_sgpr_private_segment_wavefront_offset 0
		.amdhsa_system_sgpr_workgroup_id_x 1
		.amdhsa_system_sgpr_workgroup_id_y 0
		.amdhsa_system_sgpr_workgroup_id_z 0
		.amdhsa_system_sgpr_workgroup_info 0
		.amdhsa_system_vgpr_workitem_id 1
		.amdhsa_next_free_vgpr 19
		.amdhsa_next_free_sgpr 23
		.amdhsa_accum_offset 20
		.amdhsa_reserve_vcc 1
		.amdhsa_reserve_flat_scratch 0
		.amdhsa_float_round_mode_32 0
		.amdhsa_float_round_mode_16_64 0
		.amdhsa_float_denorm_mode_32 3
		.amdhsa_float_denorm_mode_16_64 3
		.amdhsa_dx10_clamp 1
		.amdhsa_ieee_mode 1
		.amdhsa_fp16_overflow 0
		.amdhsa_tg_split 0
		.amdhsa_exception_fp_ieee_invalid_op 0
		.amdhsa_exception_fp_denorm_src 0
		.amdhsa_exception_fp_ieee_div_zero 0
		.amdhsa_exception_fp_ieee_overflow 0
		.amdhsa_exception_fp_ieee_underflow 0
		.amdhsa_exception_fp_ieee_inexact 0
		.amdhsa_exception_int_div_zero 0
	.end_amdhsa_kernel
	.section	.text._ZN4vllm3moe10topkGatingILi1ELi1ELi4ELi2ELi64Ej6__halfLNS0_11ScoringFuncE0EEEvPKT5_PKbPfiPT4_PiiiibPKf,"axG",@progbits,_ZN4vllm3moe10topkGatingILi1ELi1ELi4ELi2ELi64Ej6__halfLNS0_11ScoringFuncE0EEEvPKT5_PKbPfiPT4_PiiiibPKf,comdat
.Lfunc_end87:
	.size	_ZN4vllm3moe10topkGatingILi1ELi1ELi4ELi2ELi64Ej6__halfLNS0_11ScoringFuncE0EEEvPKT5_PKbPfiPT4_PiiiibPKf, .Lfunc_end87-_ZN4vllm3moe10topkGatingILi1ELi1ELi4ELi2ELi64Ej6__halfLNS0_11ScoringFuncE0EEEvPKT5_PKbPfiPT4_PiiiibPKf
                                        ; -- End function
	.section	.AMDGPU.csdata,"",@progbits
; Kernel info:
; codeLenInByte = 1056
; NumSgprs: 27
; NumVgprs: 19
; NumAgprs: 0
; TotalNumVgprs: 19
; ScratchSize: 0
; MemoryBound: 0
; FloatMode: 240
; IeeeMode: 1
; LDSByteSize: 0 bytes/workgroup (compile time only)
; SGPRBlocks: 3
; VGPRBlocks: 2
; NumSGPRsForWavesPerEU: 27
; NumVGPRsForWavesPerEU: 19
; AccumOffset: 20
; Occupancy: 8
; WaveLimiterHint : 0
; COMPUTE_PGM_RSRC2:SCRATCH_EN: 0
; COMPUTE_PGM_RSRC2:USER_SGPR: 6
; COMPUTE_PGM_RSRC2:TRAP_HANDLER: 0
; COMPUTE_PGM_RSRC2:TGID_X_EN: 1
; COMPUTE_PGM_RSRC2:TGID_Y_EN: 0
; COMPUTE_PGM_RSRC2:TGID_Z_EN: 0
; COMPUTE_PGM_RSRC2:TIDIG_COMP_CNT: 1
; COMPUTE_PGM_RSRC3_GFX90A:ACCUM_OFFSET: 4
; COMPUTE_PGM_RSRC3_GFX90A:TG_SPLIT: 0
	.section	.text._ZN4vllm3moe10topkGatingILi1ELi1ELi4ELi2ELi32Ej6__halfLNS0_11ScoringFuncE0EEEvPKT5_PKbPfiPT4_PiiiibPKf,"axG",@progbits,_ZN4vllm3moe10topkGatingILi1ELi1ELi4ELi2ELi32Ej6__halfLNS0_11ScoringFuncE0EEEvPKT5_PKbPfiPT4_PiiiibPKf,comdat
	.protected	_ZN4vllm3moe10topkGatingILi1ELi1ELi4ELi2ELi32Ej6__halfLNS0_11ScoringFuncE0EEEvPKT5_PKbPfiPT4_PiiiibPKf ; -- Begin function _ZN4vllm3moe10topkGatingILi1ELi1ELi4ELi2ELi32Ej6__halfLNS0_11ScoringFuncE0EEEvPKT5_PKbPfiPT4_PiiiibPKf
	.globl	_ZN4vllm3moe10topkGatingILi1ELi1ELi4ELi2ELi32Ej6__halfLNS0_11ScoringFuncE0EEEvPKT5_PKbPfiPT4_PiiiibPKf
	.p2align	8
	.type	_ZN4vllm3moe10topkGatingILi1ELi1ELi4ELi2ELi32Ej6__halfLNS0_11ScoringFuncE0EEEvPKT5_PKbPfiPT4_PiiiibPKf,@function
_ZN4vllm3moe10topkGatingILi1ELi1ELi4ELi2ELi32Ej6__halfLNS0_11ScoringFuncE0EEEvPKT5_PKbPfiPT4_PiiiibPKf: ; @_ZN4vllm3moe10topkGatingILi1ELi1ELi4ELi2ELi32Ej6__halfLNS0_11ScoringFuncE0EEEvPKT5_PKbPfiPT4_PiiiibPKf
; %bb.0:
	s_load_dword s18, s[4:5], 0x18
	v_bfe_u32 v1, v0, 10, 10
	s_lshl_b32 s0, s6, 7
	v_lshlrev_b32_e32 v1, 5, v1
	v_and_b32_e32 v0, 0x3ff, v0
	v_add3_u32 v0, v1, v0, s0
	s_waitcnt lgkmcnt(0)
	v_cmp_gt_i32_e32 vcc, s18, v0
	s_and_saveexec_b64 s[0:1], vcc
	s_cbranch_execz .LBB88_17
; %bb.1:
	s_load_dwordx4 s[12:15], s[4:5], 0x0
	s_load_dwordx2 s[2:3], s[4:5], 0x10
	v_ashrrev_i32_e32 v1, 31, v0
	s_waitcnt lgkmcnt(0)
	s_cmp_eq_u64 s[14:15], 0
	s_cbranch_scc1 .LBB88_3
; %bb.2:
	v_mov_b32_e32 v3, s15
	v_add_co_u32_e32 v2, vcc, s14, v0
	v_addc_co_u32_e32 v3, vcc, v3, v1, vcc
	global_load_ubyte v2, v[2:3], off
	s_waitcnt vmcnt(0)
	v_and_b32_e32 v2, 1, v2
	v_cmp_eq_u32_e32 vcc, 1, v2
	s_xor_b64 s[0:1], vcc, -1
	s_orn2_b64 s[16:17], s[0:1], exec
	s_branch .LBB88_4
.LBB88_3:
	s_mov_b64 s[16:17], -1
.LBB88_4:
	s_load_dwordx4 s[8:11], s[4:5], 0x30
	s_waitcnt lgkmcnt(0)
	s_bitcmp1_b32 s11, 0
	s_cselect_b64 s[0:1], -1, 0
	s_cmp_gt_i32 s8, 0
	s_cselect_b64 s[14:15], -1, 0
	s_cmp_lt_i32 s8, 1
	s_cbranch_scc1 .LBB88_8
; %bb.5:
	v_lshlrev_b64 v[2:3], 1, v[0:1]
	v_mov_b32_e32 v1, s13
	v_add_co_u32_e32 v2, vcc, s12, v2
	v_addc_co_u32_e32 v3, vcc, v1, v3, vcc
	global_load_ushort v4, v[2:3], off
	s_mov_b32 s19, 0x3fb8aa3b
	v_mul_lo_u32 v2, v0, s8
	s_load_dwordx4 s[4:7], s[4:5], 0x20
	s_cmp_lt_i32 s9, 1
	v_ashrrev_i32_e32 v3, 31, v2
	s_cselect_b64 s[12:13], -1, 0
	s_cmp_gt_i32 s10, 0
	v_lshlrev_b64 v[6:7], 2, v[2:3]
	v_mov_b32_e32 v5, s3
	s_cselect_b64 s[10:11], -1, 0
	v_add_co_u32_e32 v2, vcc, s2, v6
	s_sub_i32 s9, 0, s9
	s_and_b64 s[10:11], s[12:13], s[10:11]
	v_addc_co_u32_e32 v3, vcc, v5, v7, vcc
	v_mov_b32_e32 v9, s9
	s_and_b64 vcc, s[16:17], s[10:11]
	v_cndmask_b32_e32 v9, 1, v9, vcc
	s_waitcnt lgkmcnt(0)
	v_mov_b32_e32 v5, s5
	s_mov_b32 s20, 0xc2ce8ed0
	s_mov_b32 s21, 0x42b17218
	v_mov_b32_e32 v10, 0x7f800000
	v_mov_b32_e32 v11, s7
	s_movk_i32 s22, 0x1f8
	v_mov_b32_e32 v1, 0
	v_mov_b32_e32 v8, v0
	s_waitcnt vmcnt(0)
	v_cvt_f32_f16_e32 v4, v4
	v_sub_f32_e32 v12, v4, v4
	v_mul_f32_e32 v4, 0x3fb8aa3b, v12
	v_fma_f32 v13, v12, s19, -v4
	v_rndne_f32_e32 v14, v4
	v_fmac_f32_e32 v13, 0x32a5705f, v12
	v_sub_f32_e32 v4, v4, v14
	v_add_f32_e32 v4, v4, v13
	v_cvt_i32_f32_e32 v14, v14
	v_exp_f32_e32 v13, v4
	v_add_co_u32_e32 v4, vcc, s4, v6
	v_addc_co_u32_e32 v5, vcc, v5, v7, vcc
	v_ldexp_f32 v13, v13, v14
	v_cmp_ngt_f32_e32 vcc, s20, v12
	v_cndmask_b32_e32 v13, 0, v13, vcc
	v_cmp_nlt_f32_e32 vcc, s21, v12
	v_cndmask_b32_e32 v10, v10, v13, vcc
	v_div_scale_f32 v12, s[4:5], v10, v10, 1.0
	v_rcp_f32_e32 v13, v12
	v_add_co_u32_e32 v6, vcc, s6, v6
	v_addc_co_u32_e32 v7, vcc, v11, v7, vcc
	v_fma_f32 v14, -v12, v13, 1.0
	v_div_scale_f32 v11, vcc, 1.0, v10, 1.0
	v_fmac_f32_e32 v13, v14, v13
	v_mul_f32_e32 v14, v11, v13
	v_fma_f32 v15, -v12, v14, v11
	v_fmac_f32_e32 v14, v15, v13
	v_fma_f32 v11, -v12, v14, v11
	v_div_fmas_f32 v11, v11, v13, v14
	v_div_fixup_f32 v11, v11, v10, 1.0
	v_mul_f32_e32 v10, v10, v11
	v_cmp_class_f32_e64 vcc, v10, s22
	v_cndmask_b32_e32 v10, 0, v10, vcc
	s_mov_b32 s4, s8
.LBB88_6:                               ; =>This Inner Loop Header: Depth=1
	global_store_dword v[2:3], v10, off
	global_store_dword v[4:5], v9, off
	;; [unrolled: 1-line block ×3, first 2 shown]
	v_add_co_u32_e32 v2, vcc, 4, v2
	v_addc_co_u32_e32 v3, vcc, 0, v3, vcc
	v_add_co_u32_e32 v4, vcc, 4, v4
	v_addc_co_u32_e32 v5, vcc, 0, v5, vcc
	v_add_f32_e32 v11, v1, v10
	s_add_i32 s4, s4, -1
	v_add_co_u32_e32 v6, vcc, 4, v6
	v_cndmask_b32_e64 v1, v1, v11, s[0:1]
	v_add_u32_e32 v8, s18, v8
	s_cmp_lg_u32 s4, 0
	v_addc_co_u32_e32 v7, vcc, 0, v7, vcc
	s_cbranch_scc1 .LBB88_6
; %bb.7:
	s_andn2_b64 vcc, exec, s[0:1]
	s_cbranch_vccz .LBB88_9
	s_branch .LBB88_17
.LBB88_8:
	v_mov_b32_e32 v1, 0
	s_andn2_b64 vcc, exec, s[0:1]
	s_cbranch_vccnz .LBB88_17
.LBB88_9:
	s_andn2_b64 vcc, exec, s[14:15]
	s_cbranch_vccnz .LBB88_17
; %bb.10:
	v_cmp_lt_f32_e32 vcc, 0, v1
	s_mov_b32 s4, 0
	v_cndmask_b32_e32 v2, 1.0, v1, vcc
	v_mul_lo_u32 v0, v0, s8
	s_cmp_eq_u32 s8, 1
	s_mov_b64 s[0:1], -1
	s_cbranch_scc1 .LBB88_14
; %bb.11:
	s_and_b32 s4, s8, 0x7ffffffe
	v_mov_b32_e32 v1, v2
	v_mov_b32_e32 v3, s3
	s_mov_b32 s5, s4
	v_mov_b32_e32 v4, v0
.LBB88_12:                              ; =>This Inner Loop Header: Depth=1
	v_ashrrev_i32_e32 v5, 31, v4
	v_lshlrev_b64 v[6:7], 2, v[4:5]
	v_add_co_u32_e32 v6, vcc, s2, v6
	v_addc_co_u32_e32 v7, vcc, v3, v7, vcc
	global_load_dwordx2 v[8:9], v[6:7], off
	s_add_i32 s5, s5, -2
	s_cmp_lg_u32 s5, 0
	v_add_u32_e32 v4, 2, v4
	s_waitcnt vmcnt(0)
	v_div_scale_f32 v5, s[0:1], v1, v1, v9
	v_div_scale_f32 v11, s[0:1], v2, v2, v8
	v_rcp_f32_e32 v12, v5
	v_rcp_f32_e32 v13, v11
	v_div_scale_f32 v10, vcc, v9, v1, v9
	v_fma_f32 v15, -v5, v12, 1.0
	v_fma_f32 v16, -v11, v13, 1.0
	v_fmac_f32_e32 v12, v15, v12
	v_div_scale_f32 v14, s[0:1], v8, v2, v8
	v_fmac_f32_e32 v13, v16, v13
	v_mul_f32_e32 v15, v10, v12
	v_mul_f32_e32 v16, v14, v13
	v_fma_f32 v17, -v5, v15, v10
	v_fma_f32 v18, -v11, v16, v14
	v_fmac_f32_e32 v15, v17, v12
	v_fmac_f32_e32 v16, v18, v13
	v_fma_f32 v5, -v5, v15, v10
	v_fma_f32 v10, -v11, v16, v14
	v_div_fmas_f32 v5, v5, v12, v15
	s_mov_b64 vcc, s[0:1]
	v_div_fixup_f32 v9, v5, v1, v9
	v_div_fmas_f32 v5, v10, v13, v16
	v_div_fixup_f32 v8, v5, v2, v8
	global_store_dwordx2 v[6:7], v[8:9], off
	s_cbranch_scc1 .LBB88_12
; %bb.13:
	s_cmp_lg_u32 s4, s8
	s_cselect_b64 s[0:1], -1, 0
.LBB88_14:
	s_and_b64 vcc, exec, s[0:1]
	s_cbranch_vccz .LBB88_17
; %bb.15:
	v_ashrrev_i32_e32 v1, 31, v0
	v_add_co_u32_e32 v0, vcc, s4, v0
	v_addc_co_u32_e32 v1, vcc, 0, v1, vcc
	v_lshlrev_b64 v[0:1], 2, v[0:1]
	v_mov_b32_e32 v3, s3
	v_add_co_u32_e32 v0, vcc, s2, v0
	s_sub_i32 s0, s8, s4
	v_addc_co_u32_e32 v1, vcc, v3, v1, vcc
.LBB88_16:                              ; =>This Inner Loop Header: Depth=1
	global_load_dword v3, v[0:1], off
	s_add_i32 s0, s0, -1
	s_cmp_lg_u32 s0, 0
	s_waitcnt vmcnt(0)
	v_div_scale_f32 v4, s[2:3], v2, v2, v3
	v_rcp_f32_e32 v5, v4
	v_div_scale_f32 v6, vcc, v3, v2, v3
	v_fma_f32 v7, -v4, v5, 1.0
	v_fmac_f32_e32 v5, v7, v5
	v_mul_f32_e32 v7, v6, v5
	v_fma_f32 v8, -v4, v7, v6
	v_fmac_f32_e32 v7, v8, v5
	v_fma_f32 v4, -v4, v7, v6
	v_div_fmas_f32 v4, v4, v5, v7
	v_div_fixup_f32 v3, v4, v2, v3
	global_store_dword v[0:1], v3, off
	v_add_co_u32_e32 v0, vcc, 4, v0
	v_addc_co_u32_e32 v1, vcc, 0, v1, vcc
	s_cbranch_scc1 .LBB88_16
.LBB88_17:
	s_endpgm
	.section	.rodata,"a",@progbits
	.p2align	6, 0x0
	.amdhsa_kernel _ZN4vllm3moe10topkGatingILi1ELi1ELi4ELi2ELi32Ej6__halfLNS0_11ScoringFuncE0EEEvPKT5_PKbPfiPT4_PiiiibPKf
		.amdhsa_group_segment_fixed_size 0
		.amdhsa_private_segment_fixed_size 0
		.amdhsa_kernarg_size 72
		.amdhsa_user_sgpr_count 6
		.amdhsa_user_sgpr_private_segment_buffer 1
		.amdhsa_user_sgpr_dispatch_ptr 0
		.amdhsa_user_sgpr_queue_ptr 0
		.amdhsa_user_sgpr_kernarg_segment_ptr 1
		.amdhsa_user_sgpr_dispatch_id 0
		.amdhsa_user_sgpr_flat_scratch_init 0
		.amdhsa_user_sgpr_kernarg_preload_length 0
		.amdhsa_user_sgpr_kernarg_preload_offset 0
		.amdhsa_user_sgpr_private_segment_size 0
		.amdhsa_uses_dynamic_stack 0
		.amdhsa_system_sgpr_private_segment_wavefront_offset 0
		.amdhsa_system_sgpr_workgroup_id_x 1
		.amdhsa_system_sgpr_workgroup_id_y 0
		.amdhsa_system_sgpr_workgroup_id_z 0
		.amdhsa_system_sgpr_workgroup_info 0
		.amdhsa_system_vgpr_workitem_id 1
		.amdhsa_next_free_vgpr 19
		.amdhsa_next_free_sgpr 23
		.amdhsa_accum_offset 20
		.amdhsa_reserve_vcc 1
		.amdhsa_reserve_flat_scratch 0
		.amdhsa_float_round_mode_32 0
		.amdhsa_float_round_mode_16_64 0
		.amdhsa_float_denorm_mode_32 3
		.amdhsa_float_denorm_mode_16_64 3
		.amdhsa_dx10_clamp 1
		.amdhsa_ieee_mode 1
		.amdhsa_fp16_overflow 0
		.amdhsa_tg_split 0
		.amdhsa_exception_fp_ieee_invalid_op 0
		.amdhsa_exception_fp_denorm_src 0
		.amdhsa_exception_fp_ieee_div_zero 0
		.amdhsa_exception_fp_ieee_overflow 0
		.amdhsa_exception_fp_ieee_underflow 0
		.amdhsa_exception_fp_ieee_inexact 0
		.amdhsa_exception_int_div_zero 0
	.end_amdhsa_kernel
	.section	.text._ZN4vllm3moe10topkGatingILi1ELi1ELi4ELi2ELi32Ej6__halfLNS0_11ScoringFuncE0EEEvPKT5_PKbPfiPT4_PiiiibPKf,"axG",@progbits,_ZN4vllm3moe10topkGatingILi1ELi1ELi4ELi2ELi32Ej6__halfLNS0_11ScoringFuncE0EEEvPKT5_PKbPfiPT4_PiiiibPKf,comdat
.Lfunc_end88:
	.size	_ZN4vllm3moe10topkGatingILi1ELi1ELi4ELi2ELi32Ej6__halfLNS0_11ScoringFuncE0EEEvPKT5_PKbPfiPT4_PiiiibPKf, .Lfunc_end88-_ZN4vllm3moe10topkGatingILi1ELi1ELi4ELi2ELi32Ej6__halfLNS0_11ScoringFuncE0EEEvPKT5_PKbPfiPT4_PiiiibPKf
                                        ; -- End function
	.section	.AMDGPU.csdata,"",@progbits
; Kernel info:
; codeLenInByte = 1056
; NumSgprs: 27
; NumVgprs: 19
; NumAgprs: 0
; TotalNumVgprs: 19
; ScratchSize: 0
; MemoryBound: 0
; FloatMode: 240
; IeeeMode: 1
; LDSByteSize: 0 bytes/workgroup (compile time only)
; SGPRBlocks: 3
; VGPRBlocks: 2
; NumSGPRsForWavesPerEU: 27
; NumVGPRsForWavesPerEU: 19
; AccumOffset: 20
; Occupancy: 8
; WaveLimiterHint : 0
; COMPUTE_PGM_RSRC2:SCRATCH_EN: 0
; COMPUTE_PGM_RSRC2:USER_SGPR: 6
; COMPUTE_PGM_RSRC2:TRAP_HANDLER: 0
; COMPUTE_PGM_RSRC2:TGID_X_EN: 1
; COMPUTE_PGM_RSRC2:TGID_Y_EN: 0
; COMPUTE_PGM_RSRC2:TGID_Z_EN: 0
; COMPUTE_PGM_RSRC2:TIDIG_COMP_CNT: 1
; COMPUTE_PGM_RSRC3_GFX90A:ACCUM_OFFSET: 4
; COMPUTE_PGM_RSRC3_GFX90A:TG_SPLIT: 0
	.section	.text._ZN4vllm3moe10topkGatingILi2ELi2ELi4ELi4ELi64Ej6__halfLNS0_11ScoringFuncE0EEEvPKT5_PKbPfiPT4_PiiiibPKf,"axG",@progbits,_ZN4vllm3moe10topkGatingILi2ELi2ELi4ELi4ELi64Ej6__halfLNS0_11ScoringFuncE0EEEvPKT5_PKbPfiPT4_PiiiibPKf,comdat
	.protected	_ZN4vllm3moe10topkGatingILi2ELi2ELi4ELi4ELi64Ej6__halfLNS0_11ScoringFuncE0EEEvPKT5_PKbPfiPT4_PiiiibPKf ; -- Begin function _ZN4vllm3moe10topkGatingILi2ELi2ELi4ELi4ELi64Ej6__halfLNS0_11ScoringFuncE0EEEvPKT5_PKbPfiPT4_PiiiibPKf
	.globl	_ZN4vllm3moe10topkGatingILi2ELi2ELi4ELi4ELi64Ej6__halfLNS0_11ScoringFuncE0EEEvPKT5_PKbPfiPT4_PiiiibPKf
	.p2align	8
	.type	_ZN4vllm3moe10topkGatingILi2ELi2ELi4ELi4ELi64Ej6__halfLNS0_11ScoringFuncE0EEEvPKT5_PKbPfiPT4_PiiiibPKf,@function
_ZN4vllm3moe10topkGatingILi2ELi2ELi4ELi4ELi64Ej6__halfLNS0_11ScoringFuncE0EEEvPKT5_PKbPfiPT4_PiiiibPKf: ; @_ZN4vllm3moe10topkGatingILi2ELi2ELi4ELi4ELi64Ej6__halfLNS0_11ScoringFuncE0EEEvPKT5_PKbPfiPT4_PiiiibPKf
; %bb.0:
	s_load_dword s16, s[4:5], 0x18
	v_bfe_u32 v1, v0, 10, 10
	s_lshl_b32 s0, s6, 8
	v_lshlrev_b32_e32 v1, 6, v1
	v_and_b32_e32 v0, 0x3ff, v0
	v_add3_u32 v10, v1, v0, s0
	s_waitcnt lgkmcnt(0)
	v_cmp_gt_i32_e32 vcc, s16, v10
	s_and_saveexec_b64 s[0:1], vcc
	s_cbranch_execz .LBB89_19
; %bb.1:
	s_load_dwordx4 s[0:3], s[4:5], 0x0
	s_load_dwordx2 s[6:7], s[4:5], 0x10
	s_waitcnt lgkmcnt(0)
	s_cmp_eq_u64 s[2:3], 0
	s_cbranch_scc1 .LBB89_3
; %bb.2:
	v_ashrrev_i32_e32 v1, 31, v10
	v_mov_b32_e32 v2, s3
	v_add_co_u32_e32 v0, vcc, s2, v10
	v_addc_co_u32_e32 v1, vcc, v2, v1, vcc
	global_load_ubyte v0, v[0:1], off
	s_waitcnt vmcnt(0)
	v_and_b32_e32 v0, 1, v0
	v_cmp_eq_u32_e32 vcc, 1, v0
	s_xor_b64 s[2:3], vcc, -1
	s_orn2_b64 s[12:13], s[2:3], exec
	s_branch .LBB89_4
.LBB89_3:
	s_mov_b64 s[12:13], -1
.LBB89_4:
	v_lshlrev_b32_e32 v0, 1, v10
	v_ashrrev_i32_e32 v1, 31, v0
	v_lshlrev_b64 v[0:1], 1, v[0:1]
	v_mov_b32_e32 v2, s1
	v_add_co_u32_e32 v0, vcc, s0, v0
	v_addc_co_u32_e32 v1, vcc, v2, v1, vcc
	global_load_dword v1, v[0:1], off
	s_mov_b32 s2, 0x3fb8aa3b
	s_mov_b32 s3, 0xc2ce8ed0
	;; [unrolled: 1-line block ×3, first 2 shown]
	s_load_dwordx2 s[0:1], s[4:5], 0x40
	s_mov_b32 s9, 0x7f800000
	s_waitcnt lgkmcnt(0)
	s_cmp_eq_u64 s[0:1], 0
	s_waitcnt vmcnt(0)
	v_cvt_f32_f16_e32 v0, v1
	v_cvt_f32_f16_sdwa v1, v1 dst_sel:DWORD dst_unused:UNUSED_PAD src0_sel:WORD_1
	v_max_f32_e32 v2, v0, v1
	v_pk_add_f32 v[0:1], v[0:1], v[2:3] op_sel_hi:[1,0] neg_lo:[0,1] neg_hi:[0,1]
	v_mul_f32_e32 v2, 0x3fb8aa3b, v1
	v_mul_f32_e32 v3, 0x3fb8aa3b, v0
	v_fma_f32 v4, v1, s2, -v2
	v_rndne_f32_e32 v5, v2
	v_fma_f32 v6, v0, s2, -v3
	v_rndne_f32_e32 v7, v3
	v_fmac_f32_e32 v4, 0x32a5705f, v1
	v_sub_f32_e32 v2, v2, v5
	v_fmac_f32_e32 v6, 0x32a5705f, v0
	v_sub_f32_e32 v3, v3, v7
	v_add_f32_e32 v2, v2, v4
	v_cvt_i32_f32_e32 v5, v5
	v_add_f32_e32 v3, v3, v6
	v_exp_f32_e32 v2, v2
	v_cvt_i32_f32_e32 v7, v7
	v_exp_f32_e32 v3, v3
	v_cmp_ngt_f32_e32 vcc, s3, v1
	v_ldexp_f32 v2, v2, v5
	v_cndmask_b32_e32 v2, 0, v2, vcc
	v_ldexp_f32 v3, v3, v7
	v_cmp_ngt_f32_e32 vcc, s3, v0
	v_mov_b32_e32 v4, 0x7f800000
	v_cndmask_b32_e32 v3, 0, v3, vcc
	v_cmp_nlt_f32_e32 vcc, s8, v1
	v_cndmask_b32_e32 v1, v4, v2, vcc
	v_cmp_nlt_f32_e32 vcc, s8, v0
	v_cndmask_b32_e32 v0, v4, v3, vcc
	v_add_f32_e32 v2, v0, v1
	v_div_scale_f32 v3, s[2:3], v2, v2, 1.0
	v_rcp_f32_e32 v4, v3
	v_div_scale_f32 v5, vcc, 1.0, v2, 1.0
	s_movk_i32 s2, 0x1f8
	v_fma_f32 v6, -v3, v4, 1.0
	v_fmac_f32_e32 v4, v6, v4
	v_mul_f32_e32 v6, v5, v4
	v_fma_f32 v7, -v3, v6, v5
	v_fmac_f32_e32 v6, v7, v4
	v_fma_f32 v3, -v3, v6, v5
	v_div_fmas_f32 v3, v3, v4, v6
	v_div_fixup_f32 v2, v3, v2, 1.0
	v_pk_mul_f32 v[0:1], v[2:3], v[0:1] op_sel_hi:[0,1]
	v_cmp_nlg_f32_e64 vcc, |v0|, s9
	v_cndmask_b32_e32 v1, v1, v1, vcc
	v_cndmask_b32_e64 v0, v0, 0, vcc
	v_cmp_class_f32_e64 vcc, v1, s2
	v_cndmask_b32_e32 v1, 0, v1, vcc
	v_pk_mov_b32 v[2:3], v[0:1], v[0:1] op_sel:[0,1]
	s_cbranch_scc1 .LBB89_6
; %bb.5:
	s_load_dwordx2 s[0:1], s[0:1], 0x0
	s_waitcnt lgkmcnt(0)
	v_pk_add_f32 v[2:3], v[0:1], s[0:1]
.LBB89_6:
	s_load_dwordx4 s[8:11], s[4:5], 0x30
	s_waitcnt lgkmcnt(0)
	s_bitcmp1_b32 s11, 0
	s_cselect_b64 vcc, -1, 0
	s_cmp_gt_i32 s8, 0
	s_cselect_b64 s[14:15], -1, 0
	s_cmp_lt_i32 s8, 1
	s_cbranch_scc1 .LBB89_10
; %bb.7:
	s_load_dwordx4 s[20:23], s[4:5], 0x20
	v_mul_lo_u32 v4, v10, s8
	v_ashrrev_i32_e32 v5, 31, v4
	v_lshlrev_b64 v[8:9], 2, v[4:5]
	v_mov_b32_e32 v5, s7
	v_add_co_u32_e64 v4, s[0:1], s6, v8
	v_addc_co_u32_e64 v5, s[0:1], v5, v9, s[0:1]
	s_waitcnt lgkmcnt(0)
	v_mov_b32_e32 v7, s21
	v_add_co_u32_e64 v6, s[0:1], s20, v8
	v_addc_co_u32_e64 v7, s[0:1], v7, v9, s[0:1]
	v_mov_b32_e32 v11, s23
	v_add_co_u32_e64 v8, s[0:1], s22, v8
	v_addc_co_u32_e64 v9, s[0:1], v11, v9, s[0:1]
	s_mov_b32 s11, 0
	v_mov_b32_e32 v11, 0
	v_mov_b32_e32 v12, 0xc61c4000
	;; [unrolled: 1-line block ×3, first 2 shown]
.LBB89_8:                               ; =>This Inner Loop Header: Depth=1
	v_cmp_gt_f32_e64 s[0:1], v3, v2
	v_cndmask_b32_e64 v15, 0, 1, s[0:1]
	v_cmp_le_i32_e64 s[2:3], s9, v15
	v_cmp_gt_i32_e64 s[4:5], s10, v15
	s_and_b64 s[2:3], s[2:3], s[4:5]
	v_cndmask_b32_e64 v14, v0, v1, s[0:1]
	v_subrev_u32_e32 v15, s9, v15
	s_and_b64 s[2:3], s[12:13], s[2:3]
	s_add_i32 s11, s11, 1
	global_store_dword v[4:5], v14, off
	v_cndmask_b32_e64 v15, 2, v15, s[2:3]
	v_add_f32_e32 v14, v11, v14
	s_cmp_lt_i32 s11, s8
	global_store_dword v[6:7], v15, off
	global_store_dword v[8:9], v13, off
	v_cndmask_b32_e32 v11, v11, v14, vcc
	v_cndmask_b32_e64 v14, v12, v2, s[0:1]
	v_cndmask_b32_e64 v15, v3, v12, s[0:1]
	s_cselect_b64 s[0:1], -1, 0
	v_cndmask_b32_e64 v3, v3, v15, s[0:1]
	v_cndmask_b32_e64 v2, v2, v14, s[0:1]
	v_add_co_u32_e64 v4, s[0:1], 4, v4
	v_addc_co_u32_e64 v5, s[0:1], 0, v5, s[0:1]
	v_add_co_u32_e64 v6, s[0:1], 4, v6
	v_addc_co_u32_e64 v7, s[0:1], 0, v7, s[0:1]
	v_add_co_u32_e64 v8, s[0:1], 4, v8
	v_add_u32_e32 v13, s16, v13
	s_cmp_eq_u32 s8, s11
	v_addc_co_u32_e64 v9, s[0:1], 0, v9, s[0:1]
	s_cbranch_scc0 .LBB89_8
; %bb.9:
	s_and_b64 vcc, exec, vcc
	s_cbranch_vccnz .LBB89_11
	s_branch .LBB89_19
.LBB89_10:
	v_mov_b32_e32 v11, 0
	s_and_b64 vcc, exec, vcc
	s_cbranch_vccz .LBB89_19
.LBB89_11:
	s_andn2_b64 vcc, exec, s[14:15]
	s_cbranch_vccnz .LBB89_19
; %bb.12:
	v_cmp_lt_f32_e32 vcc, 0, v11
	s_mov_b32 s2, 0
	v_cndmask_b32_e32 v0, 1.0, v11, vcc
	v_mul_lo_u32 v4, v10, s8
	s_cmp_eq_u32 s8, 1
	s_mov_b64 s[0:1], -1
	s_cbranch_scc1 .LBB89_16
; %bb.13:
	s_and_b32 s2, s8, 0x7ffffffe
	v_mov_b32_e32 v1, v0
	v_mov_b32_e32 v5, s7
	s_mov_b32 s3, s2
	v_mov_b32_e32 v2, v4
.LBB89_14:                              ; =>This Inner Loop Header: Depth=1
	v_ashrrev_i32_e32 v3, 31, v2
	v_lshlrev_b64 v[6:7], 2, v[2:3]
	v_add_co_u32_e32 v6, vcc, s6, v6
	v_addc_co_u32_e32 v7, vcc, v5, v7, vcc
	global_load_dwordx2 v[8:9], v[6:7], off
	s_add_i32 s3, s3, -2
	s_cmp_lg_u32 s3, 0
	v_add_u32_e32 v2, 2, v2
	s_waitcnt vmcnt(0)
	v_div_scale_f32 v3, s[0:1], v1, v1, v9
	v_div_scale_f32 v11, s[0:1], v0, v0, v8
	v_rcp_f32_e32 v12, v3
	v_rcp_f32_e32 v13, v11
	v_div_scale_f32 v10, vcc, v9, v1, v9
	v_fma_f32 v15, -v3, v12, 1.0
	v_fma_f32 v16, -v11, v13, 1.0
	v_fmac_f32_e32 v12, v15, v12
	v_div_scale_f32 v14, s[0:1], v8, v0, v8
	v_fmac_f32_e32 v13, v16, v13
	v_mul_f32_e32 v15, v10, v12
	v_mul_f32_e32 v16, v14, v13
	v_fma_f32 v17, -v3, v15, v10
	v_fma_f32 v18, -v11, v16, v14
	v_fmac_f32_e32 v15, v17, v12
	v_fmac_f32_e32 v16, v18, v13
	v_fma_f32 v3, -v3, v15, v10
	v_fma_f32 v10, -v11, v16, v14
	v_div_fmas_f32 v3, v3, v12, v15
	s_mov_b64 vcc, s[0:1]
	v_div_fixup_f32 v9, v3, v1, v9
	v_div_fmas_f32 v3, v10, v13, v16
	v_div_fixup_f32 v8, v3, v0, v8
	global_store_dwordx2 v[6:7], v[8:9], off
	s_cbranch_scc1 .LBB89_14
; %bb.15:
	s_cmp_lg_u32 s2, s8
	s_cselect_b64 s[0:1], -1, 0
.LBB89_16:
	s_and_b64 vcc, exec, s[0:1]
	s_cbranch_vccz .LBB89_19
; %bb.17:
	v_ashrrev_i32_e32 v1, 31, v4
	v_add_co_u32_e32 v2, vcc, s2, v4
	v_addc_co_u32_e32 v3, vcc, 0, v1, vcc
	v_lshlrev_b64 v[2:3], 2, v[2:3]
	v_mov_b32_e32 v1, s7
	v_add_co_u32_e32 v2, vcc, s6, v2
	s_sub_i32 s0, s8, s2
	v_addc_co_u32_e32 v3, vcc, v1, v3, vcc
.LBB89_18:                              ; =>This Inner Loop Header: Depth=1
	global_load_dword v1, v[2:3], off
	s_add_i32 s0, s0, -1
	s_cmp_lg_u32 s0, 0
	s_waitcnt vmcnt(0)
	v_div_scale_f32 v4, s[2:3], v0, v0, v1
	v_rcp_f32_e32 v5, v4
	v_div_scale_f32 v6, vcc, v1, v0, v1
	v_fma_f32 v7, -v4, v5, 1.0
	v_fmac_f32_e32 v5, v7, v5
	v_mul_f32_e32 v7, v6, v5
	v_fma_f32 v8, -v4, v7, v6
	v_fmac_f32_e32 v7, v8, v5
	v_fma_f32 v4, -v4, v7, v6
	v_div_fmas_f32 v4, v4, v5, v7
	v_div_fixup_f32 v1, v4, v0, v1
	global_store_dword v[2:3], v1, off
	v_add_co_u32_e32 v2, vcc, 4, v2
	v_addc_co_u32_e32 v3, vcc, 0, v3, vcc
	s_cbranch_scc1 .LBB89_18
.LBB89_19:
	s_endpgm
	.section	.rodata,"a",@progbits
	.p2align	6, 0x0
	.amdhsa_kernel _ZN4vllm3moe10topkGatingILi2ELi2ELi4ELi4ELi64Ej6__halfLNS0_11ScoringFuncE0EEEvPKT5_PKbPfiPT4_PiiiibPKf
		.amdhsa_group_segment_fixed_size 0
		.amdhsa_private_segment_fixed_size 0
		.amdhsa_kernarg_size 72
		.amdhsa_user_sgpr_count 6
		.amdhsa_user_sgpr_private_segment_buffer 1
		.amdhsa_user_sgpr_dispatch_ptr 0
		.amdhsa_user_sgpr_queue_ptr 0
		.amdhsa_user_sgpr_kernarg_segment_ptr 1
		.amdhsa_user_sgpr_dispatch_id 0
		.amdhsa_user_sgpr_flat_scratch_init 0
		.amdhsa_user_sgpr_kernarg_preload_length 0
		.amdhsa_user_sgpr_kernarg_preload_offset 0
		.amdhsa_user_sgpr_private_segment_size 0
		.amdhsa_uses_dynamic_stack 0
		.amdhsa_system_sgpr_private_segment_wavefront_offset 0
		.amdhsa_system_sgpr_workgroup_id_x 1
		.amdhsa_system_sgpr_workgroup_id_y 0
		.amdhsa_system_sgpr_workgroup_id_z 0
		.amdhsa_system_sgpr_workgroup_info 0
		.amdhsa_system_vgpr_workitem_id 1
		.amdhsa_next_free_vgpr 19
		.amdhsa_next_free_sgpr 24
		.amdhsa_accum_offset 20
		.amdhsa_reserve_vcc 1
		.amdhsa_reserve_flat_scratch 0
		.amdhsa_float_round_mode_32 0
		.amdhsa_float_round_mode_16_64 0
		.amdhsa_float_denorm_mode_32 3
		.amdhsa_float_denorm_mode_16_64 3
		.amdhsa_dx10_clamp 1
		.amdhsa_ieee_mode 1
		.amdhsa_fp16_overflow 0
		.amdhsa_tg_split 0
		.amdhsa_exception_fp_ieee_invalid_op 0
		.amdhsa_exception_fp_denorm_src 0
		.amdhsa_exception_fp_ieee_div_zero 0
		.amdhsa_exception_fp_ieee_overflow 0
		.amdhsa_exception_fp_ieee_underflow 0
		.amdhsa_exception_fp_ieee_inexact 0
		.amdhsa_exception_int_div_zero 0
	.end_amdhsa_kernel
	.section	.text._ZN4vllm3moe10topkGatingILi2ELi2ELi4ELi4ELi64Ej6__halfLNS0_11ScoringFuncE0EEEvPKT5_PKbPfiPT4_PiiiibPKf,"axG",@progbits,_ZN4vllm3moe10topkGatingILi2ELi2ELi4ELi4ELi64Ej6__halfLNS0_11ScoringFuncE0EEEvPKT5_PKbPfiPT4_PiiiibPKf,comdat
.Lfunc_end89:
	.size	_ZN4vllm3moe10topkGatingILi2ELi2ELi4ELi4ELi64Ej6__halfLNS0_11ScoringFuncE0EEEvPKT5_PKbPfiPT4_PiiiibPKf, .Lfunc_end89-_ZN4vllm3moe10topkGatingILi2ELi2ELi4ELi4ELi64Ej6__halfLNS0_11ScoringFuncE0EEEvPKT5_PKbPfiPT4_PiiiibPKf
                                        ; -- End function
	.section	.AMDGPU.csdata,"",@progbits
; Kernel info:
; codeLenInByte = 1348
; NumSgprs: 28
; NumVgprs: 19
; NumAgprs: 0
; TotalNumVgprs: 19
; ScratchSize: 0
; MemoryBound: 1
; FloatMode: 240
; IeeeMode: 1
; LDSByteSize: 0 bytes/workgroup (compile time only)
; SGPRBlocks: 3
; VGPRBlocks: 2
; NumSGPRsForWavesPerEU: 28
; NumVGPRsForWavesPerEU: 19
; AccumOffset: 20
; Occupancy: 8
; WaveLimiterHint : 0
; COMPUTE_PGM_RSRC2:SCRATCH_EN: 0
; COMPUTE_PGM_RSRC2:USER_SGPR: 6
; COMPUTE_PGM_RSRC2:TRAP_HANDLER: 0
; COMPUTE_PGM_RSRC2:TGID_X_EN: 1
; COMPUTE_PGM_RSRC2:TGID_Y_EN: 0
; COMPUTE_PGM_RSRC2:TGID_Z_EN: 0
; COMPUTE_PGM_RSRC2:TIDIG_COMP_CNT: 1
; COMPUTE_PGM_RSRC3_GFX90A:ACCUM_OFFSET: 4
; COMPUTE_PGM_RSRC3_GFX90A:TG_SPLIT: 0
	.section	.text._ZN4vllm3moe10topkGatingILi2ELi2ELi4ELi4ELi32Ej6__halfLNS0_11ScoringFuncE0EEEvPKT5_PKbPfiPT4_PiiiibPKf,"axG",@progbits,_ZN4vllm3moe10topkGatingILi2ELi2ELi4ELi4ELi32Ej6__halfLNS0_11ScoringFuncE0EEEvPKT5_PKbPfiPT4_PiiiibPKf,comdat
	.protected	_ZN4vllm3moe10topkGatingILi2ELi2ELi4ELi4ELi32Ej6__halfLNS0_11ScoringFuncE0EEEvPKT5_PKbPfiPT4_PiiiibPKf ; -- Begin function _ZN4vllm3moe10topkGatingILi2ELi2ELi4ELi4ELi32Ej6__halfLNS0_11ScoringFuncE0EEEvPKT5_PKbPfiPT4_PiiiibPKf
	.globl	_ZN4vllm3moe10topkGatingILi2ELi2ELi4ELi4ELi32Ej6__halfLNS0_11ScoringFuncE0EEEvPKT5_PKbPfiPT4_PiiiibPKf
	.p2align	8
	.type	_ZN4vllm3moe10topkGatingILi2ELi2ELi4ELi4ELi32Ej6__halfLNS0_11ScoringFuncE0EEEvPKT5_PKbPfiPT4_PiiiibPKf,@function
_ZN4vllm3moe10topkGatingILi2ELi2ELi4ELi4ELi32Ej6__halfLNS0_11ScoringFuncE0EEEvPKT5_PKbPfiPT4_PiiiibPKf: ; @_ZN4vllm3moe10topkGatingILi2ELi2ELi4ELi4ELi32Ej6__halfLNS0_11ScoringFuncE0EEEvPKT5_PKbPfiPT4_PiiiibPKf
; %bb.0:
	s_load_dword s16, s[4:5], 0x18
	v_bfe_u32 v1, v0, 10, 10
	s_lshl_b32 s0, s6, 7
	v_lshlrev_b32_e32 v1, 5, v1
	v_and_b32_e32 v0, 0x3ff, v0
	v_add3_u32 v10, v1, v0, s0
	s_waitcnt lgkmcnt(0)
	v_cmp_gt_i32_e32 vcc, s16, v10
	s_and_saveexec_b64 s[0:1], vcc
	s_cbranch_execz .LBB90_19
; %bb.1:
	s_load_dwordx4 s[0:3], s[4:5], 0x0
	s_load_dwordx2 s[6:7], s[4:5], 0x10
	s_waitcnt lgkmcnt(0)
	s_cmp_eq_u64 s[2:3], 0
	s_cbranch_scc1 .LBB90_3
; %bb.2:
	v_ashrrev_i32_e32 v1, 31, v10
	v_mov_b32_e32 v2, s3
	v_add_co_u32_e32 v0, vcc, s2, v10
	v_addc_co_u32_e32 v1, vcc, v2, v1, vcc
	global_load_ubyte v0, v[0:1], off
	s_waitcnt vmcnt(0)
	v_and_b32_e32 v0, 1, v0
	v_cmp_eq_u32_e32 vcc, 1, v0
	s_xor_b64 s[2:3], vcc, -1
	s_orn2_b64 s[12:13], s[2:3], exec
	s_branch .LBB90_4
.LBB90_3:
	s_mov_b64 s[12:13], -1
.LBB90_4:
	v_lshlrev_b32_e32 v0, 1, v10
	v_ashrrev_i32_e32 v1, 31, v0
	v_lshlrev_b64 v[0:1], 1, v[0:1]
	v_mov_b32_e32 v2, s1
	v_add_co_u32_e32 v0, vcc, s0, v0
	v_addc_co_u32_e32 v1, vcc, v2, v1, vcc
	global_load_dword v1, v[0:1], off
	s_mov_b32 s2, 0x3fb8aa3b
	s_mov_b32 s3, 0xc2ce8ed0
	;; [unrolled: 1-line block ×3, first 2 shown]
	s_load_dwordx2 s[0:1], s[4:5], 0x40
	s_mov_b32 s9, 0x7f800000
	s_waitcnt lgkmcnt(0)
	s_cmp_eq_u64 s[0:1], 0
	s_waitcnt vmcnt(0)
	v_cvt_f32_f16_e32 v0, v1
	v_cvt_f32_f16_sdwa v1, v1 dst_sel:DWORD dst_unused:UNUSED_PAD src0_sel:WORD_1
	v_max_f32_e32 v2, v0, v1
	v_pk_add_f32 v[0:1], v[0:1], v[2:3] op_sel_hi:[1,0] neg_lo:[0,1] neg_hi:[0,1]
	v_mul_f32_e32 v2, 0x3fb8aa3b, v1
	v_mul_f32_e32 v3, 0x3fb8aa3b, v0
	v_fma_f32 v4, v1, s2, -v2
	v_rndne_f32_e32 v5, v2
	v_fma_f32 v6, v0, s2, -v3
	v_rndne_f32_e32 v7, v3
	v_fmac_f32_e32 v4, 0x32a5705f, v1
	v_sub_f32_e32 v2, v2, v5
	v_fmac_f32_e32 v6, 0x32a5705f, v0
	v_sub_f32_e32 v3, v3, v7
	v_add_f32_e32 v2, v2, v4
	v_cvt_i32_f32_e32 v5, v5
	v_add_f32_e32 v3, v3, v6
	v_exp_f32_e32 v2, v2
	v_cvt_i32_f32_e32 v7, v7
	v_exp_f32_e32 v3, v3
	v_cmp_ngt_f32_e32 vcc, s3, v1
	v_ldexp_f32 v2, v2, v5
	v_cndmask_b32_e32 v2, 0, v2, vcc
	v_ldexp_f32 v3, v3, v7
	v_cmp_ngt_f32_e32 vcc, s3, v0
	v_mov_b32_e32 v4, 0x7f800000
	v_cndmask_b32_e32 v3, 0, v3, vcc
	v_cmp_nlt_f32_e32 vcc, s8, v1
	v_cndmask_b32_e32 v1, v4, v2, vcc
	v_cmp_nlt_f32_e32 vcc, s8, v0
	v_cndmask_b32_e32 v0, v4, v3, vcc
	v_add_f32_e32 v2, v0, v1
	v_div_scale_f32 v3, s[2:3], v2, v2, 1.0
	v_rcp_f32_e32 v4, v3
	v_div_scale_f32 v5, vcc, 1.0, v2, 1.0
	s_movk_i32 s2, 0x1f8
	v_fma_f32 v6, -v3, v4, 1.0
	v_fmac_f32_e32 v4, v6, v4
	v_mul_f32_e32 v6, v5, v4
	v_fma_f32 v7, -v3, v6, v5
	v_fmac_f32_e32 v6, v7, v4
	v_fma_f32 v3, -v3, v6, v5
	v_div_fmas_f32 v3, v3, v4, v6
	v_div_fixup_f32 v2, v3, v2, 1.0
	v_pk_mul_f32 v[0:1], v[2:3], v[0:1] op_sel_hi:[0,1]
	v_cmp_nlg_f32_e64 vcc, |v0|, s9
	v_cndmask_b32_e32 v1, v1, v1, vcc
	v_cndmask_b32_e64 v0, v0, 0, vcc
	v_cmp_class_f32_e64 vcc, v1, s2
	v_cndmask_b32_e32 v1, 0, v1, vcc
	v_pk_mov_b32 v[2:3], v[0:1], v[0:1] op_sel:[0,1]
	s_cbranch_scc1 .LBB90_6
; %bb.5:
	s_load_dwordx2 s[0:1], s[0:1], 0x0
	s_waitcnt lgkmcnt(0)
	v_pk_add_f32 v[2:3], v[0:1], s[0:1]
.LBB90_6:
	s_load_dwordx4 s[8:11], s[4:5], 0x30
	s_waitcnt lgkmcnt(0)
	s_bitcmp1_b32 s11, 0
	s_cselect_b64 vcc, -1, 0
	s_cmp_gt_i32 s8, 0
	s_cselect_b64 s[14:15], -1, 0
	s_cmp_lt_i32 s8, 1
	s_cbranch_scc1 .LBB90_10
; %bb.7:
	s_load_dwordx4 s[20:23], s[4:5], 0x20
	v_mul_lo_u32 v4, v10, s8
	v_ashrrev_i32_e32 v5, 31, v4
	v_lshlrev_b64 v[8:9], 2, v[4:5]
	v_mov_b32_e32 v5, s7
	v_add_co_u32_e64 v4, s[0:1], s6, v8
	v_addc_co_u32_e64 v5, s[0:1], v5, v9, s[0:1]
	s_waitcnt lgkmcnt(0)
	v_mov_b32_e32 v7, s21
	v_add_co_u32_e64 v6, s[0:1], s20, v8
	v_addc_co_u32_e64 v7, s[0:1], v7, v9, s[0:1]
	v_mov_b32_e32 v11, s23
	v_add_co_u32_e64 v8, s[0:1], s22, v8
	v_addc_co_u32_e64 v9, s[0:1], v11, v9, s[0:1]
	s_mov_b32 s11, 0
	v_mov_b32_e32 v11, 0
	v_mov_b32_e32 v12, 0xc61c4000
	;; [unrolled: 1-line block ×3, first 2 shown]
.LBB90_8:                               ; =>This Inner Loop Header: Depth=1
	v_cmp_gt_f32_e64 s[0:1], v3, v2
	v_cndmask_b32_e64 v15, 0, 1, s[0:1]
	v_cmp_le_i32_e64 s[2:3], s9, v15
	v_cmp_gt_i32_e64 s[4:5], s10, v15
	s_and_b64 s[2:3], s[2:3], s[4:5]
	v_cndmask_b32_e64 v14, v0, v1, s[0:1]
	v_subrev_u32_e32 v15, s9, v15
	s_and_b64 s[2:3], s[12:13], s[2:3]
	s_add_i32 s11, s11, 1
	global_store_dword v[4:5], v14, off
	v_cndmask_b32_e64 v15, 2, v15, s[2:3]
	v_add_f32_e32 v14, v11, v14
	s_cmp_lt_i32 s11, s8
	global_store_dword v[6:7], v15, off
	global_store_dword v[8:9], v13, off
	v_cndmask_b32_e32 v11, v11, v14, vcc
	v_cndmask_b32_e64 v14, v12, v2, s[0:1]
	v_cndmask_b32_e64 v15, v3, v12, s[0:1]
	s_cselect_b64 s[0:1], -1, 0
	v_cndmask_b32_e64 v3, v3, v15, s[0:1]
	v_cndmask_b32_e64 v2, v2, v14, s[0:1]
	v_add_co_u32_e64 v4, s[0:1], 4, v4
	v_addc_co_u32_e64 v5, s[0:1], 0, v5, s[0:1]
	v_add_co_u32_e64 v6, s[0:1], 4, v6
	v_addc_co_u32_e64 v7, s[0:1], 0, v7, s[0:1]
	v_add_co_u32_e64 v8, s[0:1], 4, v8
	v_add_u32_e32 v13, s16, v13
	s_cmp_eq_u32 s8, s11
	v_addc_co_u32_e64 v9, s[0:1], 0, v9, s[0:1]
	s_cbranch_scc0 .LBB90_8
; %bb.9:
	s_and_b64 vcc, exec, vcc
	s_cbranch_vccnz .LBB90_11
	s_branch .LBB90_19
.LBB90_10:
	v_mov_b32_e32 v11, 0
	s_and_b64 vcc, exec, vcc
	s_cbranch_vccz .LBB90_19
.LBB90_11:
	s_andn2_b64 vcc, exec, s[14:15]
	s_cbranch_vccnz .LBB90_19
; %bb.12:
	v_cmp_lt_f32_e32 vcc, 0, v11
	s_mov_b32 s2, 0
	v_cndmask_b32_e32 v0, 1.0, v11, vcc
	v_mul_lo_u32 v4, v10, s8
	s_cmp_eq_u32 s8, 1
	s_mov_b64 s[0:1], -1
	s_cbranch_scc1 .LBB90_16
; %bb.13:
	s_and_b32 s2, s8, 0x7ffffffe
	v_mov_b32_e32 v1, v0
	v_mov_b32_e32 v5, s7
	s_mov_b32 s3, s2
	v_mov_b32_e32 v2, v4
.LBB90_14:                              ; =>This Inner Loop Header: Depth=1
	v_ashrrev_i32_e32 v3, 31, v2
	v_lshlrev_b64 v[6:7], 2, v[2:3]
	v_add_co_u32_e32 v6, vcc, s6, v6
	v_addc_co_u32_e32 v7, vcc, v5, v7, vcc
	global_load_dwordx2 v[8:9], v[6:7], off
	s_add_i32 s3, s3, -2
	s_cmp_lg_u32 s3, 0
	v_add_u32_e32 v2, 2, v2
	s_waitcnt vmcnt(0)
	v_div_scale_f32 v3, s[0:1], v1, v1, v9
	v_div_scale_f32 v11, s[0:1], v0, v0, v8
	v_rcp_f32_e32 v12, v3
	v_rcp_f32_e32 v13, v11
	v_div_scale_f32 v10, vcc, v9, v1, v9
	v_fma_f32 v15, -v3, v12, 1.0
	v_fma_f32 v16, -v11, v13, 1.0
	v_fmac_f32_e32 v12, v15, v12
	v_div_scale_f32 v14, s[0:1], v8, v0, v8
	v_fmac_f32_e32 v13, v16, v13
	v_mul_f32_e32 v15, v10, v12
	v_mul_f32_e32 v16, v14, v13
	v_fma_f32 v17, -v3, v15, v10
	v_fma_f32 v18, -v11, v16, v14
	v_fmac_f32_e32 v15, v17, v12
	v_fmac_f32_e32 v16, v18, v13
	v_fma_f32 v3, -v3, v15, v10
	v_fma_f32 v10, -v11, v16, v14
	v_div_fmas_f32 v3, v3, v12, v15
	s_mov_b64 vcc, s[0:1]
	v_div_fixup_f32 v9, v3, v1, v9
	v_div_fmas_f32 v3, v10, v13, v16
	v_div_fixup_f32 v8, v3, v0, v8
	global_store_dwordx2 v[6:7], v[8:9], off
	s_cbranch_scc1 .LBB90_14
; %bb.15:
	s_cmp_lg_u32 s2, s8
	s_cselect_b64 s[0:1], -1, 0
.LBB90_16:
	s_and_b64 vcc, exec, s[0:1]
	s_cbranch_vccz .LBB90_19
; %bb.17:
	v_ashrrev_i32_e32 v1, 31, v4
	v_add_co_u32_e32 v2, vcc, s2, v4
	v_addc_co_u32_e32 v3, vcc, 0, v1, vcc
	v_lshlrev_b64 v[2:3], 2, v[2:3]
	v_mov_b32_e32 v1, s7
	v_add_co_u32_e32 v2, vcc, s6, v2
	s_sub_i32 s0, s8, s2
	v_addc_co_u32_e32 v3, vcc, v1, v3, vcc
.LBB90_18:                              ; =>This Inner Loop Header: Depth=1
	global_load_dword v1, v[2:3], off
	s_add_i32 s0, s0, -1
	s_cmp_lg_u32 s0, 0
	s_waitcnt vmcnt(0)
	v_div_scale_f32 v4, s[2:3], v0, v0, v1
	v_rcp_f32_e32 v5, v4
	v_div_scale_f32 v6, vcc, v1, v0, v1
	v_fma_f32 v7, -v4, v5, 1.0
	v_fmac_f32_e32 v5, v7, v5
	v_mul_f32_e32 v7, v6, v5
	v_fma_f32 v8, -v4, v7, v6
	v_fmac_f32_e32 v7, v8, v5
	v_fma_f32 v4, -v4, v7, v6
	v_div_fmas_f32 v4, v4, v5, v7
	v_div_fixup_f32 v1, v4, v0, v1
	global_store_dword v[2:3], v1, off
	v_add_co_u32_e32 v2, vcc, 4, v2
	v_addc_co_u32_e32 v3, vcc, 0, v3, vcc
	s_cbranch_scc1 .LBB90_18
.LBB90_19:
	s_endpgm
	.section	.rodata,"a",@progbits
	.p2align	6, 0x0
	.amdhsa_kernel _ZN4vllm3moe10topkGatingILi2ELi2ELi4ELi4ELi32Ej6__halfLNS0_11ScoringFuncE0EEEvPKT5_PKbPfiPT4_PiiiibPKf
		.amdhsa_group_segment_fixed_size 0
		.amdhsa_private_segment_fixed_size 0
		.amdhsa_kernarg_size 72
		.amdhsa_user_sgpr_count 6
		.amdhsa_user_sgpr_private_segment_buffer 1
		.amdhsa_user_sgpr_dispatch_ptr 0
		.amdhsa_user_sgpr_queue_ptr 0
		.amdhsa_user_sgpr_kernarg_segment_ptr 1
		.amdhsa_user_sgpr_dispatch_id 0
		.amdhsa_user_sgpr_flat_scratch_init 0
		.amdhsa_user_sgpr_kernarg_preload_length 0
		.amdhsa_user_sgpr_kernarg_preload_offset 0
		.amdhsa_user_sgpr_private_segment_size 0
		.amdhsa_uses_dynamic_stack 0
		.amdhsa_system_sgpr_private_segment_wavefront_offset 0
		.amdhsa_system_sgpr_workgroup_id_x 1
		.amdhsa_system_sgpr_workgroup_id_y 0
		.amdhsa_system_sgpr_workgroup_id_z 0
		.amdhsa_system_sgpr_workgroup_info 0
		.amdhsa_system_vgpr_workitem_id 1
		.amdhsa_next_free_vgpr 19
		.amdhsa_next_free_sgpr 24
		.amdhsa_accum_offset 20
		.amdhsa_reserve_vcc 1
		.amdhsa_reserve_flat_scratch 0
		.amdhsa_float_round_mode_32 0
		.amdhsa_float_round_mode_16_64 0
		.amdhsa_float_denorm_mode_32 3
		.amdhsa_float_denorm_mode_16_64 3
		.amdhsa_dx10_clamp 1
		.amdhsa_ieee_mode 1
		.amdhsa_fp16_overflow 0
		.amdhsa_tg_split 0
		.amdhsa_exception_fp_ieee_invalid_op 0
		.amdhsa_exception_fp_denorm_src 0
		.amdhsa_exception_fp_ieee_div_zero 0
		.amdhsa_exception_fp_ieee_overflow 0
		.amdhsa_exception_fp_ieee_underflow 0
		.amdhsa_exception_fp_ieee_inexact 0
		.amdhsa_exception_int_div_zero 0
	.end_amdhsa_kernel
	.section	.text._ZN4vllm3moe10topkGatingILi2ELi2ELi4ELi4ELi32Ej6__halfLNS0_11ScoringFuncE0EEEvPKT5_PKbPfiPT4_PiiiibPKf,"axG",@progbits,_ZN4vllm3moe10topkGatingILi2ELi2ELi4ELi4ELi32Ej6__halfLNS0_11ScoringFuncE0EEEvPKT5_PKbPfiPT4_PiiiibPKf,comdat
.Lfunc_end90:
	.size	_ZN4vllm3moe10topkGatingILi2ELi2ELi4ELi4ELi32Ej6__halfLNS0_11ScoringFuncE0EEEvPKT5_PKbPfiPT4_PiiiibPKf, .Lfunc_end90-_ZN4vllm3moe10topkGatingILi2ELi2ELi4ELi4ELi32Ej6__halfLNS0_11ScoringFuncE0EEEvPKT5_PKbPfiPT4_PiiiibPKf
                                        ; -- End function
	.section	.AMDGPU.csdata,"",@progbits
; Kernel info:
; codeLenInByte = 1348
; NumSgprs: 28
; NumVgprs: 19
; NumAgprs: 0
; TotalNumVgprs: 19
; ScratchSize: 0
; MemoryBound: 1
; FloatMode: 240
; IeeeMode: 1
; LDSByteSize: 0 bytes/workgroup (compile time only)
; SGPRBlocks: 3
; VGPRBlocks: 2
; NumSGPRsForWavesPerEU: 28
; NumVGPRsForWavesPerEU: 19
; AccumOffset: 20
; Occupancy: 8
; WaveLimiterHint : 0
; COMPUTE_PGM_RSRC2:SCRATCH_EN: 0
; COMPUTE_PGM_RSRC2:USER_SGPR: 6
; COMPUTE_PGM_RSRC2:TRAP_HANDLER: 0
; COMPUTE_PGM_RSRC2:TGID_X_EN: 1
; COMPUTE_PGM_RSRC2:TGID_Y_EN: 0
; COMPUTE_PGM_RSRC2:TGID_Z_EN: 0
; COMPUTE_PGM_RSRC2:TIDIG_COMP_CNT: 1
; COMPUTE_PGM_RSRC3_GFX90A:ACCUM_OFFSET: 4
; COMPUTE_PGM_RSRC3_GFX90A:TG_SPLIT: 0
	.section	.text._ZN4vllm3moe10topkGatingILi4ELi4ELi4ELi8ELi64Ej6__halfLNS0_11ScoringFuncE0EEEvPKT5_PKbPfiPT4_PiiiibPKf,"axG",@progbits,_ZN4vllm3moe10topkGatingILi4ELi4ELi4ELi8ELi64Ej6__halfLNS0_11ScoringFuncE0EEEvPKT5_PKbPfiPT4_PiiiibPKf,comdat
	.protected	_ZN4vllm3moe10topkGatingILi4ELi4ELi4ELi8ELi64Ej6__halfLNS0_11ScoringFuncE0EEEvPKT5_PKbPfiPT4_PiiiibPKf ; -- Begin function _ZN4vllm3moe10topkGatingILi4ELi4ELi4ELi8ELi64Ej6__halfLNS0_11ScoringFuncE0EEEvPKT5_PKbPfiPT4_PiiiibPKf
	.globl	_ZN4vllm3moe10topkGatingILi4ELi4ELi4ELi8ELi64Ej6__halfLNS0_11ScoringFuncE0EEEvPKT5_PKbPfiPT4_PiiiibPKf
	.p2align	8
	.type	_ZN4vllm3moe10topkGatingILi4ELi4ELi4ELi8ELi64Ej6__halfLNS0_11ScoringFuncE0EEEvPKT5_PKbPfiPT4_PiiiibPKf,@function
_ZN4vllm3moe10topkGatingILi4ELi4ELi4ELi8ELi64Ej6__halfLNS0_11ScoringFuncE0EEEvPKT5_PKbPfiPT4_PiiiibPKf: ; @_ZN4vllm3moe10topkGatingILi4ELi4ELi4ELi8ELi64Ej6__halfLNS0_11ScoringFuncE0EEEvPKT5_PKbPfiPT4_PiiiibPKf
; %bb.0:
	s_load_dword s16, s[4:5], 0x18
	v_bfe_u32 v1, v0, 10, 10
	s_lshl_b32 s0, s6, 8
	v_lshlrev_b32_e32 v1, 6, v1
	v_and_b32_e32 v0, 0x3ff, v0
	v_add3_u32 v14, v1, v0, s0
	s_waitcnt lgkmcnt(0)
	v_cmp_gt_i32_e32 vcc, s16, v14
	s_and_saveexec_b64 s[0:1], vcc
	s_cbranch_execz .LBB91_20
; %bb.1:
	s_load_dwordx4 s[0:3], s[4:5], 0x0
	s_load_dwordx2 s[6:7], s[4:5], 0x10
	s_mov_b64 s[8:9], -1
	s_mov_b64 s[12:13], -1
	s_waitcnt lgkmcnt(0)
	s_cmp_eq_u64 s[2:3], 0
	s_cbranch_scc1 .LBB91_3
; %bb.2:
	v_ashrrev_i32_e32 v1, 31, v14
	v_mov_b32_e32 v2, s3
	v_add_co_u32_e32 v0, vcc, s2, v14
	v_addc_co_u32_e32 v1, vcc, v2, v1, vcc
	global_load_ubyte v0, v[0:1], off
	s_waitcnt vmcnt(0)
	v_and_b32_e32 v0, 1, v0
	v_cmp_eq_u32_e32 vcc, 1, v0
	s_xor_b64 s[2:3], vcc, -1
	s_orn2_b64 s[12:13], s[2:3], exec
.LBB91_3:
	v_lshlrev_b32_e32 v0, 2, v14
	v_ashrrev_i32_e32 v1, 31, v0
	v_lshlrev_b64 v[0:1], 1, v[0:1]
	v_mov_b32_e32 v2, s1
	v_add_co_u32_e32 v0, vcc, s0, v0
	v_addc_co_u32_e32 v1, vcc, v2, v1, vcc
	global_load_dwordx2 v[0:1], v[0:1], off
	v_mov_b32_e32 v5, 0x7f800000
	s_mov_b32 s2, 0x3fb8aa3b
	s_mov_b32 s3, 0xc2ce8ed0
	;; [unrolled: 1-line block ×3, first 2 shown]
	s_load_dwordx2 s[0:1], s[4:5], 0x40
	v_mov_b32_e32 v6, 0x207
	s_waitcnt lgkmcnt(0)
	s_cmp_eq_u64 s[0:1], 0
	s_waitcnt vmcnt(0)
	v_cvt_f32_f16_e32 v2, v0
	v_cvt_f32_f16_sdwa v3, v0 dst_sel:DWORD dst_unused:UNUSED_PAD src0_sel:WORD_1
	v_cvt_f32_f16_e32 v0, v1
	v_cvt_f32_f16_sdwa v1, v1 dst_sel:DWORD dst_unused:UNUSED_PAD src0_sel:WORD_1
	v_max_f32_e32 v4, v2, v3
	v_max3_f32 v4, v4, v0, v1
	v_pk_add_f32 v[2:3], v[2:3], v[4:5] op_sel_hi:[1,0] neg_lo:[0,1] neg_hi:[0,1]
	v_pk_add_f32 v[0:1], v[0:1], v[4:5] op_sel_hi:[1,0] neg_lo:[0,1] neg_hi:[0,1]
	v_mul_f32_e32 v4, 0x3fb8aa3b, v3
	v_mul_f32_e32 v7, 0x3fb8aa3b, v2
	v_fma_f32 v10, v3, s2, -v4
	v_rndne_f32_e32 v11, v4
	v_mul_f32_e32 v8, 0x3fb8aa3b, v1
	v_fma_f32 v12, v2, s2, -v7
	v_rndne_f32_e32 v13, v7
	v_fmac_f32_e32 v10, 0x32a5705f, v3
	v_sub_f32_e32 v4, v4, v11
	v_mul_f32_e32 v9, 0x3fb8aa3b, v0
	v_fma_f32 v15, v1, s2, -v8
	v_rndne_f32_e32 v16, v8
	v_fmac_f32_e32 v12, 0x32a5705f, v2
	v_sub_f32_e32 v7, v7, v13
	v_add_f32_e32 v4, v4, v10
	v_fma_f32 v17, v0, s2, -v9
	v_rndne_f32_e32 v18, v9
	v_cvt_i32_f32_e32 v11, v11
	v_fmac_f32_e32 v15, 0x32a5705f, v1
	v_sub_f32_e32 v8, v8, v16
	v_add_f32_e32 v7, v7, v12
	v_exp_f32_e32 v4, v4
	v_cvt_i32_f32_e32 v13, v13
	v_fmac_f32_e32 v17, 0x32a5705f, v0
	v_sub_f32_e32 v9, v9, v18
	v_add_f32_e32 v8, v8, v15
	v_exp_f32_e32 v7, v7
	v_cvt_i32_f32_e32 v16, v16
	v_add_f32_e32 v9, v9, v17
	v_exp_f32_e32 v8, v8
	v_cvt_i32_f32_e32 v18, v18
	v_exp_f32_e32 v9, v9
	v_ldexp_f32 v4, v4, v11
	v_cmp_ngt_f32_e32 vcc, s3, v3
	v_ldexp_f32 v7, v7, v13
	v_cndmask_b32_e32 v4, 0, v4, vcc
	v_cmp_ngt_f32_e32 vcc, s3, v2
	v_ldexp_f32 v8, v8, v16
	v_cndmask_b32_e32 v7, 0, v7, vcc
	;; [unrolled: 3-line block ×3, first 2 shown]
	v_cmp_ngt_f32_e32 vcc, s3, v0
	v_cndmask_b32_e32 v9, 0, v9, vcc
	v_cmp_nlt_f32_e32 vcc, s10, v3
	v_cndmask_b32_e32 v3, v5, v4, vcc
	v_cmp_nlt_f32_e32 vcc, s10, v2
	;; [unrolled: 2-line block ×4, first 2 shown]
	v_cndmask_b32_e32 v0, v5, v9, vcc
	v_add_f32_e32 v4, v2, v3
	v_add_f32_e32 v4, v4, v0
	;; [unrolled: 1-line block ×3, first 2 shown]
	v_div_scale_f32 v5, s[2:3], v4, v4, 1.0
	v_rcp_f32_e32 v7, v5
	v_div_scale_f32 v8, vcc, 1.0, v4, 1.0
	v_fma_f32 v9, -v5, v7, 1.0
	v_fmac_f32_e32 v7, v9, v7
	v_mul_f32_e32 v9, v8, v7
	v_fma_f32 v10, -v5, v9, v8
	v_fmac_f32_e32 v9, v10, v7
	v_fma_f32 v5, -v5, v9, v8
	v_div_fmas_f32 v5, v5, v7, v9
	v_div_fixup_f32 v4, v5, v4, 1.0
	v_pk_mul_f32 v[2:3], v[4:5], v[2:3] op_sel_hi:[0,1]
	v_cmp_class_f32_e32 vcc, v3, v6
	v_pk_mul_f32 v[4:5], v[4:5], v[0:1] op_sel_hi:[0,1]
	v_cndmask_b32_e64 v1, v3, 0, vcc
	v_cmp_class_f32_e32 vcc, v2, v6
	v_cndmask_b32_e64 v0, v2, 0, vcc
	v_cmp_class_f32_e32 vcc, v5, v6
	;; [unrolled: 2-line block ×3, first 2 shown]
	v_cndmask_b32_e64 v2, v4, 0, vcc
	s_cbranch_scc1 .LBB91_10
; %bb.4:
	s_load_dwordx4 s[0:3], s[0:1], 0x0
	s_waitcnt lgkmcnt(0)
	v_pk_add_f32 v[4:5], s[0:1], v[0:1]
	v_pk_add_f32 v[6:7], s[2:3], v[2:3]
	s_cbranch_execnz .LBB91_6
.LBB91_5:
	v_pk_mov_b32 v[6:7], v[2:3], v[2:3] op_sel:[0,1]
	v_pk_mov_b32 v[4:5], v[0:1], v[0:1] op_sel:[0,1]
.LBB91_6:
	s_load_dwordx4 s[8:11], s[4:5], 0x30
	s_waitcnt lgkmcnt(0)
	s_bitcmp1_b32 s11, 0
	s_cselect_b64 vcc, -1, 0
	s_cmp_gt_i32 s8, 0
	s_cselect_b64 s[14:15], -1, 0
	s_cmp_lt_i32 s8, 1
	s_mov_b32 s11, 0
	s_cbranch_scc1 .LBB91_11
; %bb.7:
	s_load_dwordx4 s[20:23], s[4:5], 0x20
	v_mul_lo_u32 v8, v14, s8
	v_ashrrev_i32_e32 v9, 31, v8
	v_lshlrev_b64 v[12:13], 2, v[8:9]
	v_mov_b32_e32 v9, s7
	v_add_co_u32_e64 v8, s[0:1], s6, v12
	v_addc_co_u32_e64 v9, s[0:1], v9, v13, s[0:1]
	s_waitcnt lgkmcnt(0)
	v_mov_b32_e32 v11, s21
	v_add_co_u32_e64 v10, s[0:1], s20, v12
	v_addc_co_u32_e64 v11, s[0:1], v11, v13, s[0:1]
	v_mov_b32_e32 v15, s23
	v_add_co_u32_e64 v12, s[0:1], s22, v12
	v_addc_co_u32_e64 v13, s[0:1], v15, v13, s[0:1]
	v_mov_b32_e32 v15, 0
	v_mov_b32_e32 v16, 0xc61c4000
	;; [unrolled: 1-line block ×3, first 2 shown]
.LBB91_8:                               ; =>This Inner Loop Header: Depth=1
	v_cmp_gt_f32_e64 s[0:1], v5, v4
	v_cndmask_b32_e64 v18, v4, v5, s[0:1]
	v_cndmask_b32_e64 v19, v0, v1, s[0:1]
	;; [unrolled: 1-line block ×3, first 2 shown]
	v_cmp_gt_f32_e64 s[0:1], v6, v18
	v_cndmask_b32_e64 v18, v18, v6, s[0:1]
	v_cndmask_b32_e64 v19, v19, v2, s[0:1]
	;; [unrolled: 1-line block ×3, first 2 shown]
	v_cmp_gt_f32_e64 s[0:1], v7, v18
	v_cndmask_b32_e64 v18, v19, v3, s[0:1]
	v_cndmask_b32_e64 v19, v20, 3, s[0:1]
	v_cmp_le_i32_e64 s[0:1], s9, v19
	v_cmp_gt_i32_e64 s[2:3], s10, v19
	s_and_b64 s[0:1], s[0:1], s[2:3]
	v_subrev_u32_e32 v20, s9, v19
	s_and_b64 s[0:1], s[12:13], s[0:1]
	global_store_dword v[8:9], v18, off
	v_cndmask_b32_e64 v20, 4, v20, s[0:1]
	v_add_f32_e32 v18, v15, v18
	v_cmp_ne_u32_e64 s[0:1], 0, v19
	v_cndmask_b32_e32 v15, v15, v18, vcc
	v_cndmask_b32_e64 v18, v16, v4, s[0:1]
	v_cmp_ne_u32_e64 s[0:1], 1, v19
	global_store_dword v[10:11], v20, off
	global_store_dword v[12:13], v17, off
	s_add_i32 s11, s11, 1
	v_cndmask_b32_e64 v20, v16, v5, s[0:1]
	v_cmp_ne_u32_e64 s[0:1], 2, v19
	s_cmp_lt_i32 s11, s8
	v_cndmask_b32_e64 v21, v16, v6, s[0:1]
	v_cmp_ne_u32_e64 s[0:1], 3, v19
	v_cndmask_b32_e64 v19, v16, v7, s[0:1]
	s_cselect_b64 s[0:1], -1, 0
	v_cndmask_b32_e64 v7, v7, v19, s[0:1]
	v_cndmask_b32_e64 v6, v6, v21, s[0:1]
	;; [unrolled: 1-line block ×4, first 2 shown]
	v_add_co_u32_e64 v8, s[0:1], 4, v8
	v_addc_co_u32_e64 v9, s[0:1], 0, v9, s[0:1]
	v_add_co_u32_e64 v10, s[0:1], 4, v10
	v_addc_co_u32_e64 v11, s[0:1], 0, v11, s[0:1]
	v_add_co_u32_e64 v12, s[0:1], 4, v12
	v_add_u32_e32 v17, s16, v17
	s_cmp_eq_u32 s8, s11
	v_addc_co_u32_e64 v13, s[0:1], 0, v13, s[0:1]
	s_cbranch_scc0 .LBB91_8
; %bb.9:
	s_and_b64 vcc, exec, vcc
	s_cbranch_vccnz .LBB91_12
	s_branch .LBB91_20
.LBB91_10:
                                        ; implicit-def: $vgpr4_vgpr5_vgpr6_vgpr7
	s_andn2_b64 vcc, exec, s[8:9]
	s_cbranch_vccz .LBB91_5
	s_branch .LBB91_6
.LBB91_11:
	v_mov_b32_e32 v15, 0
	s_and_b64 vcc, exec, vcc
	s_cbranch_vccz .LBB91_20
.LBB91_12:
	s_andn2_b64 vcc, exec, s[14:15]
	s_cbranch_vccnz .LBB91_20
; %bb.13:
	v_cmp_lt_f32_e32 vcc, 0, v15
	s_mov_b32 s2, 0
	v_cndmask_b32_e32 v0, 1.0, v15, vcc
	v_mul_lo_u32 v4, v14, s8
	s_cmp_eq_u32 s8, 1
	s_mov_b64 s[0:1], -1
	s_cbranch_scc1 .LBB91_17
; %bb.14:
	s_and_b32 s2, s8, 0x7ffffffe
	v_mov_b32_e32 v1, v0
	v_mov_b32_e32 v5, s7
	s_mov_b32 s3, s2
	v_mov_b32_e32 v2, v4
.LBB91_15:                              ; =>This Inner Loop Header: Depth=1
	v_ashrrev_i32_e32 v3, 31, v2
	v_lshlrev_b64 v[6:7], 2, v[2:3]
	v_add_co_u32_e32 v6, vcc, s6, v6
	v_addc_co_u32_e32 v7, vcc, v5, v7, vcc
	global_load_dwordx2 v[8:9], v[6:7], off
	s_add_i32 s3, s3, -2
	s_cmp_lg_u32 s3, 0
	v_add_u32_e32 v2, 2, v2
	s_waitcnt vmcnt(0)
	v_div_scale_f32 v3, s[0:1], v1, v1, v9
	v_div_scale_f32 v11, s[0:1], v0, v0, v8
	v_rcp_f32_e32 v12, v3
	v_rcp_f32_e32 v13, v11
	v_div_scale_f32 v10, vcc, v9, v1, v9
	v_fma_f32 v15, -v3, v12, 1.0
	v_fma_f32 v16, -v11, v13, 1.0
	v_fmac_f32_e32 v12, v15, v12
	v_div_scale_f32 v14, s[0:1], v8, v0, v8
	v_fmac_f32_e32 v13, v16, v13
	v_mul_f32_e32 v15, v10, v12
	v_mul_f32_e32 v16, v14, v13
	v_fma_f32 v17, -v3, v15, v10
	v_fma_f32 v18, -v11, v16, v14
	v_fmac_f32_e32 v15, v17, v12
	v_fmac_f32_e32 v16, v18, v13
	v_fma_f32 v3, -v3, v15, v10
	v_fma_f32 v10, -v11, v16, v14
	v_div_fmas_f32 v3, v3, v12, v15
	s_mov_b64 vcc, s[0:1]
	v_div_fixup_f32 v9, v3, v1, v9
	v_div_fmas_f32 v3, v10, v13, v16
	v_div_fixup_f32 v8, v3, v0, v8
	global_store_dwordx2 v[6:7], v[8:9], off
	s_cbranch_scc1 .LBB91_15
; %bb.16:
	s_cmp_lg_u32 s2, s8
	s_cselect_b64 s[0:1], -1, 0
.LBB91_17:
	s_and_b64 vcc, exec, s[0:1]
	s_cbranch_vccz .LBB91_20
; %bb.18:
	v_ashrrev_i32_e32 v1, 31, v4
	v_add_co_u32_e32 v2, vcc, s2, v4
	v_addc_co_u32_e32 v3, vcc, 0, v1, vcc
	v_lshlrev_b64 v[2:3], 2, v[2:3]
	v_mov_b32_e32 v1, s7
	v_add_co_u32_e32 v2, vcc, s6, v2
	s_sub_i32 s0, s8, s2
	v_addc_co_u32_e32 v3, vcc, v1, v3, vcc
.LBB91_19:                              ; =>This Inner Loop Header: Depth=1
	global_load_dword v1, v[2:3], off
	s_add_i32 s0, s0, -1
	s_cmp_lg_u32 s0, 0
	s_waitcnt vmcnt(0)
	v_div_scale_f32 v4, s[2:3], v0, v0, v1
	v_rcp_f32_e32 v5, v4
	v_div_scale_f32 v6, vcc, v1, v0, v1
	v_fma_f32 v7, -v4, v5, 1.0
	v_fmac_f32_e32 v5, v7, v5
	v_mul_f32_e32 v7, v6, v5
	v_fma_f32 v8, -v4, v7, v6
	v_fmac_f32_e32 v7, v8, v5
	v_fma_f32 v4, -v4, v7, v6
	v_div_fmas_f32 v4, v4, v5, v7
	v_div_fixup_f32 v1, v4, v0, v1
	global_store_dword v[2:3], v1, off
	v_add_co_u32_e32 v2, vcc, 4, v2
	v_addc_co_u32_e32 v3, vcc, 0, v3, vcc
	s_cbranch_scc1 .LBB91_19
.LBB91_20:
	s_endpgm
	.section	.rodata,"a",@progbits
	.p2align	6, 0x0
	.amdhsa_kernel _ZN4vllm3moe10topkGatingILi4ELi4ELi4ELi8ELi64Ej6__halfLNS0_11ScoringFuncE0EEEvPKT5_PKbPfiPT4_PiiiibPKf
		.amdhsa_group_segment_fixed_size 0
		.amdhsa_private_segment_fixed_size 0
		.amdhsa_kernarg_size 72
		.amdhsa_user_sgpr_count 6
		.amdhsa_user_sgpr_private_segment_buffer 1
		.amdhsa_user_sgpr_dispatch_ptr 0
		.amdhsa_user_sgpr_queue_ptr 0
		.amdhsa_user_sgpr_kernarg_segment_ptr 1
		.amdhsa_user_sgpr_dispatch_id 0
		.amdhsa_user_sgpr_flat_scratch_init 0
		.amdhsa_user_sgpr_kernarg_preload_length 0
		.amdhsa_user_sgpr_kernarg_preload_offset 0
		.amdhsa_user_sgpr_private_segment_size 0
		.amdhsa_uses_dynamic_stack 0
		.amdhsa_system_sgpr_private_segment_wavefront_offset 0
		.amdhsa_system_sgpr_workgroup_id_x 1
		.amdhsa_system_sgpr_workgroup_id_y 0
		.amdhsa_system_sgpr_workgroup_id_z 0
		.amdhsa_system_sgpr_workgroup_info 0
		.amdhsa_system_vgpr_workitem_id 1
		.amdhsa_next_free_vgpr 22
		.amdhsa_next_free_sgpr 24
		.amdhsa_accum_offset 24
		.amdhsa_reserve_vcc 1
		.amdhsa_reserve_flat_scratch 0
		.amdhsa_float_round_mode_32 0
		.amdhsa_float_round_mode_16_64 0
		.amdhsa_float_denorm_mode_32 3
		.amdhsa_float_denorm_mode_16_64 3
		.amdhsa_dx10_clamp 1
		.amdhsa_ieee_mode 1
		.amdhsa_fp16_overflow 0
		.amdhsa_tg_split 0
		.amdhsa_exception_fp_ieee_invalid_op 0
		.amdhsa_exception_fp_denorm_src 0
		.amdhsa_exception_fp_ieee_div_zero 0
		.amdhsa_exception_fp_ieee_overflow 0
		.amdhsa_exception_fp_ieee_underflow 0
		.amdhsa_exception_fp_ieee_inexact 0
		.amdhsa_exception_int_div_zero 0
	.end_amdhsa_kernel
	.section	.text._ZN4vllm3moe10topkGatingILi4ELi4ELi4ELi8ELi64Ej6__halfLNS0_11ScoringFuncE0EEEvPKT5_PKbPfiPT4_PiiiibPKf,"axG",@progbits,_ZN4vllm3moe10topkGatingILi4ELi4ELi4ELi8ELi64Ej6__halfLNS0_11ScoringFuncE0EEEvPKT5_PKbPfiPT4_PiiiibPKf,comdat
.Lfunc_end91:
	.size	_ZN4vllm3moe10topkGatingILi4ELi4ELi4ELi8ELi64Ej6__halfLNS0_11ScoringFuncE0EEEvPKT5_PKbPfiPT4_PiiiibPKf, .Lfunc_end91-_ZN4vllm3moe10topkGatingILi4ELi4ELi4ELi8ELi64Ej6__halfLNS0_11ScoringFuncE0EEEvPKT5_PKbPfiPT4_PiiiibPKf
                                        ; -- End function
	.section	.AMDGPU.csdata,"",@progbits
; Kernel info:
; codeLenInByte = 1700
; NumSgprs: 28
; NumVgprs: 22
; NumAgprs: 0
; TotalNumVgprs: 22
; ScratchSize: 0
; MemoryBound: 1
; FloatMode: 240
; IeeeMode: 1
; LDSByteSize: 0 bytes/workgroup (compile time only)
; SGPRBlocks: 3
; VGPRBlocks: 2
; NumSGPRsForWavesPerEU: 28
; NumVGPRsForWavesPerEU: 22
; AccumOffset: 24
; Occupancy: 8
; WaveLimiterHint : 0
; COMPUTE_PGM_RSRC2:SCRATCH_EN: 0
; COMPUTE_PGM_RSRC2:USER_SGPR: 6
; COMPUTE_PGM_RSRC2:TRAP_HANDLER: 0
; COMPUTE_PGM_RSRC2:TGID_X_EN: 1
; COMPUTE_PGM_RSRC2:TGID_Y_EN: 0
; COMPUTE_PGM_RSRC2:TGID_Z_EN: 0
; COMPUTE_PGM_RSRC2:TIDIG_COMP_CNT: 1
; COMPUTE_PGM_RSRC3_GFX90A:ACCUM_OFFSET: 5
; COMPUTE_PGM_RSRC3_GFX90A:TG_SPLIT: 0
	.section	.text._ZN4vllm3moe10topkGatingILi4ELi4ELi4ELi8ELi32Ej6__halfLNS0_11ScoringFuncE0EEEvPKT5_PKbPfiPT4_PiiiibPKf,"axG",@progbits,_ZN4vllm3moe10topkGatingILi4ELi4ELi4ELi8ELi32Ej6__halfLNS0_11ScoringFuncE0EEEvPKT5_PKbPfiPT4_PiiiibPKf,comdat
	.protected	_ZN4vllm3moe10topkGatingILi4ELi4ELi4ELi8ELi32Ej6__halfLNS0_11ScoringFuncE0EEEvPKT5_PKbPfiPT4_PiiiibPKf ; -- Begin function _ZN4vllm3moe10topkGatingILi4ELi4ELi4ELi8ELi32Ej6__halfLNS0_11ScoringFuncE0EEEvPKT5_PKbPfiPT4_PiiiibPKf
	.globl	_ZN4vllm3moe10topkGatingILi4ELi4ELi4ELi8ELi32Ej6__halfLNS0_11ScoringFuncE0EEEvPKT5_PKbPfiPT4_PiiiibPKf
	.p2align	8
	.type	_ZN4vllm3moe10topkGatingILi4ELi4ELi4ELi8ELi32Ej6__halfLNS0_11ScoringFuncE0EEEvPKT5_PKbPfiPT4_PiiiibPKf,@function
_ZN4vllm3moe10topkGatingILi4ELi4ELi4ELi8ELi32Ej6__halfLNS0_11ScoringFuncE0EEEvPKT5_PKbPfiPT4_PiiiibPKf: ; @_ZN4vllm3moe10topkGatingILi4ELi4ELi4ELi8ELi32Ej6__halfLNS0_11ScoringFuncE0EEEvPKT5_PKbPfiPT4_PiiiibPKf
; %bb.0:
	s_load_dword s16, s[4:5], 0x18
	v_bfe_u32 v1, v0, 10, 10
	s_lshl_b32 s0, s6, 7
	v_lshlrev_b32_e32 v1, 5, v1
	v_and_b32_e32 v0, 0x3ff, v0
	v_add3_u32 v14, v1, v0, s0
	s_waitcnt lgkmcnt(0)
	v_cmp_gt_i32_e32 vcc, s16, v14
	s_and_saveexec_b64 s[0:1], vcc
	s_cbranch_execz .LBB92_20
; %bb.1:
	s_load_dwordx4 s[0:3], s[4:5], 0x0
	s_load_dwordx2 s[6:7], s[4:5], 0x10
	s_mov_b64 s[8:9], -1
	s_mov_b64 s[12:13], -1
	s_waitcnt lgkmcnt(0)
	s_cmp_eq_u64 s[2:3], 0
	s_cbranch_scc1 .LBB92_3
; %bb.2:
	v_ashrrev_i32_e32 v1, 31, v14
	v_mov_b32_e32 v2, s3
	v_add_co_u32_e32 v0, vcc, s2, v14
	v_addc_co_u32_e32 v1, vcc, v2, v1, vcc
	global_load_ubyte v0, v[0:1], off
	s_waitcnt vmcnt(0)
	v_and_b32_e32 v0, 1, v0
	v_cmp_eq_u32_e32 vcc, 1, v0
	s_xor_b64 s[2:3], vcc, -1
	s_orn2_b64 s[12:13], s[2:3], exec
.LBB92_3:
	v_lshlrev_b32_e32 v0, 2, v14
	v_ashrrev_i32_e32 v1, 31, v0
	v_lshlrev_b64 v[0:1], 1, v[0:1]
	v_mov_b32_e32 v2, s1
	v_add_co_u32_e32 v0, vcc, s0, v0
	v_addc_co_u32_e32 v1, vcc, v2, v1, vcc
	global_load_dwordx2 v[0:1], v[0:1], off
	v_mov_b32_e32 v5, 0x7f800000
	s_mov_b32 s2, 0x3fb8aa3b
	s_mov_b32 s3, 0xc2ce8ed0
	;; [unrolled: 1-line block ×3, first 2 shown]
	s_load_dwordx2 s[0:1], s[4:5], 0x40
	v_mov_b32_e32 v6, 0x207
	s_waitcnt lgkmcnt(0)
	s_cmp_eq_u64 s[0:1], 0
	s_waitcnt vmcnt(0)
	v_cvt_f32_f16_e32 v2, v0
	v_cvt_f32_f16_sdwa v3, v0 dst_sel:DWORD dst_unused:UNUSED_PAD src0_sel:WORD_1
	v_cvt_f32_f16_e32 v0, v1
	v_cvt_f32_f16_sdwa v1, v1 dst_sel:DWORD dst_unused:UNUSED_PAD src0_sel:WORD_1
	v_max_f32_e32 v4, v2, v3
	v_max3_f32 v4, v4, v0, v1
	v_pk_add_f32 v[2:3], v[2:3], v[4:5] op_sel_hi:[1,0] neg_lo:[0,1] neg_hi:[0,1]
	v_pk_add_f32 v[0:1], v[0:1], v[4:5] op_sel_hi:[1,0] neg_lo:[0,1] neg_hi:[0,1]
	v_mul_f32_e32 v4, 0x3fb8aa3b, v3
	v_mul_f32_e32 v7, 0x3fb8aa3b, v2
	v_fma_f32 v10, v3, s2, -v4
	v_rndne_f32_e32 v11, v4
	v_mul_f32_e32 v8, 0x3fb8aa3b, v1
	v_fma_f32 v12, v2, s2, -v7
	v_rndne_f32_e32 v13, v7
	v_fmac_f32_e32 v10, 0x32a5705f, v3
	v_sub_f32_e32 v4, v4, v11
	v_mul_f32_e32 v9, 0x3fb8aa3b, v0
	v_fma_f32 v15, v1, s2, -v8
	v_rndne_f32_e32 v16, v8
	v_fmac_f32_e32 v12, 0x32a5705f, v2
	v_sub_f32_e32 v7, v7, v13
	v_add_f32_e32 v4, v4, v10
	v_fma_f32 v17, v0, s2, -v9
	v_rndne_f32_e32 v18, v9
	v_cvt_i32_f32_e32 v11, v11
	v_fmac_f32_e32 v15, 0x32a5705f, v1
	v_sub_f32_e32 v8, v8, v16
	v_add_f32_e32 v7, v7, v12
	v_exp_f32_e32 v4, v4
	v_cvt_i32_f32_e32 v13, v13
	v_fmac_f32_e32 v17, 0x32a5705f, v0
	v_sub_f32_e32 v9, v9, v18
	v_add_f32_e32 v8, v8, v15
	v_exp_f32_e32 v7, v7
	v_cvt_i32_f32_e32 v16, v16
	v_add_f32_e32 v9, v9, v17
	v_exp_f32_e32 v8, v8
	v_cvt_i32_f32_e32 v18, v18
	v_exp_f32_e32 v9, v9
	v_ldexp_f32 v4, v4, v11
	v_cmp_ngt_f32_e32 vcc, s3, v3
	v_ldexp_f32 v7, v7, v13
	v_cndmask_b32_e32 v4, 0, v4, vcc
	v_cmp_ngt_f32_e32 vcc, s3, v2
	v_ldexp_f32 v8, v8, v16
	v_cndmask_b32_e32 v7, 0, v7, vcc
	v_cmp_ngt_f32_e32 vcc, s3, v1
	v_ldexp_f32 v9, v9, v18
	v_cndmask_b32_e32 v8, 0, v8, vcc
	v_cmp_ngt_f32_e32 vcc, s3, v0
	v_cndmask_b32_e32 v9, 0, v9, vcc
	v_cmp_nlt_f32_e32 vcc, s10, v3
	v_cndmask_b32_e32 v3, v5, v4, vcc
	v_cmp_nlt_f32_e32 vcc, s10, v2
	v_cndmask_b32_e32 v2, v5, v7, vcc
	v_cmp_nlt_f32_e32 vcc, s10, v1
	v_cndmask_b32_e32 v1, v5, v8, vcc
	v_cmp_nlt_f32_e32 vcc, s10, v0
	v_cndmask_b32_e32 v0, v5, v9, vcc
	v_add_f32_e32 v4, v2, v3
	v_add_f32_e32 v4, v4, v0
	;; [unrolled: 1-line block ×3, first 2 shown]
	v_div_scale_f32 v5, s[2:3], v4, v4, 1.0
	v_rcp_f32_e32 v7, v5
	v_div_scale_f32 v8, vcc, 1.0, v4, 1.0
	v_fma_f32 v9, -v5, v7, 1.0
	v_fmac_f32_e32 v7, v9, v7
	v_mul_f32_e32 v9, v8, v7
	v_fma_f32 v10, -v5, v9, v8
	v_fmac_f32_e32 v9, v10, v7
	v_fma_f32 v5, -v5, v9, v8
	v_div_fmas_f32 v5, v5, v7, v9
	v_div_fixup_f32 v4, v5, v4, 1.0
	v_pk_mul_f32 v[2:3], v[4:5], v[2:3] op_sel_hi:[0,1]
	v_cmp_class_f32_e32 vcc, v3, v6
	v_pk_mul_f32 v[4:5], v[4:5], v[0:1] op_sel_hi:[0,1]
	v_cndmask_b32_e64 v1, v3, 0, vcc
	v_cmp_class_f32_e32 vcc, v2, v6
	v_cndmask_b32_e64 v0, v2, 0, vcc
	v_cmp_class_f32_e32 vcc, v5, v6
	;; [unrolled: 2-line block ×3, first 2 shown]
	v_cndmask_b32_e64 v2, v4, 0, vcc
	s_cbranch_scc1 .LBB92_10
; %bb.4:
	s_load_dwordx4 s[0:3], s[0:1], 0x0
	s_waitcnt lgkmcnt(0)
	v_pk_add_f32 v[4:5], s[0:1], v[0:1]
	v_pk_add_f32 v[6:7], s[2:3], v[2:3]
	s_cbranch_execnz .LBB92_6
.LBB92_5:
	v_pk_mov_b32 v[6:7], v[2:3], v[2:3] op_sel:[0,1]
	v_pk_mov_b32 v[4:5], v[0:1], v[0:1] op_sel:[0,1]
.LBB92_6:
	s_load_dwordx4 s[8:11], s[4:5], 0x30
	s_waitcnt lgkmcnt(0)
	s_bitcmp1_b32 s11, 0
	s_cselect_b64 vcc, -1, 0
	s_cmp_gt_i32 s8, 0
	s_cselect_b64 s[14:15], -1, 0
	s_cmp_lt_i32 s8, 1
	s_mov_b32 s11, 0
	s_cbranch_scc1 .LBB92_11
; %bb.7:
	s_load_dwordx4 s[20:23], s[4:5], 0x20
	v_mul_lo_u32 v8, v14, s8
	v_ashrrev_i32_e32 v9, 31, v8
	v_lshlrev_b64 v[12:13], 2, v[8:9]
	v_mov_b32_e32 v9, s7
	v_add_co_u32_e64 v8, s[0:1], s6, v12
	v_addc_co_u32_e64 v9, s[0:1], v9, v13, s[0:1]
	s_waitcnt lgkmcnt(0)
	v_mov_b32_e32 v11, s21
	v_add_co_u32_e64 v10, s[0:1], s20, v12
	v_addc_co_u32_e64 v11, s[0:1], v11, v13, s[0:1]
	v_mov_b32_e32 v15, s23
	v_add_co_u32_e64 v12, s[0:1], s22, v12
	v_addc_co_u32_e64 v13, s[0:1], v15, v13, s[0:1]
	v_mov_b32_e32 v15, 0
	v_mov_b32_e32 v16, 0xc61c4000
	;; [unrolled: 1-line block ×3, first 2 shown]
.LBB92_8:                               ; =>This Inner Loop Header: Depth=1
	v_cmp_gt_f32_e64 s[0:1], v5, v4
	v_cndmask_b32_e64 v18, v4, v5, s[0:1]
	v_cndmask_b32_e64 v19, v0, v1, s[0:1]
	;; [unrolled: 1-line block ×3, first 2 shown]
	v_cmp_gt_f32_e64 s[0:1], v6, v18
	v_cndmask_b32_e64 v18, v18, v6, s[0:1]
	v_cndmask_b32_e64 v19, v19, v2, s[0:1]
	;; [unrolled: 1-line block ×3, first 2 shown]
	v_cmp_gt_f32_e64 s[0:1], v7, v18
	v_cndmask_b32_e64 v18, v19, v3, s[0:1]
	v_cndmask_b32_e64 v19, v20, 3, s[0:1]
	v_cmp_le_i32_e64 s[0:1], s9, v19
	v_cmp_gt_i32_e64 s[2:3], s10, v19
	s_and_b64 s[0:1], s[0:1], s[2:3]
	v_subrev_u32_e32 v20, s9, v19
	s_and_b64 s[0:1], s[12:13], s[0:1]
	global_store_dword v[8:9], v18, off
	v_cndmask_b32_e64 v20, 4, v20, s[0:1]
	v_add_f32_e32 v18, v15, v18
	v_cmp_ne_u32_e64 s[0:1], 0, v19
	v_cndmask_b32_e32 v15, v15, v18, vcc
	v_cndmask_b32_e64 v18, v16, v4, s[0:1]
	v_cmp_ne_u32_e64 s[0:1], 1, v19
	global_store_dword v[10:11], v20, off
	global_store_dword v[12:13], v17, off
	s_add_i32 s11, s11, 1
	v_cndmask_b32_e64 v20, v16, v5, s[0:1]
	v_cmp_ne_u32_e64 s[0:1], 2, v19
	s_cmp_lt_i32 s11, s8
	v_cndmask_b32_e64 v21, v16, v6, s[0:1]
	v_cmp_ne_u32_e64 s[0:1], 3, v19
	v_cndmask_b32_e64 v19, v16, v7, s[0:1]
	s_cselect_b64 s[0:1], -1, 0
	v_cndmask_b32_e64 v7, v7, v19, s[0:1]
	v_cndmask_b32_e64 v6, v6, v21, s[0:1]
	;; [unrolled: 1-line block ×4, first 2 shown]
	v_add_co_u32_e64 v8, s[0:1], 4, v8
	v_addc_co_u32_e64 v9, s[0:1], 0, v9, s[0:1]
	v_add_co_u32_e64 v10, s[0:1], 4, v10
	v_addc_co_u32_e64 v11, s[0:1], 0, v11, s[0:1]
	v_add_co_u32_e64 v12, s[0:1], 4, v12
	v_add_u32_e32 v17, s16, v17
	s_cmp_eq_u32 s8, s11
	v_addc_co_u32_e64 v13, s[0:1], 0, v13, s[0:1]
	s_cbranch_scc0 .LBB92_8
; %bb.9:
	s_and_b64 vcc, exec, vcc
	s_cbranch_vccnz .LBB92_12
	s_branch .LBB92_20
.LBB92_10:
                                        ; implicit-def: $vgpr4_vgpr5_vgpr6_vgpr7
	s_andn2_b64 vcc, exec, s[8:9]
	s_cbranch_vccz .LBB92_5
	s_branch .LBB92_6
.LBB92_11:
	v_mov_b32_e32 v15, 0
	s_and_b64 vcc, exec, vcc
	s_cbranch_vccz .LBB92_20
.LBB92_12:
	s_andn2_b64 vcc, exec, s[14:15]
	s_cbranch_vccnz .LBB92_20
; %bb.13:
	v_cmp_lt_f32_e32 vcc, 0, v15
	s_mov_b32 s2, 0
	v_cndmask_b32_e32 v0, 1.0, v15, vcc
	v_mul_lo_u32 v4, v14, s8
	s_cmp_eq_u32 s8, 1
	s_mov_b64 s[0:1], -1
	s_cbranch_scc1 .LBB92_17
; %bb.14:
	s_and_b32 s2, s8, 0x7ffffffe
	v_mov_b32_e32 v1, v0
	v_mov_b32_e32 v5, s7
	s_mov_b32 s3, s2
	v_mov_b32_e32 v2, v4
.LBB92_15:                              ; =>This Inner Loop Header: Depth=1
	v_ashrrev_i32_e32 v3, 31, v2
	v_lshlrev_b64 v[6:7], 2, v[2:3]
	v_add_co_u32_e32 v6, vcc, s6, v6
	v_addc_co_u32_e32 v7, vcc, v5, v7, vcc
	global_load_dwordx2 v[8:9], v[6:7], off
	s_add_i32 s3, s3, -2
	s_cmp_lg_u32 s3, 0
	v_add_u32_e32 v2, 2, v2
	s_waitcnt vmcnt(0)
	v_div_scale_f32 v3, s[0:1], v1, v1, v9
	v_div_scale_f32 v11, s[0:1], v0, v0, v8
	v_rcp_f32_e32 v12, v3
	v_rcp_f32_e32 v13, v11
	v_div_scale_f32 v10, vcc, v9, v1, v9
	v_fma_f32 v15, -v3, v12, 1.0
	v_fma_f32 v16, -v11, v13, 1.0
	v_fmac_f32_e32 v12, v15, v12
	v_div_scale_f32 v14, s[0:1], v8, v0, v8
	v_fmac_f32_e32 v13, v16, v13
	v_mul_f32_e32 v15, v10, v12
	v_mul_f32_e32 v16, v14, v13
	v_fma_f32 v17, -v3, v15, v10
	v_fma_f32 v18, -v11, v16, v14
	v_fmac_f32_e32 v15, v17, v12
	v_fmac_f32_e32 v16, v18, v13
	v_fma_f32 v3, -v3, v15, v10
	v_fma_f32 v10, -v11, v16, v14
	v_div_fmas_f32 v3, v3, v12, v15
	s_mov_b64 vcc, s[0:1]
	v_div_fixup_f32 v9, v3, v1, v9
	v_div_fmas_f32 v3, v10, v13, v16
	v_div_fixup_f32 v8, v3, v0, v8
	global_store_dwordx2 v[6:7], v[8:9], off
	s_cbranch_scc1 .LBB92_15
; %bb.16:
	s_cmp_lg_u32 s2, s8
	s_cselect_b64 s[0:1], -1, 0
.LBB92_17:
	s_and_b64 vcc, exec, s[0:1]
	s_cbranch_vccz .LBB92_20
; %bb.18:
	v_ashrrev_i32_e32 v1, 31, v4
	v_add_co_u32_e32 v2, vcc, s2, v4
	v_addc_co_u32_e32 v3, vcc, 0, v1, vcc
	v_lshlrev_b64 v[2:3], 2, v[2:3]
	v_mov_b32_e32 v1, s7
	v_add_co_u32_e32 v2, vcc, s6, v2
	s_sub_i32 s0, s8, s2
	v_addc_co_u32_e32 v3, vcc, v1, v3, vcc
.LBB92_19:                              ; =>This Inner Loop Header: Depth=1
	global_load_dword v1, v[2:3], off
	s_add_i32 s0, s0, -1
	s_cmp_lg_u32 s0, 0
	s_waitcnt vmcnt(0)
	v_div_scale_f32 v4, s[2:3], v0, v0, v1
	v_rcp_f32_e32 v5, v4
	v_div_scale_f32 v6, vcc, v1, v0, v1
	v_fma_f32 v7, -v4, v5, 1.0
	v_fmac_f32_e32 v5, v7, v5
	v_mul_f32_e32 v7, v6, v5
	v_fma_f32 v8, -v4, v7, v6
	v_fmac_f32_e32 v7, v8, v5
	v_fma_f32 v4, -v4, v7, v6
	v_div_fmas_f32 v4, v4, v5, v7
	v_div_fixup_f32 v1, v4, v0, v1
	global_store_dword v[2:3], v1, off
	v_add_co_u32_e32 v2, vcc, 4, v2
	v_addc_co_u32_e32 v3, vcc, 0, v3, vcc
	s_cbranch_scc1 .LBB92_19
.LBB92_20:
	s_endpgm
	.section	.rodata,"a",@progbits
	.p2align	6, 0x0
	.amdhsa_kernel _ZN4vllm3moe10topkGatingILi4ELi4ELi4ELi8ELi32Ej6__halfLNS0_11ScoringFuncE0EEEvPKT5_PKbPfiPT4_PiiiibPKf
		.amdhsa_group_segment_fixed_size 0
		.amdhsa_private_segment_fixed_size 0
		.amdhsa_kernarg_size 72
		.amdhsa_user_sgpr_count 6
		.amdhsa_user_sgpr_private_segment_buffer 1
		.amdhsa_user_sgpr_dispatch_ptr 0
		.amdhsa_user_sgpr_queue_ptr 0
		.amdhsa_user_sgpr_kernarg_segment_ptr 1
		.amdhsa_user_sgpr_dispatch_id 0
		.amdhsa_user_sgpr_flat_scratch_init 0
		.amdhsa_user_sgpr_kernarg_preload_length 0
		.amdhsa_user_sgpr_kernarg_preload_offset 0
		.amdhsa_user_sgpr_private_segment_size 0
		.amdhsa_uses_dynamic_stack 0
		.amdhsa_system_sgpr_private_segment_wavefront_offset 0
		.amdhsa_system_sgpr_workgroup_id_x 1
		.amdhsa_system_sgpr_workgroup_id_y 0
		.amdhsa_system_sgpr_workgroup_id_z 0
		.amdhsa_system_sgpr_workgroup_info 0
		.amdhsa_system_vgpr_workitem_id 1
		.amdhsa_next_free_vgpr 22
		.amdhsa_next_free_sgpr 24
		.amdhsa_accum_offset 24
		.amdhsa_reserve_vcc 1
		.amdhsa_reserve_flat_scratch 0
		.amdhsa_float_round_mode_32 0
		.amdhsa_float_round_mode_16_64 0
		.amdhsa_float_denorm_mode_32 3
		.amdhsa_float_denorm_mode_16_64 3
		.amdhsa_dx10_clamp 1
		.amdhsa_ieee_mode 1
		.amdhsa_fp16_overflow 0
		.amdhsa_tg_split 0
		.amdhsa_exception_fp_ieee_invalid_op 0
		.amdhsa_exception_fp_denorm_src 0
		.amdhsa_exception_fp_ieee_div_zero 0
		.amdhsa_exception_fp_ieee_overflow 0
		.amdhsa_exception_fp_ieee_underflow 0
		.amdhsa_exception_fp_ieee_inexact 0
		.amdhsa_exception_int_div_zero 0
	.end_amdhsa_kernel
	.section	.text._ZN4vllm3moe10topkGatingILi4ELi4ELi4ELi8ELi32Ej6__halfLNS0_11ScoringFuncE0EEEvPKT5_PKbPfiPT4_PiiiibPKf,"axG",@progbits,_ZN4vllm3moe10topkGatingILi4ELi4ELi4ELi8ELi32Ej6__halfLNS0_11ScoringFuncE0EEEvPKT5_PKbPfiPT4_PiiiibPKf,comdat
.Lfunc_end92:
	.size	_ZN4vllm3moe10topkGatingILi4ELi4ELi4ELi8ELi32Ej6__halfLNS0_11ScoringFuncE0EEEvPKT5_PKbPfiPT4_PiiiibPKf, .Lfunc_end92-_ZN4vllm3moe10topkGatingILi4ELi4ELi4ELi8ELi32Ej6__halfLNS0_11ScoringFuncE0EEEvPKT5_PKbPfiPT4_PiiiibPKf
                                        ; -- End function
	.section	.AMDGPU.csdata,"",@progbits
; Kernel info:
; codeLenInByte = 1700
; NumSgprs: 28
; NumVgprs: 22
; NumAgprs: 0
; TotalNumVgprs: 22
; ScratchSize: 0
; MemoryBound: 1
; FloatMode: 240
; IeeeMode: 1
; LDSByteSize: 0 bytes/workgroup (compile time only)
; SGPRBlocks: 3
; VGPRBlocks: 2
; NumSGPRsForWavesPerEU: 28
; NumVGPRsForWavesPerEU: 22
; AccumOffset: 24
; Occupancy: 8
; WaveLimiterHint : 0
; COMPUTE_PGM_RSRC2:SCRATCH_EN: 0
; COMPUTE_PGM_RSRC2:USER_SGPR: 6
; COMPUTE_PGM_RSRC2:TRAP_HANDLER: 0
; COMPUTE_PGM_RSRC2:TGID_X_EN: 1
; COMPUTE_PGM_RSRC2:TGID_Y_EN: 0
; COMPUTE_PGM_RSRC2:TGID_Z_EN: 0
; COMPUTE_PGM_RSRC2:TIDIG_COMP_CNT: 1
; COMPUTE_PGM_RSRC3_GFX90A:ACCUM_OFFSET: 5
; COMPUTE_PGM_RSRC3_GFX90A:TG_SPLIT: 0
	.section	.text._ZN4vllm3moe10topkGatingILi8ELi8ELi4ELi16ELi64Ej6__halfLNS0_11ScoringFuncE0EEEvPKT5_PKbPfiPT4_PiiiibPKf,"axG",@progbits,_ZN4vllm3moe10topkGatingILi8ELi8ELi4ELi16ELi64Ej6__halfLNS0_11ScoringFuncE0EEEvPKT5_PKbPfiPT4_PiiiibPKf,comdat
	.protected	_ZN4vllm3moe10topkGatingILi8ELi8ELi4ELi16ELi64Ej6__halfLNS0_11ScoringFuncE0EEEvPKT5_PKbPfiPT4_PiiiibPKf ; -- Begin function _ZN4vllm3moe10topkGatingILi8ELi8ELi4ELi16ELi64Ej6__halfLNS0_11ScoringFuncE0EEEvPKT5_PKbPfiPT4_PiiiibPKf
	.globl	_ZN4vllm3moe10topkGatingILi8ELi8ELi4ELi16ELi64Ej6__halfLNS0_11ScoringFuncE0EEEvPKT5_PKbPfiPT4_PiiiibPKf
	.p2align	8
	.type	_ZN4vllm3moe10topkGatingILi8ELi8ELi4ELi16ELi64Ej6__halfLNS0_11ScoringFuncE0EEEvPKT5_PKbPfiPT4_PiiiibPKf,@function
_ZN4vllm3moe10topkGatingILi8ELi8ELi4ELi16ELi64Ej6__halfLNS0_11ScoringFuncE0EEEvPKT5_PKbPfiPT4_PiiiibPKf: ; @_ZN4vllm3moe10topkGatingILi8ELi8ELi4ELi16ELi64Ej6__halfLNS0_11ScoringFuncE0EEEvPKT5_PKbPfiPT4_PiiiibPKf
; %bb.0:
	s_load_dword s18, s[4:5], 0x18
	v_bfe_u32 v1, v0, 10, 10
	s_lshl_b32 s0, s6, 8
	v_lshlrev_b32_e32 v1, 6, v1
	v_and_b32_e32 v0, 0x3ff, v0
	v_add3_u32 v16, v1, v0, s0
	s_waitcnt lgkmcnt(0)
	v_cmp_gt_i32_e32 vcc, s18, v16
	s_and_saveexec_b64 s[0:1], vcc
	s_cbranch_execz .LBB93_20
; %bb.1:
	s_load_dwordx4 s[0:3], s[4:5], 0x0
	s_load_dwordx2 s[12:13], s[4:5], 0x10
	s_mov_b64 s[6:7], -1
	s_mov_b64 s[14:15], -1
	s_waitcnt lgkmcnt(0)
	s_cmp_eq_u64 s[2:3], 0
	s_cbranch_scc1 .LBB93_3
; %bb.2:
	v_ashrrev_i32_e32 v1, 31, v16
	v_mov_b32_e32 v2, s3
	v_add_co_u32_e32 v0, vcc, s2, v16
	v_addc_co_u32_e32 v1, vcc, v2, v1, vcc
	global_load_ubyte v0, v[0:1], off
	s_waitcnt vmcnt(0)
	v_and_b32_e32 v0, 1, v0
	v_cmp_eq_u32_e32 vcc, 1, v0
	s_xor_b64 s[2:3], vcc, -1
	s_orn2_b64 s[14:15], s[2:3], exec
.LBB93_3:
	v_lshlrev_b32_e32 v0, 3, v16
	v_ashrrev_i32_e32 v1, 31, v0
	v_lshlrev_b64 v[0:1], 1, v[0:1]
	v_mov_b32_e32 v2, s1
	v_add_co_u32_e32 v0, vcc, s0, v0
	v_addc_co_u32_e32 v1, vcc, v2, v1, vcc
	global_load_dwordx4 v[0:3], v[0:1], off
	v_mov_b32_e32 v9, 0x7f800000
	s_mov_b32 s2, 0x3fb8aa3b
	s_mov_b32 s0, 0xc2ce8ed0
	;; [unrolled: 1-line block ×3, first 2 shown]
	s_waitcnt vmcnt(0)
	v_cvt_f32_f16_e32 v4, v0
	v_cvt_f32_f16_sdwa v5, v0 dst_sel:DWORD dst_unused:UNUSED_PAD src0_sel:WORD_1
	v_cvt_f32_f16_e32 v0, v1
	v_cvt_f32_f16_sdwa v1, v1 dst_sel:DWORD dst_unused:UNUSED_PAD src0_sel:WORD_1
	;; [unrolled: 2-line block ×4, first 2 shown]
	v_max_f32_e32 v8, v4, v5
	v_max3_f32 v8, v8, v0, v1
	v_max3_f32 v8, v8, v6, v7
	;; [unrolled: 1-line block ×3, first 2 shown]
	v_pk_add_f32 v[4:5], v[4:5], v[8:9] op_sel_hi:[1,0] neg_lo:[0,1] neg_hi:[0,1]
	v_pk_add_f32 v[0:1], v[0:1], v[8:9] op_sel_hi:[1,0] neg_lo:[0,1] neg_hi:[0,1]
	;; [unrolled: 1-line block ×4, first 2 shown]
	v_mul_f32_e32 v8, 0x3fb8aa3b, v5
	v_mul_f32_e32 v10, 0x3fb8aa3b, v4
	v_fma_f32 v17, v5, s2, -v8
	v_rndne_f32_e32 v18, v8
	v_mul_f32_e32 v11, 0x3fb8aa3b, v1
	v_fma_f32 v19, v4, s2, -v10
	v_rndne_f32_e32 v20, v10
	v_fmac_f32_e32 v17, 0x32a5705f, v5
	v_sub_f32_e32 v8, v8, v18
	v_mul_f32_e32 v12, 0x3fb8aa3b, v0
	v_fma_f32 v21, v1, s2, -v11
	v_rndne_f32_e32 v22, v11
	v_fmac_f32_e32 v19, 0x32a5705f, v4
	v_sub_f32_e32 v10, v10, v20
	v_add_f32_e32 v8, v8, v17
	v_mul_f32_e32 v13, 0x3fb8aa3b, v7
	v_fma_f32 v23, v0, s2, -v12
	v_rndne_f32_e32 v24, v12
	v_cvt_i32_f32_e32 v18, v18
	v_fmac_f32_e32 v21, 0x32a5705f, v1
	v_sub_f32_e32 v11, v11, v22
	v_add_f32_e32 v10, v10, v19
	v_exp_f32_e32 v8, v8
	v_fma_f32 v25, v7, s2, -v13
	v_rndne_f32_e32 v26, v13
	v_cvt_i32_f32_e32 v20, v20
	v_fmac_f32_e32 v23, 0x32a5705f, v0
	v_sub_f32_e32 v12, v12, v24
	v_add_f32_e32 v11, v11, v21
	v_exp_f32_e32 v10, v10
	v_cvt_i32_f32_e32 v22, v22
	v_fmac_f32_e32 v25, 0x32a5705f, v7
	v_sub_f32_e32 v13, v13, v26
	v_add_f32_e32 v12, v12, v23
	v_exp_f32_e32 v11, v11
	v_cvt_i32_f32_e32 v24, v24
	v_add_f32_e32 v13, v13, v25
	v_exp_f32_e32 v12, v12
	v_cvt_i32_f32_e32 v26, v26
	v_exp_f32_e32 v13, v13
	v_ldexp_f32 v8, v8, v18
	v_cmp_ngt_f32_e32 vcc, s0, v5
	v_ldexp_f32 v10, v10, v20
	v_cndmask_b32_e32 v8, 0, v8, vcc
	v_cmp_ngt_f32_e32 vcc, s0, v4
	v_ldexp_f32 v11, v11, v22
	v_cndmask_b32_e32 v10, 0, v10, vcc
	;; [unrolled: 3-line block ×4, first 2 shown]
	v_cmp_ngt_f32_e32 vcc, s0, v7
	v_mul_f32_e32 v14, 0x3fb8aa3b, v6
	v_cndmask_b32_e32 v13, 0, v13, vcc
	v_cmp_nlt_f32_e32 vcc, s1, v5
	v_mul_f32_e32 v15, 0x3fb8aa3b, v3
	v_fma_f32 v27, v6, s2, -v14
	v_rndne_f32_e32 v28, v14
	v_cndmask_b32_e32 v5, v9, v8, vcc
	v_cmp_nlt_f32_e32 vcc, s1, v4
	v_fmac_f32_e32 v27, 0x32a5705f, v6
	v_sub_f32_e32 v14, v14, v28
	v_cndmask_b32_e32 v4, v9, v10, vcc
	v_cmp_nlt_f32_e32 vcc, s1, v1
	v_fma_f32 v8, v3, s2, -v15
	v_rndne_f32_e32 v10, v15
	v_add_f32_e32 v14, v14, v27
	v_cndmask_b32_e32 v1, v9, v11, vcc
	v_fmac_f32_e32 v8, 0x32a5705f, v3
	v_sub_f32_e32 v11, v15, v10
	v_cvt_i32_f32_e32 v28, v28
	v_exp_f32_e32 v14, v14
	v_add_f32_e32 v8, v11, v8
	v_exp_f32_e32 v8, v8
	v_cvt_i32_f32_e32 v10, v10
	v_cmp_nlt_f32_e32 vcc, s1, v0
	v_cndmask_b32_e32 v0, v9, v12, vcc
	v_cmp_nlt_f32_e32 vcc, s1, v7
	v_ldexp_f32 v14, v14, v28
	v_cndmask_b32_e32 v7, v9, v13, vcc
	v_cmp_ngt_f32_e32 vcc, s0, v6
	v_cndmask_b32_e32 v11, 0, v14, vcc
	v_cmp_nlt_f32_e32 vcc, s1, v6
	v_ldexp_f32 v8, v8, v10
	v_mul_f32_e32 v10, 0x3fb8aa3b, v2
	v_cndmask_b32_e32 v6, v9, v11, vcc
	v_fma_f32 v11, v2, s2, -v10
	v_rndne_f32_e32 v12, v10
	v_fmac_f32_e32 v11, 0x32a5705f, v2
	v_sub_f32_e32 v10, v10, v12
	v_add_f32_e32 v10, v10, v11
	v_exp_f32_e32 v10, v10
	v_cvt_i32_f32_e32 v11, v12
	v_cmp_ngt_f32_e32 vcc, s0, v3
	v_cndmask_b32_e32 v8, 0, v8, vcc
	v_cmp_nlt_f32_e32 vcc, s1, v3
	v_cndmask_b32_e32 v3, v9, v8, vcc
	v_ldexp_f32 v8, v10, v11
	v_cmp_ngt_f32_e32 vcc, s0, v2
	v_cndmask_b32_e32 v8, 0, v8, vcc
	v_cmp_nlt_f32_e32 vcc, s1, v2
	v_cndmask_b32_e32 v2, v9, v8, vcc
	v_add_f32_e32 v8, v4, v5
	v_add_f32_e32 v8, v8, v0
	;; [unrolled: 1-line block ×7, first 2 shown]
	v_div_scale_f32 v9, s[0:1], v8, v8, 1.0
	v_rcp_f32_e32 v10, v9
	s_load_dwordx2 s[0:1], s[4:5], 0x40
	v_fma_f32 v11, -v9, v10, 1.0
	v_fmac_f32_e32 v10, v11, v10
	v_div_scale_f32 v11, vcc, 1.0, v8, 1.0
	v_mul_f32_e32 v12, v11, v10
	v_fma_f32 v13, -v9, v12, v11
	v_fmac_f32_e32 v12, v13, v10
	v_fma_f32 v9, -v9, v12, v11
	v_div_fmas_f32 v9, v9, v10, v12
	v_div_fixup_f32 v8, v9, v8, 1.0
	v_pk_mul_f32 v[4:5], v[8:9], v[4:5] op_sel_hi:[0,1]
	v_mov_b32_e32 v12, 0x207
	v_cmp_class_f32_e32 vcc, v5, v12
	v_pk_mul_f32 v[10:11], v[8:9], v[0:1] op_sel_hi:[0,1]
	v_cndmask_b32_e64 v1, v5, 0, vcc
	v_cmp_class_f32_e32 vcc, v4, v12
	v_cndmask_b32_e64 v0, v4, 0, vcc
	v_cmp_class_f32_e32 vcc, v11, v12
	v_pk_mul_f32 v[6:7], v[8:9], v[6:7] op_sel_hi:[0,1]
	v_pk_mul_f32 v[8:9], v[8:9], v[2:3] op_sel_hi:[0,1]
	v_cndmask_b32_e64 v3, v11, 0, vcc
	v_cmp_class_f32_e32 vcc, v10, v12
	v_cndmask_b32_e64 v2, v10, 0, vcc
	v_cmp_class_f32_e32 vcc, v7, v12
	;; [unrolled: 2-line block ×5, first 2 shown]
	s_waitcnt lgkmcnt(0)
	s_cmp_eq_u64 s[0:1], 0
	v_cndmask_b32_e64 v6, v8, 0, vcc
	s_cbranch_scc1 .LBB93_10
; %bb.4:
	s_load_dwordx8 s[20:27], s[0:1], 0x0
	s_waitcnt lgkmcnt(0)
	v_pk_add_f32 v[8:9], s[20:21], v[0:1]
	v_pk_add_f32 v[10:11], s[22:23], v[2:3]
	;; [unrolled: 1-line block ×4, first 2 shown]
	s_cbranch_execnz .LBB93_6
.LBB93_5:
	v_pk_mov_b32 v[14:15], v[6:7], v[6:7] op_sel:[0,1]
	v_pk_mov_b32 v[12:13], v[4:5], v[4:5] op_sel:[0,1]
	;; [unrolled: 1-line block ×4, first 2 shown]
.LBB93_6:
	s_load_dwordx4 s[8:11], s[4:5], 0x30
	s_waitcnt lgkmcnt(0)
	s_bitcmp1_b32 s11, 0
	s_cselect_b64 vcc, -1, 0
	s_cmp_gt_i32 s8, 0
	s_cselect_b64 s[16:17], -1, 0
	s_cmp_lt_i32 s8, 1
	s_mov_b32 s11, 0
	s_cbranch_scc1 .LBB93_11
; %bb.7:
	s_load_dwordx4 s[4:7], s[4:5], 0x20
	v_mul_lo_u32 v18, v16, s8
	v_mov_b32_e32 v17, 0
	v_mov_b32_e32 v19, s13
	;; [unrolled: 1-line block ×3, first 2 shown]
	s_waitcnt lgkmcnt(0)
	v_mov_b32_e32 v20, s5
	v_mov_b32_e32 v21, s7
	v_mov_b32_e32 v23, v16
.LBB93_8:                               ; =>This Inner Loop Header: Depth=1
	v_cmp_gt_f32_e64 s[0:1], v9, v8
	v_cndmask_b32_e64 v24, v8, v9, s[0:1]
	v_cndmask_b32_e64 v25, v0, v1, s[0:1]
	v_cndmask_b32_e64 v26, 0, 1, s[0:1]
	v_cmp_gt_f32_e64 s[0:1], v10, v24
	v_cndmask_b32_e64 v24, v24, v10, s[0:1]
	v_cndmask_b32_e64 v25, v25, v2, s[0:1]
	v_cndmask_b32_e64 v26, v26, 2, s[0:1]
	;; [unrolled: 4-line block ×6, first 2 shown]
	v_cmp_gt_f32_e64 s[0:1], v15, v24
	v_add_u32_e32 v24, s11, v18
	v_cndmask_b32_e64 v28, v25, v7, s[0:1]
	v_cndmask_b32_e64 v29, v26, 7, s[0:1]
	v_ashrrev_i32_e32 v25, 31, v24
	v_cmp_le_i32_e64 s[0:1], s9, v29
	v_cmp_gt_i32_e64 s[2:3], s10, v29
	v_lshlrev_b64 v[24:25], 2, v[24:25]
	s_and_b64 s[2:3], s[0:1], s[2:3]
	v_add_co_u32_e64 v26, s[0:1], s12, v24
	v_addc_co_u32_e64 v27, s[0:1], v19, v25, s[0:1]
	global_store_dword v[26:27], v28, off
	v_subrev_u32_e32 v26, s9, v29
	s_and_b64 s[0:1], s[14:15], s[2:3]
	v_cndmask_b32_e64 v30, 8, v26, s[0:1]
	v_add_co_u32_e64 v26, s[0:1], s4, v24
	v_addc_co_u32_e64 v27, s[0:1], v20, v25, s[0:1]
	v_add_co_u32_e64 v24, s[0:1], s6, v24
	v_addc_co_u32_e64 v25, s[0:1], v21, v25, s[0:1]
	global_store_dword v[26:27], v30, off
	global_store_dword v[24:25], v23, off
	v_add_f32_e32 v24, v17, v28
	v_cmp_ne_u32_e64 s[0:1], 0, v29
	v_cndmask_b32_e32 v17, v17, v24, vcc
	v_cndmask_b32_e64 v24, v22, v8, s[0:1]
	v_cmp_ne_u32_e64 s[0:1], 1, v29
	v_cndmask_b32_e64 v25, v22, v9, s[0:1]
	v_cmp_ne_u32_e64 s[0:1], 2, v29
	v_cndmask_b32_e64 v26, v22, v10, s[0:1]
	v_cmp_ne_u32_e64 s[0:1], 3, v29
	v_cndmask_b32_e64 v27, v22, v11, s[0:1]
	v_cmp_ne_u32_e64 s[0:1], 4, v29
	v_cndmask_b32_e64 v28, v22, v12, s[0:1]
	v_cmp_ne_u32_e64 s[0:1], 5, v29
	s_add_i32 s11, s11, 1
	v_cndmask_b32_e64 v30, v22, v13, s[0:1]
	v_cmp_ne_u32_e64 s[0:1], 6, v29
	s_cmp_lt_i32 s11, s8
	v_cndmask_b32_e64 v31, v22, v14, s[0:1]
	v_cmp_ne_u32_e64 s[0:1], 7, v29
	v_cndmask_b32_e64 v29, v22, v15, s[0:1]
	s_cselect_b64 s[0:1], -1, 0
	v_cndmask_b32_e64 v15, v15, v29, s[0:1]
	v_cndmask_b32_e64 v14, v14, v31, s[0:1]
	;; [unrolled: 1-line block ×8, first 2 shown]
	s_cmp_eq_u32 s8, s11
	v_add_u32_e32 v23, s18, v23
	s_cbranch_scc0 .LBB93_8
; %bb.9:
	s_and_b64 vcc, exec, vcc
	s_cbranch_vccnz .LBB93_12
	s_branch .LBB93_20
.LBB93_10:
                                        ; implicit-def: $vgpr8_vgpr9_vgpr10_vgpr11_vgpr12_vgpr13_vgpr14_vgpr15
	s_andn2_b64 vcc, exec, s[6:7]
	s_cbranch_vccz .LBB93_5
	s_branch .LBB93_6
.LBB93_11:
	v_mov_b32_e32 v17, 0
	s_and_b64 vcc, exec, vcc
	s_cbranch_vccz .LBB93_20
.LBB93_12:
	s_andn2_b64 vcc, exec, s[16:17]
	s_cbranch_vccnz .LBB93_20
; %bb.13:
	v_cmp_lt_f32_e32 vcc, 0, v17
	s_mov_b32 s2, 0
	v_cndmask_b32_e32 v0, 1.0, v17, vcc
	v_mul_lo_u32 v4, v16, s8
	s_cmp_eq_u32 s8, 1
	s_mov_b64 s[0:1], -1
	s_cbranch_scc1 .LBB93_17
; %bb.14:
	s_and_b32 s2, s8, 0x7ffffffe
	v_mov_b32_e32 v1, v0
	v_mov_b32_e32 v5, s13
	s_mov_b32 s3, s2
	v_mov_b32_e32 v2, v4
.LBB93_15:                              ; =>This Inner Loop Header: Depth=1
	v_ashrrev_i32_e32 v3, 31, v2
	v_lshlrev_b64 v[6:7], 2, v[2:3]
	v_add_co_u32_e32 v6, vcc, s12, v6
	v_addc_co_u32_e32 v7, vcc, v5, v7, vcc
	global_load_dwordx2 v[8:9], v[6:7], off
	s_add_i32 s3, s3, -2
	s_cmp_lg_u32 s3, 0
	v_add_u32_e32 v2, 2, v2
	s_waitcnt vmcnt(0)
	v_div_scale_f32 v3, s[0:1], v1, v1, v9
	v_div_scale_f32 v11, s[0:1], v0, v0, v8
	v_rcp_f32_e32 v12, v3
	v_rcp_f32_e32 v13, v11
	v_div_scale_f32 v10, vcc, v9, v1, v9
	v_fma_f32 v15, -v3, v12, 1.0
	v_fma_f32 v16, -v11, v13, 1.0
	v_fmac_f32_e32 v12, v15, v12
	v_div_scale_f32 v14, s[0:1], v8, v0, v8
	v_fmac_f32_e32 v13, v16, v13
	v_mul_f32_e32 v15, v10, v12
	v_mul_f32_e32 v16, v14, v13
	v_fma_f32 v17, -v3, v15, v10
	v_fma_f32 v18, -v11, v16, v14
	v_fmac_f32_e32 v15, v17, v12
	v_fmac_f32_e32 v16, v18, v13
	v_fma_f32 v3, -v3, v15, v10
	v_fma_f32 v10, -v11, v16, v14
	v_div_fmas_f32 v3, v3, v12, v15
	s_mov_b64 vcc, s[0:1]
	v_div_fixup_f32 v9, v3, v1, v9
	v_div_fmas_f32 v3, v10, v13, v16
	v_div_fixup_f32 v8, v3, v0, v8
	global_store_dwordx2 v[6:7], v[8:9], off
	s_cbranch_scc1 .LBB93_15
; %bb.16:
	s_cmp_lg_u32 s2, s8
	s_cselect_b64 s[0:1], -1, 0
.LBB93_17:
	s_and_b64 vcc, exec, s[0:1]
	s_cbranch_vccz .LBB93_20
; %bb.18:
	v_ashrrev_i32_e32 v1, 31, v4
	v_add_co_u32_e32 v2, vcc, s2, v4
	v_addc_co_u32_e32 v3, vcc, 0, v1, vcc
	v_lshlrev_b64 v[2:3], 2, v[2:3]
	v_mov_b32_e32 v1, s13
	v_add_co_u32_e32 v2, vcc, s12, v2
	s_sub_i32 s0, s8, s2
	v_addc_co_u32_e32 v3, vcc, v1, v3, vcc
.LBB93_19:                              ; =>This Inner Loop Header: Depth=1
	global_load_dword v1, v[2:3], off
	s_add_i32 s0, s0, -1
	s_cmp_lg_u32 s0, 0
	s_waitcnt vmcnt(0)
	v_div_scale_f32 v4, s[2:3], v0, v0, v1
	v_rcp_f32_e32 v5, v4
	v_div_scale_f32 v6, vcc, v1, v0, v1
	v_fma_f32 v7, -v4, v5, 1.0
	v_fmac_f32_e32 v5, v7, v5
	v_mul_f32_e32 v7, v6, v5
	v_fma_f32 v8, -v4, v7, v6
	v_fmac_f32_e32 v7, v8, v5
	v_fma_f32 v4, -v4, v7, v6
	v_div_fmas_f32 v4, v4, v5, v7
	v_div_fixup_f32 v1, v4, v0, v1
	global_store_dword v[2:3], v1, off
	v_add_co_u32_e32 v2, vcc, 4, v2
	v_addc_co_u32_e32 v3, vcc, 0, v3, vcc
	s_cbranch_scc1 .LBB93_19
.LBB93_20:
	s_endpgm
	.section	.rodata,"a",@progbits
	.p2align	6, 0x0
	.amdhsa_kernel _ZN4vllm3moe10topkGatingILi8ELi8ELi4ELi16ELi64Ej6__halfLNS0_11ScoringFuncE0EEEvPKT5_PKbPfiPT4_PiiiibPKf
		.amdhsa_group_segment_fixed_size 0
		.amdhsa_private_segment_fixed_size 0
		.amdhsa_kernarg_size 72
		.amdhsa_user_sgpr_count 6
		.amdhsa_user_sgpr_private_segment_buffer 1
		.amdhsa_user_sgpr_dispatch_ptr 0
		.amdhsa_user_sgpr_queue_ptr 0
		.amdhsa_user_sgpr_kernarg_segment_ptr 1
		.amdhsa_user_sgpr_dispatch_id 0
		.amdhsa_user_sgpr_flat_scratch_init 0
		.amdhsa_user_sgpr_kernarg_preload_length 0
		.amdhsa_user_sgpr_kernarg_preload_offset 0
		.amdhsa_user_sgpr_private_segment_size 0
		.amdhsa_uses_dynamic_stack 0
		.amdhsa_system_sgpr_private_segment_wavefront_offset 0
		.amdhsa_system_sgpr_workgroup_id_x 1
		.amdhsa_system_sgpr_workgroup_id_y 0
		.amdhsa_system_sgpr_workgroup_id_z 0
		.amdhsa_system_sgpr_workgroup_info 0
		.amdhsa_system_vgpr_workitem_id 1
		.amdhsa_next_free_vgpr 32
		.amdhsa_next_free_sgpr 28
		.amdhsa_accum_offset 32
		.amdhsa_reserve_vcc 1
		.amdhsa_reserve_flat_scratch 0
		.amdhsa_float_round_mode_32 0
		.amdhsa_float_round_mode_16_64 0
		.amdhsa_float_denorm_mode_32 3
		.amdhsa_float_denorm_mode_16_64 3
		.amdhsa_dx10_clamp 1
		.amdhsa_ieee_mode 1
		.amdhsa_fp16_overflow 0
		.amdhsa_tg_split 0
		.amdhsa_exception_fp_ieee_invalid_op 0
		.amdhsa_exception_fp_denorm_src 0
		.amdhsa_exception_fp_ieee_div_zero 0
		.amdhsa_exception_fp_ieee_overflow 0
		.amdhsa_exception_fp_ieee_underflow 0
		.amdhsa_exception_fp_ieee_inexact 0
		.amdhsa_exception_int_div_zero 0
	.end_amdhsa_kernel
	.section	.text._ZN4vllm3moe10topkGatingILi8ELi8ELi4ELi16ELi64Ej6__halfLNS0_11ScoringFuncE0EEEvPKT5_PKbPfiPT4_PiiiibPKf,"axG",@progbits,_ZN4vllm3moe10topkGatingILi8ELi8ELi4ELi16ELi64Ej6__halfLNS0_11ScoringFuncE0EEEvPKT5_PKbPfiPT4_PiiiibPKf,comdat
.Lfunc_end93:
	.size	_ZN4vllm3moe10topkGatingILi8ELi8ELi4ELi16ELi64Ej6__halfLNS0_11ScoringFuncE0EEEvPKT5_PKbPfiPT4_PiiiibPKf, .Lfunc_end93-_ZN4vllm3moe10topkGatingILi8ELi8ELi4ELi16ELi64Ej6__halfLNS0_11ScoringFuncE0EEEvPKT5_PKbPfiPT4_PiiiibPKf
                                        ; -- End function
	.section	.AMDGPU.csdata,"",@progbits
; Kernel info:
; codeLenInByte = 2320
; NumSgprs: 32
; NumVgprs: 32
; NumAgprs: 0
; TotalNumVgprs: 32
; ScratchSize: 0
; MemoryBound: 1
; FloatMode: 240
; IeeeMode: 1
; LDSByteSize: 0 bytes/workgroup (compile time only)
; SGPRBlocks: 3
; VGPRBlocks: 3
; NumSGPRsForWavesPerEU: 32
; NumVGPRsForWavesPerEU: 32
; AccumOffset: 32
; Occupancy: 8
; WaveLimiterHint : 0
; COMPUTE_PGM_RSRC2:SCRATCH_EN: 0
; COMPUTE_PGM_RSRC2:USER_SGPR: 6
; COMPUTE_PGM_RSRC2:TRAP_HANDLER: 0
; COMPUTE_PGM_RSRC2:TGID_X_EN: 1
; COMPUTE_PGM_RSRC2:TGID_Y_EN: 0
; COMPUTE_PGM_RSRC2:TGID_Z_EN: 0
; COMPUTE_PGM_RSRC2:TIDIG_COMP_CNT: 1
; COMPUTE_PGM_RSRC3_GFX90A:ACCUM_OFFSET: 7
; COMPUTE_PGM_RSRC3_GFX90A:TG_SPLIT: 0
	.section	.text._ZN4vllm3moe10topkGatingILi8ELi8ELi4ELi16ELi32Ej6__halfLNS0_11ScoringFuncE0EEEvPKT5_PKbPfiPT4_PiiiibPKf,"axG",@progbits,_ZN4vllm3moe10topkGatingILi8ELi8ELi4ELi16ELi32Ej6__halfLNS0_11ScoringFuncE0EEEvPKT5_PKbPfiPT4_PiiiibPKf,comdat
	.protected	_ZN4vllm3moe10topkGatingILi8ELi8ELi4ELi16ELi32Ej6__halfLNS0_11ScoringFuncE0EEEvPKT5_PKbPfiPT4_PiiiibPKf ; -- Begin function _ZN4vllm3moe10topkGatingILi8ELi8ELi4ELi16ELi32Ej6__halfLNS0_11ScoringFuncE0EEEvPKT5_PKbPfiPT4_PiiiibPKf
	.globl	_ZN4vllm3moe10topkGatingILi8ELi8ELi4ELi16ELi32Ej6__halfLNS0_11ScoringFuncE0EEEvPKT5_PKbPfiPT4_PiiiibPKf
	.p2align	8
	.type	_ZN4vllm3moe10topkGatingILi8ELi8ELi4ELi16ELi32Ej6__halfLNS0_11ScoringFuncE0EEEvPKT5_PKbPfiPT4_PiiiibPKf,@function
_ZN4vllm3moe10topkGatingILi8ELi8ELi4ELi16ELi32Ej6__halfLNS0_11ScoringFuncE0EEEvPKT5_PKbPfiPT4_PiiiibPKf: ; @_ZN4vllm3moe10topkGatingILi8ELi8ELi4ELi16ELi32Ej6__halfLNS0_11ScoringFuncE0EEEvPKT5_PKbPfiPT4_PiiiibPKf
; %bb.0:
	s_load_dword s18, s[4:5], 0x18
	v_bfe_u32 v1, v0, 10, 10
	s_lshl_b32 s0, s6, 7
	v_lshlrev_b32_e32 v1, 5, v1
	v_and_b32_e32 v0, 0x3ff, v0
	v_add3_u32 v16, v1, v0, s0
	s_waitcnt lgkmcnt(0)
	v_cmp_gt_i32_e32 vcc, s18, v16
	s_and_saveexec_b64 s[0:1], vcc
	s_cbranch_execz .LBB94_20
; %bb.1:
	s_load_dwordx4 s[0:3], s[4:5], 0x0
	s_load_dwordx2 s[12:13], s[4:5], 0x10
	s_mov_b64 s[6:7], -1
	s_mov_b64 s[14:15], -1
	s_waitcnt lgkmcnt(0)
	s_cmp_eq_u64 s[2:3], 0
	s_cbranch_scc1 .LBB94_3
; %bb.2:
	v_ashrrev_i32_e32 v1, 31, v16
	v_mov_b32_e32 v2, s3
	v_add_co_u32_e32 v0, vcc, s2, v16
	v_addc_co_u32_e32 v1, vcc, v2, v1, vcc
	global_load_ubyte v0, v[0:1], off
	s_waitcnt vmcnt(0)
	v_and_b32_e32 v0, 1, v0
	v_cmp_eq_u32_e32 vcc, 1, v0
	s_xor_b64 s[2:3], vcc, -1
	s_orn2_b64 s[14:15], s[2:3], exec
.LBB94_3:
	v_lshlrev_b32_e32 v0, 3, v16
	v_ashrrev_i32_e32 v1, 31, v0
	v_lshlrev_b64 v[0:1], 1, v[0:1]
	v_mov_b32_e32 v2, s1
	v_add_co_u32_e32 v0, vcc, s0, v0
	v_addc_co_u32_e32 v1, vcc, v2, v1, vcc
	global_load_dwordx4 v[0:3], v[0:1], off
	v_mov_b32_e32 v9, 0x7f800000
	s_mov_b32 s2, 0x3fb8aa3b
	s_mov_b32 s0, 0xc2ce8ed0
	;; [unrolled: 1-line block ×3, first 2 shown]
	s_waitcnt vmcnt(0)
	v_cvt_f32_f16_e32 v4, v0
	v_cvt_f32_f16_sdwa v5, v0 dst_sel:DWORD dst_unused:UNUSED_PAD src0_sel:WORD_1
	v_cvt_f32_f16_e32 v0, v1
	v_cvt_f32_f16_sdwa v1, v1 dst_sel:DWORD dst_unused:UNUSED_PAD src0_sel:WORD_1
	;; [unrolled: 2-line block ×4, first 2 shown]
	v_max_f32_e32 v8, v4, v5
	v_max3_f32 v8, v8, v0, v1
	v_max3_f32 v8, v8, v6, v7
	;; [unrolled: 1-line block ×3, first 2 shown]
	v_pk_add_f32 v[4:5], v[4:5], v[8:9] op_sel_hi:[1,0] neg_lo:[0,1] neg_hi:[0,1]
	v_pk_add_f32 v[0:1], v[0:1], v[8:9] op_sel_hi:[1,0] neg_lo:[0,1] neg_hi:[0,1]
	;; [unrolled: 1-line block ×4, first 2 shown]
	v_mul_f32_e32 v8, 0x3fb8aa3b, v5
	v_mul_f32_e32 v10, 0x3fb8aa3b, v4
	v_fma_f32 v17, v5, s2, -v8
	v_rndne_f32_e32 v18, v8
	v_mul_f32_e32 v11, 0x3fb8aa3b, v1
	v_fma_f32 v19, v4, s2, -v10
	v_rndne_f32_e32 v20, v10
	v_fmac_f32_e32 v17, 0x32a5705f, v5
	v_sub_f32_e32 v8, v8, v18
	v_mul_f32_e32 v12, 0x3fb8aa3b, v0
	v_fma_f32 v21, v1, s2, -v11
	v_rndne_f32_e32 v22, v11
	v_fmac_f32_e32 v19, 0x32a5705f, v4
	v_sub_f32_e32 v10, v10, v20
	v_add_f32_e32 v8, v8, v17
	v_mul_f32_e32 v13, 0x3fb8aa3b, v7
	v_fma_f32 v23, v0, s2, -v12
	v_rndne_f32_e32 v24, v12
	v_cvt_i32_f32_e32 v18, v18
	v_fmac_f32_e32 v21, 0x32a5705f, v1
	v_sub_f32_e32 v11, v11, v22
	v_add_f32_e32 v10, v10, v19
	v_exp_f32_e32 v8, v8
	v_fma_f32 v25, v7, s2, -v13
	v_rndne_f32_e32 v26, v13
	v_cvt_i32_f32_e32 v20, v20
	v_fmac_f32_e32 v23, 0x32a5705f, v0
	v_sub_f32_e32 v12, v12, v24
	v_add_f32_e32 v11, v11, v21
	v_exp_f32_e32 v10, v10
	v_cvt_i32_f32_e32 v22, v22
	v_fmac_f32_e32 v25, 0x32a5705f, v7
	v_sub_f32_e32 v13, v13, v26
	v_add_f32_e32 v12, v12, v23
	v_exp_f32_e32 v11, v11
	v_cvt_i32_f32_e32 v24, v24
	v_add_f32_e32 v13, v13, v25
	v_exp_f32_e32 v12, v12
	v_cvt_i32_f32_e32 v26, v26
	v_exp_f32_e32 v13, v13
	v_ldexp_f32 v8, v8, v18
	v_cmp_ngt_f32_e32 vcc, s0, v5
	v_ldexp_f32 v10, v10, v20
	v_cndmask_b32_e32 v8, 0, v8, vcc
	v_cmp_ngt_f32_e32 vcc, s0, v4
	v_ldexp_f32 v11, v11, v22
	v_cndmask_b32_e32 v10, 0, v10, vcc
	;; [unrolled: 3-line block ×4, first 2 shown]
	v_cmp_ngt_f32_e32 vcc, s0, v7
	v_mul_f32_e32 v14, 0x3fb8aa3b, v6
	v_cndmask_b32_e32 v13, 0, v13, vcc
	v_cmp_nlt_f32_e32 vcc, s1, v5
	v_mul_f32_e32 v15, 0x3fb8aa3b, v3
	v_fma_f32 v27, v6, s2, -v14
	v_rndne_f32_e32 v28, v14
	v_cndmask_b32_e32 v5, v9, v8, vcc
	v_cmp_nlt_f32_e32 vcc, s1, v4
	v_fmac_f32_e32 v27, 0x32a5705f, v6
	v_sub_f32_e32 v14, v14, v28
	v_cndmask_b32_e32 v4, v9, v10, vcc
	v_cmp_nlt_f32_e32 vcc, s1, v1
	v_fma_f32 v8, v3, s2, -v15
	v_rndne_f32_e32 v10, v15
	v_add_f32_e32 v14, v14, v27
	v_cndmask_b32_e32 v1, v9, v11, vcc
	v_fmac_f32_e32 v8, 0x32a5705f, v3
	v_sub_f32_e32 v11, v15, v10
	v_cvt_i32_f32_e32 v28, v28
	v_exp_f32_e32 v14, v14
	v_add_f32_e32 v8, v11, v8
	v_exp_f32_e32 v8, v8
	v_cvt_i32_f32_e32 v10, v10
	v_cmp_nlt_f32_e32 vcc, s1, v0
	v_cndmask_b32_e32 v0, v9, v12, vcc
	v_cmp_nlt_f32_e32 vcc, s1, v7
	v_ldexp_f32 v14, v14, v28
	v_cndmask_b32_e32 v7, v9, v13, vcc
	v_cmp_ngt_f32_e32 vcc, s0, v6
	v_cndmask_b32_e32 v11, 0, v14, vcc
	v_cmp_nlt_f32_e32 vcc, s1, v6
	v_ldexp_f32 v8, v8, v10
	v_mul_f32_e32 v10, 0x3fb8aa3b, v2
	v_cndmask_b32_e32 v6, v9, v11, vcc
	v_fma_f32 v11, v2, s2, -v10
	v_rndne_f32_e32 v12, v10
	v_fmac_f32_e32 v11, 0x32a5705f, v2
	v_sub_f32_e32 v10, v10, v12
	v_add_f32_e32 v10, v10, v11
	v_exp_f32_e32 v10, v10
	v_cvt_i32_f32_e32 v11, v12
	v_cmp_ngt_f32_e32 vcc, s0, v3
	v_cndmask_b32_e32 v8, 0, v8, vcc
	v_cmp_nlt_f32_e32 vcc, s1, v3
	v_cndmask_b32_e32 v3, v9, v8, vcc
	v_ldexp_f32 v8, v10, v11
	v_cmp_ngt_f32_e32 vcc, s0, v2
	v_cndmask_b32_e32 v8, 0, v8, vcc
	v_cmp_nlt_f32_e32 vcc, s1, v2
	v_cndmask_b32_e32 v2, v9, v8, vcc
	v_add_f32_e32 v8, v4, v5
	v_add_f32_e32 v8, v8, v0
	v_add_f32_e32 v8, v8, v1
	v_add_f32_e32 v8, v8, v6
	v_add_f32_e32 v8, v8, v7
	v_add_f32_e32 v8, v8, v2
	v_add_f32_e32 v8, v8, v3
	v_div_scale_f32 v9, s[0:1], v8, v8, 1.0
	v_rcp_f32_e32 v10, v9
	s_load_dwordx2 s[0:1], s[4:5], 0x40
	v_fma_f32 v11, -v9, v10, 1.0
	v_fmac_f32_e32 v10, v11, v10
	v_div_scale_f32 v11, vcc, 1.0, v8, 1.0
	v_mul_f32_e32 v12, v11, v10
	v_fma_f32 v13, -v9, v12, v11
	v_fmac_f32_e32 v12, v13, v10
	v_fma_f32 v9, -v9, v12, v11
	v_div_fmas_f32 v9, v9, v10, v12
	v_div_fixup_f32 v8, v9, v8, 1.0
	v_pk_mul_f32 v[4:5], v[8:9], v[4:5] op_sel_hi:[0,1]
	v_mov_b32_e32 v12, 0x207
	v_cmp_class_f32_e32 vcc, v5, v12
	v_pk_mul_f32 v[10:11], v[8:9], v[0:1] op_sel_hi:[0,1]
	v_cndmask_b32_e64 v1, v5, 0, vcc
	v_cmp_class_f32_e32 vcc, v4, v12
	v_cndmask_b32_e64 v0, v4, 0, vcc
	v_cmp_class_f32_e32 vcc, v11, v12
	v_pk_mul_f32 v[6:7], v[8:9], v[6:7] op_sel_hi:[0,1]
	v_pk_mul_f32 v[8:9], v[8:9], v[2:3] op_sel_hi:[0,1]
	v_cndmask_b32_e64 v3, v11, 0, vcc
	v_cmp_class_f32_e32 vcc, v10, v12
	v_cndmask_b32_e64 v2, v10, 0, vcc
	v_cmp_class_f32_e32 vcc, v7, v12
	;; [unrolled: 2-line block ×5, first 2 shown]
	s_waitcnt lgkmcnt(0)
	s_cmp_eq_u64 s[0:1], 0
	v_cndmask_b32_e64 v6, v8, 0, vcc
	s_cbranch_scc1 .LBB94_10
; %bb.4:
	s_load_dwordx8 s[20:27], s[0:1], 0x0
	s_waitcnt lgkmcnt(0)
	v_pk_add_f32 v[8:9], s[20:21], v[0:1]
	v_pk_add_f32 v[10:11], s[22:23], v[2:3]
	;; [unrolled: 1-line block ×4, first 2 shown]
	s_cbranch_execnz .LBB94_6
.LBB94_5:
	v_pk_mov_b32 v[14:15], v[6:7], v[6:7] op_sel:[0,1]
	v_pk_mov_b32 v[12:13], v[4:5], v[4:5] op_sel:[0,1]
	;; [unrolled: 1-line block ×4, first 2 shown]
.LBB94_6:
	s_load_dwordx4 s[8:11], s[4:5], 0x30
	s_waitcnt lgkmcnt(0)
	s_bitcmp1_b32 s11, 0
	s_cselect_b64 vcc, -1, 0
	s_cmp_gt_i32 s8, 0
	s_cselect_b64 s[16:17], -1, 0
	s_cmp_lt_i32 s8, 1
	s_mov_b32 s11, 0
	s_cbranch_scc1 .LBB94_11
; %bb.7:
	s_load_dwordx4 s[4:7], s[4:5], 0x20
	v_mul_lo_u32 v18, v16, s8
	v_mov_b32_e32 v17, 0
	v_mov_b32_e32 v19, s13
	;; [unrolled: 1-line block ×3, first 2 shown]
	s_waitcnt lgkmcnt(0)
	v_mov_b32_e32 v20, s5
	v_mov_b32_e32 v21, s7
	;; [unrolled: 1-line block ×3, first 2 shown]
.LBB94_8:                               ; =>This Inner Loop Header: Depth=1
	v_cmp_gt_f32_e64 s[0:1], v9, v8
	v_cndmask_b32_e64 v24, v8, v9, s[0:1]
	v_cndmask_b32_e64 v25, v0, v1, s[0:1]
	v_cndmask_b32_e64 v26, 0, 1, s[0:1]
	v_cmp_gt_f32_e64 s[0:1], v10, v24
	v_cndmask_b32_e64 v24, v24, v10, s[0:1]
	v_cndmask_b32_e64 v25, v25, v2, s[0:1]
	v_cndmask_b32_e64 v26, v26, 2, s[0:1]
	;; [unrolled: 4-line block ×6, first 2 shown]
	v_cmp_gt_f32_e64 s[0:1], v15, v24
	v_add_u32_e32 v24, s11, v18
	v_cndmask_b32_e64 v28, v25, v7, s[0:1]
	v_cndmask_b32_e64 v29, v26, 7, s[0:1]
	v_ashrrev_i32_e32 v25, 31, v24
	v_cmp_le_i32_e64 s[0:1], s9, v29
	v_cmp_gt_i32_e64 s[2:3], s10, v29
	v_lshlrev_b64 v[24:25], 2, v[24:25]
	s_and_b64 s[2:3], s[0:1], s[2:3]
	v_add_co_u32_e64 v26, s[0:1], s12, v24
	v_addc_co_u32_e64 v27, s[0:1], v19, v25, s[0:1]
	global_store_dword v[26:27], v28, off
	v_subrev_u32_e32 v26, s9, v29
	s_and_b64 s[0:1], s[14:15], s[2:3]
	v_cndmask_b32_e64 v30, 8, v26, s[0:1]
	v_add_co_u32_e64 v26, s[0:1], s4, v24
	v_addc_co_u32_e64 v27, s[0:1], v20, v25, s[0:1]
	v_add_co_u32_e64 v24, s[0:1], s6, v24
	v_addc_co_u32_e64 v25, s[0:1], v21, v25, s[0:1]
	global_store_dword v[26:27], v30, off
	global_store_dword v[24:25], v23, off
	v_add_f32_e32 v24, v17, v28
	v_cmp_ne_u32_e64 s[0:1], 0, v29
	v_cndmask_b32_e32 v17, v17, v24, vcc
	v_cndmask_b32_e64 v24, v22, v8, s[0:1]
	v_cmp_ne_u32_e64 s[0:1], 1, v29
	v_cndmask_b32_e64 v25, v22, v9, s[0:1]
	v_cmp_ne_u32_e64 s[0:1], 2, v29
	;; [unrolled: 2-line block ×5, first 2 shown]
	s_add_i32 s11, s11, 1
	v_cndmask_b32_e64 v30, v22, v13, s[0:1]
	v_cmp_ne_u32_e64 s[0:1], 6, v29
	s_cmp_lt_i32 s11, s8
	v_cndmask_b32_e64 v31, v22, v14, s[0:1]
	v_cmp_ne_u32_e64 s[0:1], 7, v29
	v_cndmask_b32_e64 v29, v22, v15, s[0:1]
	s_cselect_b64 s[0:1], -1, 0
	v_cndmask_b32_e64 v15, v15, v29, s[0:1]
	v_cndmask_b32_e64 v14, v14, v31, s[0:1]
	;; [unrolled: 1-line block ×8, first 2 shown]
	s_cmp_eq_u32 s8, s11
	v_add_u32_e32 v23, s18, v23
	s_cbranch_scc0 .LBB94_8
; %bb.9:
	s_and_b64 vcc, exec, vcc
	s_cbranch_vccnz .LBB94_12
	s_branch .LBB94_20
.LBB94_10:
                                        ; implicit-def: $vgpr8_vgpr9_vgpr10_vgpr11_vgpr12_vgpr13_vgpr14_vgpr15
	s_andn2_b64 vcc, exec, s[6:7]
	s_cbranch_vccz .LBB94_5
	s_branch .LBB94_6
.LBB94_11:
	v_mov_b32_e32 v17, 0
	s_and_b64 vcc, exec, vcc
	s_cbranch_vccz .LBB94_20
.LBB94_12:
	s_andn2_b64 vcc, exec, s[16:17]
	s_cbranch_vccnz .LBB94_20
; %bb.13:
	v_cmp_lt_f32_e32 vcc, 0, v17
	s_mov_b32 s2, 0
	v_cndmask_b32_e32 v0, 1.0, v17, vcc
	v_mul_lo_u32 v4, v16, s8
	s_cmp_eq_u32 s8, 1
	s_mov_b64 s[0:1], -1
	s_cbranch_scc1 .LBB94_17
; %bb.14:
	s_and_b32 s2, s8, 0x7ffffffe
	v_mov_b32_e32 v1, v0
	v_mov_b32_e32 v5, s13
	s_mov_b32 s3, s2
	v_mov_b32_e32 v2, v4
.LBB94_15:                              ; =>This Inner Loop Header: Depth=1
	v_ashrrev_i32_e32 v3, 31, v2
	v_lshlrev_b64 v[6:7], 2, v[2:3]
	v_add_co_u32_e32 v6, vcc, s12, v6
	v_addc_co_u32_e32 v7, vcc, v5, v7, vcc
	global_load_dwordx2 v[8:9], v[6:7], off
	s_add_i32 s3, s3, -2
	s_cmp_lg_u32 s3, 0
	v_add_u32_e32 v2, 2, v2
	s_waitcnt vmcnt(0)
	v_div_scale_f32 v3, s[0:1], v1, v1, v9
	v_div_scale_f32 v11, s[0:1], v0, v0, v8
	v_rcp_f32_e32 v12, v3
	v_rcp_f32_e32 v13, v11
	v_div_scale_f32 v10, vcc, v9, v1, v9
	v_fma_f32 v15, -v3, v12, 1.0
	v_fma_f32 v16, -v11, v13, 1.0
	v_fmac_f32_e32 v12, v15, v12
	v_div_scale_f32 v14, s[0:1], v8, v0, v8
	v_fmac_f32_e32 v13, v16, v13
	v_mul_f32_e32 v15, v10, v12
	v_mul_f32_e32 v16, v14, v13
	v_fma_f32 v17, -v3, v15, v10
	v_fma_f32 v18, -v11, v16, v14
	v_fmac_f32_e32 v15, v17, v12
	v_fmac_f32_e32 v16, v18, v13
	v_fma_f32 v3, -v3, v15, v10
	v_fma_f32 v10, -v11, v16, v14
	v_div_fmas_f32 v3, v3, v12, v15
	s_mov_b64 vcc, s[0:1]
	v_div_fixup_f32 v9, v3, v1, v9
	v_div_fmas_f32 v3, v10, v13, v16
	v_div_fixup_f32 v8, v3, v0, v8
	global_store_dwordx2 v[6:7], v[8:9], off
	s_cbranch_scc1 .LBB94_15
; %bb.16:
	s_cmp_lg_u32 s2, s8
	s_cselect_b64 s[0:1], -1, 0
.LBB94_17:
	s_and_b64 vcc, exec, s[0:1]
	s_cbranch_vccz .LBB94_20
; %bb.18:
	v_ashrrev_i32_e32 v1, 31, v4
	v_add_co_u32_e32 v2, vcc, s2, v4
	v_addc_co_u32_e32 v3, vcc, 0, v1, vcc
	v_lshlrev_b64 v[2:3], 2, v[2:3]
	v_mov_b32_e32 v1, s13
	v_add_co_u32_e32 v2, vcc, s12, v2
	s_sub_i32 s0, s8, s2
	v_addc_co_u32_e32 v3, vcc, v1, v3, vcc
.LBB94_19:                              ; =>This Inner Loop Header: Depth=1
	global_load_dword v1, v[2:3], off
	s_add_i32 s0, s0, -1
	s_cmp_lg_u32 s0, 0
	s_waitcnt vmcnt(0)
	v_div_scale_f32 v4, s[2:3], v0, v0, v1
	v_rcp_f32_e32 v5, v4
	v_div_scale_f32 v6, vcc, v1, v0, v1
	v_fma_f32 v7, -v4, v5, 1.0
	v_fmac_f32_e32 v5, v7, v5
	v_mul_f32_e32 v7, v6, v5
	v_fma_f32 v8, -v4, v7, v6
	v_fmac_f32_e32 v7, v8, v5
	v_fma_f32 v4, -v4, v7, v6
	v_div_fmas_f32 v4, v4, v5, v7
	v_div_fixup_f32 v1, v4, v0, v1
	global_store_dword v[2:3], v1, off
	v_add_co_u32_e32 v2, vcc, 4, v2
	v_addc_co_u32_e32 v3, vcc, 0, v3, vcc
	s_cbranch_scc1 .LBB94_19
.LBB94_20:
	s_endpgm
	.section	.rodata,"a",@progbits
	.p2align	6, 0x0
	.amdhsa_kernel _ZN4vllm3moe10topkGatingILi8ELi8ELi4ELi16ELi32Ej6__halfLNS0_11ScoringFuncE0EEEvPKT5_PKbPfiPT4_PiiiibPKf
		.amdhsa_group_segment_fixed_size 0
		.amdhsa_private_segment_fixed_size 0
		.amdhsa_kernarg_size 72
		.amdhsa_user_sgpr_count 6
		.amdhsa_user_sgpr_private_segment_buffer 1
		.amdhsa_user_sgpr_dispatch_ptr 0
		.amdhsa_user_sgpr_queue_ptr 0
		.amdhsa_user_sgpr_kernarg_segment_ptr 1
		.amdhsa_user_sgpr_dispatch_id 0
		.amdhsa_user_sgpr_flat_scratch_init 0
		.amdhsa_user_sgpr_kernarg_preload_length 0
		.amdhsa_user_sgpr_kernarg_preload_offset 0
		.amdhsa_user_sgpr_private_segment_size 0
		.amdhsa_uses_dynamic_stack 0
		.amdhsa_system_sgpr_private_segment_wavefront_offset 0
		.amdhsa_system_sgpr_workgroup_id_x 1
		.amdhsa_system_sgpr_workgroup_id_y 0
		.amdhsa_system_sgpr_workgroup_id_z 0
		.amdhsa_system_sgpr_workgroup_info 0
		.amdhsa_system_vgpr_workitem_id 1
		.amdhsa_next_free_vgpr 32
		.amdhsa_next_free_sgpr 28
		.amdhsa_accum_offset 32
		.amdhsa_reserve_vcc 1
		.amdhsa_reserve_flat_scratch 0
		.amdhsa_float_round_mode_32 0
		.amdhsa_float_round_mode_16_64 0
		.amdhsa_float_denorm_mode_32 3
		.amdhsa_float_denorm_mode_16_64 3
		.amdhsa_dx10_clamp 1
		.amdhsa_ieee_mode 1
		.amdhsa_fp16_overflow 0
		.amdhsa_tg_split 0
		.amdhsa_exception_fp_ieee_invalid_op 0
		.amdhsa_exception_fp_denorm_src 0
		.amdhsa_exception_fp_ieee_div_zero 0
		.amdhsa_exception_fp_ieee_overflow 0
		.amdhsa_exception_fp_ieee_underflow 0
		.amdhsa_exception_fp_ieee_inexact 0
		.amdhsa_exception_int_div_zero 0
	.end_amdhsa_kernel
	.section	.text._ZN4vllm3moe10topkGatingILi8ELi8ELi4ELi16ELi32Ej6__halfLNS0_11ScoringFuncE0EEEvPKT5_PKbPfiPT4_PiiiibPKf,"axG",@progbits,_ZN4vllm3moe10topkGatingILi8ELi8ELi4ELi16ELi32Ej6__halfLNS0_11ScoringFuncE0EEEvPKT5_PKbPfiPT4_PiiiibPKf,comdat
.Lfunc_end94:
	.size	_ZN4vllm3moe10topkGatingILi8ELi8ELi4ELi16ELi32Ej6__halfLNS0_11ScoringFuncE0EEEvPKT5_PKbPfiPT4_PiiiibPKf, .Lfunc_end94-_ZN4vllm3moe10topkGatingILi8ELi8ELi4ELi16ELi32Ej6__halfLNS0_11ScoringFuncE0EEEvPKT5_PKbPfiPT4_PiiiibPKf
                                        ; -- End function
	.section	.AMDGPU.csdata,"",@progbits
; Kernel info:
; codeLenInByte = 2320
; NumSgprs: 32
; NumVgprs: 32
; NumAgprs: 0
; TotalNumVgprs: 32
; ScratchSize: 0
; MemoryBound: 1
; FloatMode: 240
; IeeeMode: 1
; LDSByteSize: 0 bytes/workgroup (compile time only)
; SGPRBlocks: 3
; VGPRBlocks: 3
; NumSGPRsForWavesPerEU: 32
; NumVGPRsForWavesPerEU: 32
; AccumOffset: 32
; Occupancy: 8
; WaveLimiterHint : 0
; COMPUTE_PGM_RSRC2:SCRATCH_EN: 0
; COMPUTE_PGM_RSRC2:USER_SGPR: 6
; COMPUTE_PGM_RSRC2:TRAP_HANDLER: 0
; COMPUTE_PGM_RSRC2:TGID_X_EN: 1
; COMPUTE_PGM_RSRC2:TGID_Y_EN: 0
; COMPUTE_PGM_RSRC2:TGID_Z_EN: 0
; COMPUTE_PGM_RSRC2:TIDIG_COMP_CNT: 1
; COMPUTE_PGM_RSRC3_GFX90A:ACCUM_OFFSET: 7
; COMPUTE_PGM_RSRC3_GFX90A:TG_SPLIT: 0
	.section	.text._ZN4vllm3moe10topkGatingILi8ELi16ELi4ELi16ELi64Ej6__halfLNS0_11ScoringFuncE0EEEvPKT5_PKbPfiPT4_PiiiibPKf,"axG",@progbits,_ZN4vllm3moe10topkGatingILi8ELi16ELi4ELi16ELi64Ej6__halfLNS0_11ScoringFuncE0EEEvPKT5_PKbPfiPT4_PiiiibPKf,comdat
	.protected	_ZN4vllm3moe10topkGatingILi8ELi16ELi4ELi16ELi64Ej6__halfLNS0_11ScoringFuncE0EEEvPKT5_PKbPfiPT4_PiiiibPKf ; -- Begin function _ZN4vllm3moe10topkGatingILi8ELi16ELi4ELi16ELi64Ej6__halfLNS0_11ScoringFuncE0EEEvPKT5_PKbPfiPT4_PiiiibPKf
	.globl	_ZN4vllm3moe10topkGatingILi8ELi16ELi4ELi16ELi64Ej6__halfLNS0_11ScoringFuncE0EEEvPKT5_PKbPfiPT4_PiiiibPKf
	.p2align	8
	.type	_ZN4vllm3moe10topkGatingILi8ELi16ELi4ELi16ELi64Ej6__halfLNS0_11ScoringFuncE0EEEvPKT5_PKbPfiPT4_PiiiibPKf,@function
_ZN4vllm3moe10topkGatingILi8ELi16ELi4ELi16ELi64Ej6__halfLNS0_11ScoringFuncE0EEEvPKT5_PKbPfiPT4_PiiiibPKf: ; @_ZN4vllm3moe10topkGatingILi8ELi16ELi4ELi16ELi64Ej6__halfLNS0_11ScoringFuncE0EEEvPKT5_PKbPfiPT4_PiiiibPKf
; %bb.0:
	s_load_dword s24, s[4:5], 0x18
	v_bfe_u32 v1, v0, 10, 10
	v_and_b32_e32 v0, 0x3ff, v0
	s_lshl_b32 s0, s6, 7
	v_lshlrev_b32_e32 v1, 5, v1
	v_lshrrev_b32_e32 v2, 1, v0
	v_add3_u32 v16, s0, v1, v2
	s_waitcnt lgkmcnt(0)
	v_cmp_gt_i32_e32 vcc, s24, v16
	s_and_saveexec_b64 s[0:1], vcc
	s_cbranch_execz .LBB95_30
; %bb.1:
	s_load_dwordx4 s[0:3], s[4:5], 0x0
	s_load_dwordx2 s[6:7], s[4:5], 0x10
	s_mov_b64 s[8:9], -1
	s_mov_b64 s[16:17], -1
	s_waitcnt lgkmcnt(0)
	s_cmp_eq_u64 s[2:3], 0
	s_cbranch_scc1 .LBB95_3
; %bb.2:
	v_ashrrev_i32_e32 v1, 31, v16
	v_mov_b32_e32 v3, s3
	v_add_co_u32_e32 v2, vcc, s2, v16
	v_addc_co_u32_e32 v3, vcc, v3, v1, vcc
	global_load_ubyte v1, v[2:3], off
	s_waitcnt vmcnt(0)
	v_and_b32_e32 v1, 1, v1
	v_cmp_eq_u32_e32 vcc, 1, v1
	s_xor_b64 s[2:3], vcc, -1
	s_orn2_b64 s[16:17], s[2:3], exec
.LBB95_3:
	v_lshlrev_b32_e32 v2, 4, v16
	v_ashrrev_i32_e32 v3, 31, v2
	v_lshlrev_b64 v[2:3], 1, v[2:3]
	v_mov_b32_e32 v1, s1
	v_add_co_u32_e32 v2, vcc, s0, v2
	v_and_b32_e32 v17, 1, v0
	v_addc_co_u32_e32 v1, vcc, v1, v3, vcc
	v_lshlrev_b32_e32 v0, 4, v17
	v_add_co_u32_e32 v0, vcc, v2, v0
	v_addc_co_u32_e32 v1, vcc, 0, v1, vcc
	global_load_dwordx4 v[0:3], v[0:1], off
	v_mbcnt_lo_u32_b32 v4, -1, 0
	v_mbcnt_hi_u32_b32 v4, -1, v4
	v_and_b32_e32 v6, 0x7e, v4
	v_xor_b32_e32 v5, 1, v4
	v_add_u32_e32 v6, 2, v6
	v_cmp_lt_i32_e32 vcc, v5, v6
	v_cndmask_b32_e32 v4, v4, v5, vcc
	v_lshlrev_b32_e32 v18, 2, v4
	s_mov_b32 s2, 0x3fb8aa3b
	s_mov_b32 s0, 0xc2ce8ed0
	;; [unrolled: 1-line block ×3, first 2 shown]
	v_mov_b32_e32 v10, 0x7f800000
	s_waitcnt vmcnt(0)
	v_cvt_f32_f16_e32 v6, v0
	v_cvt_f32_f16_sdwa v7, v0 dst_sel:DWORD dst_unused:UNUSED_PAD src0_sel:WORD_1
	v_cvt_f32_f16_e32 v8, v1
	v_cvt_f32_f16_sdwa v4, v1 dst_sel:DWORD dst_unused:UNUSED_PAD src0_sel:WORD_1
	;; [unrolled: 2-line block ×3, first 2 shown]
	v_cvt_f32_f16_sdwa v9, v3 dst_sel:DWORD dst_unused:UNUSED_PAD src0_sel:WORD_1
	v_cvt_f32_f16_e32 v1, v3
	v_max_f32_e32 v2, v6, v7
	v_max3_f32 v2, v2, v8, v4
	v_max3_f32 v2, v2, v5, v0
	;; [unrolled: 1-line block ×3, first 2 shown]
	ds_bpermute_b32 v3, v18, v2
	s_waitcnt lgkmcnt(0)
	v_max_f32_e32 v3, v3, v3
	v_max_f32_e32 v2, v2, v3
	v_pk_add_f32 v[6:7], v[6:7], v[2:3] op_sel_hi:[1,0] neg_lo:[0,1] neg_hi:[0,1]
	v_sub_f32_e32 v3, v8, v2
	v_mul_f32_e32 v8, 0x3fb8aa3b, v7
	v_mul_f32_e32 v11, 0x3fb8aa3b, v6
	v_fma_f32 v19, v7, s2, -v8
	v_rndne_f32_e32 v20, v8
	v_pk_add_f32 v[4:5], v[4:5], v[2:3] op_sel_hi:[1,0] neg_lo:[0,1] neg_hi:[0,1]
	v_mul_f32_e32 v12, 0x3fb8aa3b, v3
	v_fma_f32 v21, v6, s2, -v11
	v_rndne_f32_e32 v22, v11
	v_fmac_f32_e32 v19, 0x32a5705f, v7
	v_sub_f32_e32 v8, v8, v20
	v_mul_f32_e32 v13, 0x3fb8aa3b, v5
	v_fma_f32 v23, v3, s2, -v12
	v_rndne_f32_e32 v24, v12
	v_fmac_f32_e32 v21, 0x32a5705f, v6
	v_sub_f32_e32 v11, v11, v22
	v_add_f32_e32 v8, v8, v19
	v_mul_f32_e32 v14, 0x3fb8aa3b, v4
	v_fma_f32 v25, v5, s2, -v13
	v_rndne_f32_e32 v26, v13
	v_cvt_i32_f32_e32 v20, v20
	v_fmac_f32_e32 v23, 0x32a5705f, v3
	v_sub_f32_e32 v12, v12, v24
	v_add_f32_e32 v11, v11, v21
	v_exp_f32_e32 v8, v8
	v_fma_f32 v27, v4, s2, -v14
	v_rndne_f32_e32 v28, v14
	v_cvt_i32_f32_e32 v22, v22
	v_fmac_f32_e32 v25, 0x32a5705f, v5
	v_sub_f32_e32 v13, v13, v26
	v_add_f32_e32 v12, v12, v23
	v_exp_f32_e32 v11, v11
	v_cvt_i32_f32_e32 v24, v24
	v_fmac_f32_e32 v27, 0x32a5705f, v4
	v_sub_f32_e32 v14, v14, v28
	v_add_f32_e32 v13, v13, v25
	v_exp_f32_e32 v12, v12
	v_cvt_i32_f32_e32 v26, v26
	v_add_f32_e32 v14, v14, v27
	v_exp_f32_e32 v13, v13
	v_cvt_i32_f32_e32 v28, v28
	v_exp_f32_e32 v14, v14
	v_ldexp_f32 v8, v8, v20
	v_cmp_ngt_f32_e32 vcc, s0, v7
	v_ldexp_f32 v11, v11, v22
	v_cndmask_b32_e32 v8, 0, v8, vcc
	v_cmp_ngt_f32_e32 vcc, s0, v6
	v_ldexp_f32 v12, v12, v24
	v_cndmask_b32_e32 v11, 0, v11, vcc
	;; [unrolled: 3-line block ×4, first 2 shown]
	v_cmp_ngt_f32_e32 vcc, s0, v4
	v_pk_add_f32 v[0:1], v[0:1], v[2:3] op_sel_hi:[1,0] neg_lo:[0,1] neg_hi:[0,1]
	v_cndmask_b32_e32 v14, 0, v14, vcc
	v_cmp_nlt_f32_e32 vcc, s1, v7
	v_mul_f32_e32 v15, 0x3fb8aa3b, v1
	v_cndmask_b32_e32 v7, v10, v8, vcc
	v_cmp_nlt_f32_e32 vcc, s1, v6
	v_fma_f32 v29, v1, s2, -v15
	v_cndmask_b32_e32 v6, v10, v11, vcc
	v_cmp_nlt_f32_e32 vcc, s1, v3
	v_rndne_f32_e32 v11, v15
	v_fmac_f32_e32 v29, 0x32a5705f, v1
	v_cndmask_b32_e32 v3, v10, v12, vcc
	v_sub_f32_e32 v12, v15, v11
	v_add_f32_e32 v12, v12, v29
	v_exp_f32_e32 v12, v12
	v_cvt_i32_f32_e32 v11, v11
	v_cmp_nlt_f32_e32 vcc, s1, v5
	v_cndmask_b32_e32 v5, v10, v13, vcc
	v_cmp_nlt_f32_e32 vcc, s1, v4
	v_ldexp_f32 v11, v12, v11
	v_mul_f32_e32 v12, 0x3fb8aa3b, v0
	v_cndmask_b32_e32 v4, v10, v14, vcc
	v_fma_f32 v13, v0, s2, -v12
	v_rndne_f32_e32 v14, v12
	v_fmac_f32_e32 v13, 0x32a5705f, v0
	v_sub_f32_e32 v12, v12, v14
	v_add_f32_e32 v12, v12, v13
	v_exp_f32_e32 v12, v12
	v_cvt_i32_f32_e32 v13, v14
	v_cmp_ngt_f32_e32 vcc, s0, v1
	v_sub_f32_e32 v2, v9, v2
	v_cndmask_b32_e32 v11, 0, v11, vcc
	v_cmp_nlt_f32_e32 vcc, s1, v1
	v_mul_f32_e32 v9, 0x3fb8aa3b, v2
	v_cndmask_b32_e32 v1, v10, v11, vcc
	v_ldexp_f32 v11, v12, v13
	v_fma_f32 v12, v2, s2, -v9
	v_rndne_f32_e32 v13, v9
	v_fmac_f32_e32 v12, 0x32a5705f, v2
	v_sub_f32_e32 v9, v9, v13
	v_add_f32_e32 v9, v9, v12
	v_exp_f32_e32 v9, v9
	v_cvt_i32_f32_e32 v12, v13
	v_add_f32_e32 v8, v6, v7
	v_add_f32_e32 v8, v8, v3
	v_cmp_ngt_f32_e32 vcc, s0, v0
	v_add_f32_e32 v8, v8, v4
	v_cndmask_b32_e32 v11, 0, v11, vcc
	v_cmp_nlt_f32_e32 vcc, s1, v0
	v_add_f32_e32 v8, v8, v5
	v_cndmask_b32_e32 v0, v10, v11, vcc
	v_ldexp_f32 v9, v9, v12
	v_cmp_ngt_f32_e32 vcc, s0, v2
	v_add_f32_e32 v8, v8, v0
	v_cndmask_b32_e32 v9, 0, v9, vcc
	v_cmp_nlt_f32_e32 vcc, s1, v2
	v_add_f32_e32 v8, v8, v1
	v_cndmask_b32_e32 v10, v10, v9, vcc
	v_add_f32_e32 v2, v8, v10
	ds_bpermute_b32 v8, v18, v2
	s_movk_i32 s2, 0x1f8
	v_lshlrev_b32_e32 v19, 3, v17
	s_waitcnt lgkmcnt(0)
	v_add_f32_e32 v2, v2, v8
	v_div_scale_f32 v8, s[0:1], v2, v2, 1.0
	v_rcp_f32_e32 v9, v8
	s_load_dwordx2 s[0:1], s[4:5], 0x40
	v_fma_f32 v11, -v8, v9, 1.0
	v_fmac_f32_e32 v9, v11, v9
	v_div_scale_f32 v11, vcc, 1.0, v2, 1.0
	v_mul_f32_e32 v12, v11, v9
	v_fma_f32 v13, -v8, v12, v11
	v_fmac_f32_e32 v12, v13, v9
	v_fma_f32 v8, -v8, v12, v11
	v_div_fmas_f32 v8, v8, v9, v12
	v_div_fixup_f32 v2, v8, v2, 1.0
	v_mul_f32_e32 v11, v2, v6
	v_mul_f32_e32 v12, v2, v7
	;; [unrolled: 1-line block ×3, first 2 shown]
	v_cmp_class_f32_e64 vcc, v11, s2
	v_pk_mul_f32 v[8:9], v[2:3], v[0:1] op_sel_hi:[0,1]
	v_cndmask_b32_e32 v0, 0, v11, vcc
	v_cmp_class_f32_e64 vcc, v12, s2
	v_pk_mul_f32 v[6:7], v[2:3], v[4:5] op_sel_hi:[0,1]
	v_cndmask_b32_e32 v1, 0, v12, vcc
	v_cmp_class_f32_e64 vcc, v3, s2
	v_mov_b32_e32 v5, 0x207
	v_mul_f32_e32 v10, v2, v10
	v_cndmask_b32_e32 v2, 0, v3, vcc
	v_cmp_class_f32_e32 vcc, v7, v5
	v_cndmask_b32_e64 v4, v7, 0, vcc
	v_cmp_class_f32_e32 vcc, v6, v5
	v_cndmask_b32_e64 v3, v6, 0, vcc
	;; [unrolled: 2-line block ×4, first 2 shown]
	v_cmp_class_f32_e64 vcc, v10, s2
	s_waitcnt lgkmcnt(0)
	s_cmp_eq_u64 s[0:1], 0
	v_cndmask_b32_e32 v7, 0, v10, vcc
	s_cbranch_scc1 .LBB95_19
; %bb.4:
	v_lshlrev_b32_e32 v20, 2, v19
	global_load_dwordx4 v[8:11], v20, s[0:1]
	global_load_dwordx4 v[12:15], v20, s[0:1] offset:16
	s_waitcnt vmcnt(1)
	v_pk_add_f32 v[8:9], v[8:9], v[0:1]
	v_pk_add_f32 v[10:11], v[10:11], v[2:3]
	s_waitcnt vmcnt(0)
	v_pk_add_f32 v[12:13], v[12:13], v[4:5]
	v_pk_add_f32 v[14:15], v[14:15], v[6:7]
	s_cbranch_execnz .LBB95_6
.LBB95_5:
	v_pk_mov_b32 v[14:15], v[6:7], v[6:7] op_sel:[0,1]
	v_pk_mov_b32 v[12:13], v[4:5], v[4:5] op_sel:[0,1]
	v_pk_mov_b32 v[10:11], v[2:3], v[2:3] op_sel:[0,1]
	v_pk_mov_b32 v[8:9], v[0:1], v[0:1] op_sel:[0,1]
.LBB95_6:
	s_load_dwordx4 s[8:11], s[4:5], 0x30
	s_mov_b32 s25, 0
	v_cmp_eq_u32_e64 s[0:1], 0, v17
	s_waitcnt lgkmcnt(0)
	s_bitcmp1_b32 s11, 0
	s_cselect_b64 vcc, -1, 0
	s_cmp_gt_i32 s8, 0
	s_cselect_b64 s[18:19], -1, 0
	s_cmp_lt_i32 s8, 1
	s_cbranch_scc1 .LBB95_20
; %bb.7:
	s_load_dwordx4 s[12:15], s[4:5], 0x20
	v_mul_lo_u32 v21, v16, s8
	v_mov_b32_e32 v20, 0
	v_mov_b32_e32 v22, 0xc61c4000
	;; [unrolled: 1-line block ×3, first 2 shown]
	s_branch .LBB95_10
.LBB95_8:                               ;   in Loop: Header=BB95_10 Depth=1
	s_or_b64 exec, exec, s[4:5]
.LBB95_9:                               ;   in Loop: Header=BB95_10 Depth=1
	s_cmp_eq_u32 s8, s25
	v_add_u32_e32 v23, s24, v23
	s_cbranch_scc1 .LBB95_21
.LBB95_10:                              ; =>This Inner Loop Header: Depth=1
	v_cmp_gt_f32_e64 s[2:3], v9, v8
	v_cndmask_b32_e64 v24, v8, v9, s[2:3]
	v_cndmask_b32_e64 v25, v0, v1, s[2:3]
	v_cndmask_b32_e64 v26, 0, 1, s[2:3]
	v_cmp_gt_f32_e64 s[2:3], v10, v24
	v_cndmask_b32_e64 v24, v24, v10, s[2:3]
	v_cndmask_b32_e64 v25, v25, v2, s[2:3]
	v_cndmask_b32_e64 v26, v26, 2, s[2:3]
	;; [unrolled: 4-line block ×7, first 2 shown]
	v_or_b32_e32 v24, v19, v24
	ds_bpermute_b32 v29, v18, v28
	ds_bpermute_b32 v27, v18, v25
	;; [unrolled: 1-line block ×3, first 2 shown]
	s_waitcnt lgkmcnt(0)
	v_cmp_lt_f32_e64 s[20:21], v28, v29
	v_cmp_nlt_f32_e64 s[2:3], v28, v29
	s_and_saveexec_b64 s[22:23], s[2:3]
	s_cbranch_execnz .LBB95_14
; %bb.11:                               ;   in Loop: Header=BB95_10 Depth=1
	s_or_b64 exec, exec, s[22:23]
	s_and_saveexec_b64 s[2:3], s[20:21]
	s_cbranch_execnz .LBB95_15
.LBB95_12:                              ;   in Loop: Header=BB95_10 Depth=1
	s_or_b64 exec, exec, s[2:3]
	s_and_saveexec_b64 s[20:21], s[0:1]
	s_cbranch_execnz .LBB95_16
.LBB95_13:                              ;   in Loop: Header=BB95_10 Depth=1
	s_or_b64 exec, exec, s[20:21]
	s_add_i32 s25, s25, 1
	s_cmp_ge_i32 s25, s8
	s_cbranch_scc1 .LBB95_9
	s_branch .LBB95_17
.LBB95_14:                              ;   in Loop: Header=BB95_10 Depth=1
	v_cmp_eq_f32_e64 s[2:3], v28, v29
	v_cmp_lt_i32_e64 s[4:5], v26, v24
	s_and_b64 s[2:3], s[2:3], s[4:5]
	s_andn2_b64 s[4:5], s[20:21], exec
	s_and_b64 s[2:3], s[2:3], exec
	s_or_b64 s[20:21], s[4:5], s[2:3]
	s_or_b64 exec, exec, s[22:23]
	s_and_saveexec_b64 s[2:3], s[20:21]
	s_cbranch_execz .LBB95_12
.LBB95_15:                              ;   in Loop: Header=BB95_10 Depth=1
	v_mov_b32_e32 v25, v27
	v_mov_b32_e32 v24, v26
	s_or_b64 exec, exec, s[2:3]
	s_and_saveexec_b64 s[20:21], s[0:1]
	s_cbranch_execz .LBB95_13
.LBB95_16:                              ;   in Loop: Header=BB95_10 Depth=1
	v_add_u32_e32 v26, s25, v21
	v_ashrrev_i32_e32 v27, 31, v26
	v_cmp_le_i32_e64 s[2:3], s9, v24
	v_cmp_gt_i32_e64 s[4:5], s10, v24
	v_lshlrev_b64 v[26:27], 2, v[26:27]
	s_and_b64 s[4:5], s[2:3], s[4:5]
	v_mov_b32_e32 v29, s7
	v_add_co_u32_e64 v28, s[2:3], s6, v26
	v_addc_co_u32_e64 v29, s[2:3], v29, v27, s[2:3]
	global_store_dword v[28:29], v25, off
	v_subrev_u32_e32 v28, s9, v24
	s_and_b64 s[2:3], s[16:17], s[4:5]
	v_cndmask_b32_e64 v30, 16, v28, s[2:3]
	v_mov_b32_e32 v29, s13
	v_add_co_u32_e64 v28, s[2:3], s12, v26
	v_addc_co_u32_e64 v29, s[2:3], v29, v27, s[2:3]
	global_store_dword v[28:29], v30, off
	v_mov_b32_e32 v28, s15
	v_add_co_u32_e64 v26, s[2:3], s14, v26
	v_add_f32_e32 v25, v20, v25
	v_addc_co_u32_e64 v27, s[2:3], v28, v27, s[2:3]
	v_cndmask_b32_e32 v20, v20, v25, vcc
	global_store_dword v[26:27], v23, off
	s_or_b64 exec, exec, s[20:21]
	s_add_i32 s25, s25, 1
	s_cmp_ge_i32 s25, s8
	s_cbranch_scc1 .LBB95_9
.LBB95_17:                              ;   in Loop: Header=BB95_10 Depth=1
	v_ashrrev_i32_e32 v26, 31, v24
	v_lshrrev_b32_e32 v25, 29, v26
	v_add_u32_e32 v27, v24, v25
	v_ashrrev_i32_e32 v25, 3, v27
	v_lshrrev_b32_e32 v27, 31, v27
	v_add_u32_e32 v27, v25, v27
	v_and_b32_e32 v27, -2, v27
	v_sub_u32_e32 v27, v25, v27
	v_cmp_eq_u32_e64 s[2:3], v17, v27
	s_and_saveexec_b64 s[4:5], s[2:3]
	s_cbranch_execz .LBB95_8
; %bb.18:                               ;   in Loop: Header=BB95_10 Depth=1
	v_lshrrev_b32_e32 v26, 28, v26
	v_add_u32_e32 v26, v24, v26
	v_lshlrev_b32_e32 v25, 3, v25
	v_ashrrev_i32_e32 v26, 4, v26
	v_sub_u32_e32 v24, v24, v25
	v_lshl_add_u32 v24, v26, 3, v24
	v_cmp_ne_u32_e64 s[2:3], 7, v24
	v_cndmask_b32_e64 v15, v22, v15, s[2:3]
	v_cmp_ne_u32_e64 s[2:3], 6, v24
	v_cndmask_b32_e64 v14, v22, v14, s[2:3]
	;; [unrolled: 2-line block ×8, first 2 shown]
	s_branch .LBB95_8
.LBB95_19:
                                        ; implicit-def: $vgpr8_vgpr9_vgpr10_vgpr11_vgpr12_vgpr13_vgpr14_vgpr15
	s_andn2_b64 vcc, exec, s[8:9]
	s_cbranch_vccz .LBB95_5
	s_branch .LBB95_6
.LBB95_20:
	v_mov_b32_e32 v20, 0
.LBB95_21:
	v_cmp_eq_u32_e64 s[0:1], 0, v17
	s_and_b64 s[0:1], s[0:1], vcc
	s_and_b64 exec, exec, s[0:1]
	s_cbranch_execz .LBB95_30
; %bb.22:
	s_andn2_b64 vcc, exec, s[18:19]
	s_cbranch_vccnz .LBB95_30
; %bb.23:
	v_cmp_lt_f32_e32 vcc, 0, v20
	s_mov_b32 s2, 0
	v_cndmask_b32_e32 v0, 1.0, v20, vcc
	v_mul_lo_u32 v4, v16, s8
	s_cmp_eq_u32 s8, 1
	s_mov_b64 s[0:1], -1
	s_cbranch_scc1 .LBB95_27
; %bb.24:
	s_and_b32 s2, s8, 0x7ffffffe
	v_mov_b32_e32 v1, v0
	v_mov_b32_e32 v5, s7
	s_mov_b32 s3, s2
	v_mov_b32_e32 v2, v4
.LBB95_25:                              ; =>This Inner Loop Header: Depth=1
	v_ashrrev_i32_e32 v3, 31, v2
	v_lshlrev_b64 v[6:7], 2, v[2:3]
	v_add_co_u32_e32 v6, vcc, s6, v6
	v_addc_co_u32_e32 v7, vcc, v5, v7, vcc
	global_load_dwordx2 v[8:9], v[6:7], off
	s_add_i32 s3, s3, -2
	s_cmp_lg_u32 s3, 0
	v_add_u32_e32 v2, 2, v2
	s_waitcnt vmcnt(0)
	v_div_scale_f32 v3, s[0:1], v1, v1, v9
	v_div_scale_f32 v11, s[0:1], v0, v0, v8
	v_rcp_f32_e32 v12, v3
	v_rcp_f32_e32 v13, v11
	v_div_scale_f32 v10, vcc, v9, v1, v9
	v_fma_f32 v15, -v3, v12, 1.0
	v_fma_f32 v16, -v11, v13, 1.0
	v_fmac_f32_e32 v12, v15, v12
	v_div_scale_f32 v14, s[0:1], v8, v0, v8
	v_fmac_f32_e32 v13, v16, v13
	v_mul_f32_e32 v15, v10, v12
	v_mul_f32_e32 v16, v14, v13
	v_fma_f32 v17, -v3, v15, v10
	v_fma_f32 v18, -v11, v16, v14
	v_fmac_f32_e32 v15, v17, v12
	v_fmac_f32_e32 v16, v18, v13
	v_fma_f32 v3, -v3, v15, v10
	v_fma_f32 v10, -v11, v16, v14
	v_div_fmas_f32 v3, v3, v12, v15
	s_mov_b64 vcc, s[0:1]
	v_div_fixup_f32 v9, v3, v1, v9
	v_div_fmas_f32 v3, v10, v13, v16
	v_div_fixup_f32 v8, v3, v0, v8
	global_store_dwordx2 v[6:7], v[8:9], off
	s_cbranch_scc1 .LBB95_25
; %bb.26:
	s_cmp_lg_u32 s2, s8
	s_cselect_b64 s[0:1], -1, 0
.LBB95_27:
	s_and_b64 vcc, exec, s[0:1]
	s_cbranch_vccz .LBB95_30
; %bb.28:
	v_ashrrev_i32_e32 v1, 31, v4
	v_add_co_u32_e32 v2, vcc, s2, v4
	v_addc_co_u32_e32 v3, vcc, 0, v1, vcc
	v_lshlrev_b64 v[2:3], 2, v[2:3]
	v_mov_b32_e32 v1, s7
	v_add_co_u32_e32 v2, vcc, s6, v2
	s_sub_i32 s0, s8, s2
	v_addc_co_u32_e32 v3, vcc, v1, v3, vcc
.LBB95_29:                              ; =>This Inner Loop Header: Depth=1
	global_load_dword v1, v[2:3], off
	s_add_i32 s0, s0, -1
	s_cmp_lg_u32 s0, 0
	s_waitcnt vmcnt(0)
	v_div_scale_f32 v4, s[2:3], v0, v0, v1
	v_rcp_f32_e32 v5, v4
	v_div_scale_f32 v6, vcc, v1, v0, v1
	v_fma_f32 v7, -v4, v5, 1.0
	v_fmac_f32_e32 v5, v7, v5
	v_mul_f32_e32 v7, v6, v5
	v_fma_f32 v8, -v4, v7, v6
	v_fmac_f32_e32 v7, v8, v5
	v_fma_f32 v4, -v4, v7, v6
	v_div_fmas_f32 v4, v4, v5, v7
	v_div_fixup_f32 v1, v4, v0, v1
	global_store_dword v[2:3], v1, off
	v_add_co_u32_e32 v2, vcc, 4, v2
	v_addc_co_u32_e32 v3, vcc, 0, v3, vcc
	s_cbranch_scc1 .LBB95_29
.LBB95_30:
	s_endpgm
	.section	.rodata,"a",@progbits
	.p2align	6, 0x0
	.amdhsa_kernel _ZN4vllm3moe10topkGatingILi8ELi16ELi4ELi16ELi64Ej6__halfLNS0_11ScoringFuncE0EEEvPKT5_PKbPfiPT4_PiiiibPKf
		.amdhsa_group_segment_fixed_size 0
		.amdhsa_private_segment_fixed_size 0
		.amdhsa_kernarg_size 72
		.amdhsa_user_sgpr_count 6
		.amdhsa_user_sgpr_private_segment_buffer 1
		.amdhsa_user_sgpr_dispatch_ptr 0
		.amdhsa_user_sgpr_queue_ptr 0
		.amdhsa_user_sgpr_kernarg_segment_ptr 1
		.amdhsa_user_sgpr_dispatch_id 0
		.amdhsa_user_sgpr_flat_scratch_init 0
		.amdhsa_user_sgpr_kernarg_preload_length 0
		.amdhsa_user_sgpr_kernarg_preload_offset 0
		.amdhsa_user_sgpr_private_segment_size 0
		.amdhsa_uses_dynamic_stack 0
		.amdhsa_system_sgpr_private_segment_wavefront_offset 0
		.amdhsa_system_sgpr_workgroup_id_x 1
		.amdhsa_system_sgpr_workgroup_id_y 0
		.amdhsa_system_sgpr_workgroup_id_z 0
		.amdhsa_system_sgpr_workgroup_info 0
		.amdhsa_system_vgpr_workitem_id 1
		.amdhsa_next_free_vgpr 31
		.amdhsa_next_free_sgpr 26
		.amdhsa_accum_offset 32
		.amdhsa_reserve_vcc 1
		.amdhsa_reserve_flat_scratch 0
		.amdhsa_float_round_mode_32 0
		.amdhsa_float_round_mode_16_64 0
		.amdhsa_float_denorm_mode_32 3
		.amdhsa_float_denorm_mode_16_64 3
		.amdhsa_dx10_clamp 1
		.amdhsa_ieee_mode 1
		.amdhsa_fp16_overflow 0
		.amdhsa_tg_split 0
		.amdhsa_exception_fp_ieee_invalid_op 0
		.amdhsa_exception_fp_denorm_src 0
		.amdhsa_exception_fp_ieee_div_zero 0
		.amdhsa_exception_fp_ieee_overflow 0
		.amdhsa_exception_fp_ieee_underflow 0
		.amdhsa_exception_fp_ieee_inexact 0
		.amdhsa_exception_int_div_zero 0
	.end_amdhsa_kernel
	.section	.text._ZN4vllm3moe10topkGatingILi8ELi16ELi4ELi16ELi64Ej6__halfLNS0_11ScoringFuncE0EEEvPKT5_PKbPfiPT4_PiiiibPKf,"axG",@progbits,_ZN4vllm3moe10topkGatingILi8ELi16ELi4ELi16ELi64Ej6__halfLNS0_11ScoringFuncE0EEEvPKT5_PKbPfiPT4_PiiiibPKf,comdat
.Lfunc_end95:
	.size	_ZN4vllm3moe10topkGatingILi8ELi16ELi4ELi16ELi64Ej6__halfLNS0_11ScoringFuncE0EEEvPKT5_PKbPfiPT4_PiiiibPKf, .Lfunc_end95-_ZN4vllm3moe10topkGatingILi8ELi16ELi4ELi16ELi64Ej6__halfLNS0_11ScoringFuncE0EEEvPKT5_PKbPfiPT4_PiiiibPKf
                                        ; -- End function
	.section	.AMDGPU.csdata,"",@progbits
; Kernel info:
; codeLenInByte = 2648
; NumSgprs: 30
; NumVgprs: 31
; NumAgprs: 0
; TotalNumVgprs: 31
; ScratchSize: 0
; MemoryBound: 0
; FloatMode: 240
; IeeeMode: 1
; LDSByteSize: 0 bytes/workgroup (compile time only)
; SGPRBlocks: 3
; VGPRBlocks: 3
; NumSGPRsForWavesPerEU: 30
; NumVGPRsForWavesPerEU: 31
; AccumOffset: 32
; Occupancy: 8
; WaveLimiterHint : 0
; COMPUTE_PGM_RSRC2:SCRATCH_EN: 0
; COMPUTE_PGM_RSRC2:USER_SGPR: 6
; COMPUTE_PGM_RSRC2:TRAP_HANDLER: 0
; COMPUTE_PGM_RSRC2:TGID_X_EN: 1
; COMPUTE_PGM_RSRC2:TGID_Y_EN: 0
; COMPUTE_PGM_RSRC2:TGID_Z_EN: 0
; COMPUTE_PGM_RSRC2:TIDIG_COMP_CNT: 1
; COMPUTE_PGM_RSRC3_GFX90A:ACCUM_OFFSET: 7
; COMPUTE_PGM_RSRC3_GFX90A:TG_SPLIT: 0
	.section	.text._ZN4vllm3moe10topkGatingILi8ELi16ELi4ELi16ELi32Ej6__halfLNS0_11ScoringFuncE0EEEvPKT5_PKbPfiPT4_PiiiibPKf,"axG",@progbits,_ZN4vllm3moe10topkGatingILi8ELi16ELi4ELi16ELi32Ej6__halfLNS0_11ScoringFuncE0EEEvPKT5_PKbPfiPT4_PiiiibPKf,comdat
	.protected	_ZN4vllm3moe10topkGatingILi8ELi16ELi4ELi16ELi32Ej6__halfLNS0_11ScoringFuncE0EEEvPKT5_PKbPfiPT4_PiiiibPKf ; -- Begin function _ZN4vllm3moe10topkGatingILi8ELi16ELi4ELi16ELi32Ej6__halfLNS0_11ScoringFuncE0EEEvPKT5_PKbPfiPT4_PiiiibPKf
	.globl	_ZN4vllm3moe10topkGatingILi8ELi16ELi4ELi16ELi32Ej6__halfLNS0_11ScoringFuncE0EEEvPKT5_PKbPfiPT4_PiiiibPKf
	.p2align	8
	.type	_ZN4vllm3moe10topkGatingILi8ELi16ELi4ELi16ELi32Ej6__halfLNS0_11ScoringFuncE0EEEvPKT5_PKbPfiPT4_PiiiibPKf,@function
_ZN4vllm3moe10topkGatingILi8ELi16ELi4ELi16ELi32Ej6__halfLNS0_11ScoringFuncE0EEEvPKT5_PKbPfiPT4_PiiiibPKf: ; @_ZN4vllm3moe10topkGatingILi8ELi16ELi4ELi16ELi32Ej6__halfLNS0_11ScoringFuncE0EEEvPKT5_PKbPfiPT4_PiiiibPKf
; %bb.0:
	s_load_dword s24, s[4:5], 0x18
	v_bfe_u32 v1, v0, 10, 10
	v_and_b32_e32 v0, 0x3ff, v0
	s_lshl_b32 s0, s6, 6
	v_lshlrev_b32_e32 v1, 4, v1
	v_lshrrev_b32_e32 v2, 1, v0
	v_add3_u32 v16, s0, v1, v2
	s_waitcnt lgkmcnt(0)
	v_cmp_gt_i32_e32 vcc, s24, v16
	s_and_saveexec_b64 s[0:1], vcc
	s_cbranch_execz .LBB96_30
; %bb.1:
	s_load_dwordx4 s[0:3], s[4:5], 0x0
	s_load_dwordx2 s[6:7], s[4:5], 0x10
	s_mov_b64 s[8:9], -1
	s_mov_b64 s[16:17], -1
	s_waitcnt lgkmcnt(0)
	s_cmp_eq_u64 s[2:3], 0
	s_cbranch_scc1 .LBB96_3
; %bb.2:
	v_ashrrev_i32_e32 v1, 31, v16
	v_mov_b32_e32 v3, s3
	v_add_co_u32_e32 v2, vcc, s2, v16
	v_addc_co_u32_e32 v3, vcc, v3, v1, vcc
	global_load_ubyte v1, v[2:3], off
	s_waitcnt vmcnt(0)
	v_and_b32_e32 v1, 1, v1
	v_cmp_eq_u32_e32 vcc, 1, v1
	s_xor_b64 s[2:3], vcc, -1
	s_orn2_b64 s[16:17], s[2:3], exec
.LBB96_3:
	v_lshlrev_b32_e32 v2, 4, v16
	v_ashrrev_i32_e32 v3, 31, v2
	v_lshlrev_b64 v[2:3], 1, v[2:3]
	v_mov_b32_e32 v1, s1
	v_add_co_u32_e32 v2, vcc, s0, v2
	v_and_b32_e32 v17, 1, v0
	v_addc_co_u32_e32 v1, vcc, v1, v3, vcc
	v_lshlrev_b32_e32 v0, 4, v17
	v_add_co_u32_e32 v0, vcc, v2, v0
	v_addc_co_u32_e32 v1, vcc, 0, v1, vcc
	global_load_dwordx4 v[0:3], v[0:1], off
	v_mbcnt_lo_u32_b32 v4, -1, 0
	v_mbcnt_hi_u32_b32 v4, -1, v4
	v_and_b32_e32 v6, 0x7e, v4
	v_xor_b32_e32 v5, 1, v4
	v_add_u32_e32 v6, 2, v6
	v_cmp_lt_i32_e32 vcc, v5, v6
	v_cndmask_b32_e32 v4, v4, v5, vcc
	v_lshlrev_b32_e32 v18, 2, v4
	s_mov_b32 s2, 0x3fb8aa3b
	s_mov_b32 s0, 0xc2ce8ed0
	;; [unrolled: 1-line block ×3, first 2 shown]
	v_mov_b32_e32 v10, 0x7f800000
	s_waitcnt vmcnt(0)
	v_cvt_f32_f16_e32 v6, v0
	v_cvt_f32_f16_sdwa v7, v0 dst_sel:DWORD dst_unused:UNUSED_PAD src0_sel:WORD_1
	v_cvt_f32_f16_e32 v8, v1
	v_cvt_f32_f16_sdwa v4, v1 dst_sel:DWORD dst_unused:UNUSED_PAD src0_sel:WORD_1
	;; [unrolled: 2-line block ×3, first 2 shown]
	v_cvt_f32_f16_sdwa v9, v3 dst_sel:DWORD dst_unused:UNUSED_PAD src0_sel:WORD_1
	v_cvt_f32_f16_e32 v1, v3
	v_max_f32_e32 v2, v6, v7
	v_max3_f32 v2, v2, v8, v4
	v_max3_f32 v2, v2, v5, v0
	v_max3_f32 v2, v2, v1, v9
	ds_bpermute_b32 v3, v18, v2
	s_waitcnt lgkmcnt(0)
	v_max_f32_e32 v3, v3, v3
	v_max_f32_e32 v2, v2, v3
	v_pk_add_f32 v[6:7], v[6:7], v[2:3] op_sel_hi:[1,0] neg_lo:[0,1] neg_hi:[0,1]
	v_sub_f32_e32 v3, v8, v2
	v_mul_f32_e32 v8, 0x3fb8aa3b, v7
	v_mul_f32_e32 v11, 0x3fb8aa3b, v6
	v_fma_f32 v19, v7, s2, -v8
	v_rndne_f32_e32 v20, v8
	v_pk_add_f32 v[4:5], v[4:5], v[2:3] op_sel_hi:[1,0] neg_lo:[0,1] neg_hi:[0,1]
	v_mul_f32_e32 v12, 0x3fb8aa3b, v3
	v_fma_f32 v21, v6, s2, -v11
	v_rndne_f32_e32 v22, v11
	v_fmac_f32_e32 v19, 0x32a5705f, v7
	v_sub_f32_e32 v8, v8, v20
	v_mul_f32_e32 v13, 0x3fb8aa3b, v5
	v_fma_f32 v23, v3, s2, -v12
	v_rndne_f32_e32 v24, v12
	v_fmac_f32_e32 v21, 0x32a5705f, v6
	v_sub_f32_e32 v11, v11, v22
	v_add_f32_e32 v8, v8, v19
	v_mul_f32_e32 v14, 0x3fb8aa3b, v4
	v_fma_f32 v25, v5, s2, -v13
	v_rndne_f32_e32 v26, v13
	v_cvt_i32_f32_e32 v20, v20
	v_fmac_f32_e32 v23, 0x32a5705f, v3
	v_sub_f32_e32 v12, v12, v24
	v_add_f32_e32 v11, v11, v21
	v_exp_f32_e32 v8, v8
	v_fma_f32 v27, v4, s2, -v14
	v_rndne_f32_e32 v28, v14
	v_cvt_i32_f32_e32 v22, v22
	v_fmac_f32_e32 v25, 0x32a5705f, v5
	v_sub_f32_e32 v13, v13, v26
	v_add_f32_e32 v12, v12, v23
	v_exp_f32_e32 v11, v11
	v_cvt_i32_f32_e32 v24, v24
	v_fmac_f32_e32 v27, 0x32a5705f, v4
	v_sub_f32_e32 v14, v14, v28
	v_add_f32_e32 v13, v13, v25
	v_exp_f32_e32 v12, v12
	v_cvt_i32_f32_e32 v26, v26
	v_add_f32_e32 v14, v14, v27
	v_exp_f32_e32 v13, v13
	v_cvt_i32_f32_e32 v28, v28
	v_exp_f32_e32 v14, v14
	v_ldexp_f32 v8, v8, v20
	v_cmp_ngt_f32_e32 vcc, s0, v7
	v_ldexp_f32 v11, v11, v22
	v_cndmask_b32_e32 v8, 0, v8, vcc
	v_cmp_ngt_f32_e32 vcc, s0, v6
	v_ldexp_f32 v12, v12, v24
	v_cndmask_b32_e32 v11, 0, v11, vcc
	;; [unrolled: 3-line block ×4, first 2 shown]
	v_cmp_ngt_f32_e32 vcc, s0, v4
	v_pk_add_f32 v[0:1], v[0:1], v[2:3] op_sel_hi:[1,0] neg_lo:[0,1] neg_hi:[0,1]
	v_cndmask_b32_e32 v14, 0, v14, vcc
	v_cmp_nlt_f32_e32 vcc, s1, v7
	v_mul_f32_e32 v15, 0x3fb8aa3b, v1
	v_cndmask_b32_e32 v7, v10, v8, vcc
	v_cmp_nlt_f32_e32 vcc, s1, v6
	v_fma_f32 v29, v1, s2, -v15
	v_cndmask_b32_e32 v6, v10, v11, vcc
	v_cmp_nlt_f32_e32 vcc, s1, v3
	v_rndne_f32_e32 v11, v15
	v_fmac_f32_e32 v29, 0x32a5705f, v1
	v_cndmask_b32_e32 v3, v10, v12, vcc
	v_sub_f32_e32 v12, v15, v11
	v_add_f32_e32 v12, v12, v29
	v_exp_f32_e32 v12, v12
	v_cvt_i32_f32_e32 v11, v11
	v_cmp_nlt_f32_e32 vcc, s1, v5
	v_cndmask_b32_e32 v5, v10, v13, vcc
	v_cmp_nlt_f32_e32 vcc, s1, v4
	v_ldexp_f32 v11, v12, v11
	v_mul_f32_e32 v12, 0x3fb8aa3b, v0
	v_cndmask_b32_e32 v4, v10, v14, vcc
	v_fma_f32 v13, v0, s2, -v12
	v_rndne_f32_e32 v14, v12
	v_fmac_f32_e32 v13, 0x32a5705f, v0
	v_sub_f32_e32 v12, v12, v14
	v_add_f32_e32 v12, v12, v13
	v_exp_f32_e32 v12, v12
	v_cvt_i32_f32_e32 v13, v14
	v_cmp_ngt_f32_e32 vcc, s0, v1
	v_sub_f32_e32 v2, v9, v2
	v_cndmask_b32_e32 v11, 0, v11, vcc
	v_cmp_nlt_f32_e32 vcc, s1, v1
	v_mul_f32_e32 v9, 0x3fb8aa3b, v2
	v_cndmask_b32_e32 v1, v10, v11, vcc
	v_ldexp_f32 v11, v12, v13
	v_fma_f32 v12, v2, s2, -v9
	v_rndne_f32_e32 v13, v9
	v_fmac_f32_e32 v12, 0x32a5705f, v2
	v_sub_f32_e32 v9, v9, v13
	v_add_f32_e32 v9, v9, v12
	v_exp_f32_e32 v9, v9
	v_cvt_i32_f32_e32 v12, v13
	v_add_f32_e32 v8, v6, v7
	v_add_f32_e32 v8, v8, v3
	v_cmp_ngt_f32_e32 vcc, s0, v0
	v_add_f32_e32 v8, v8, v4
	v_cndmask_b32_e32 v11, 0, v11, vcc
	v_cmp_nlt_f32_e32 vcc, s1, v0
	v_add_f32_e32 v8, v8, v5
	v_cndmask_b32_e32 v0, v10, v11, vcc
	v_ldexp_f32 v9, v9, v12
	v_cmp_ngt_f32_e32 vcc, s0, v2
	v_add_f32_e32 v8, v8, v0
	v_cndmask_b32_e32 v9, 0, v9, vcc
	v_cmp_nlt_f32_e32 vcc, s1, v2
	v_add_f32_e32 v8, v8, v1
	v_cndmask_b32_e32 v10, v10, v9, vcc
	v_add_f32_e32 v2, v8, v10
	ds_bpermute_b32 v8, v18, v2
	s_movk_i32 s2, 0x1f8
	v_lshlrev_b32_e32 v19, 3, v17
	s_waitcnt lgkmcnt(0)
	v_add_f32_e32 v2, v2, v8
	v_div_scale_f32 v8, s[0:1], v2, v2, 1.0
	v_rcp_f32_e32 v9, v8
	s_load_dwordx2 s[0:1], s[4:5], 0x40
	v_fma_f32 v11, -v8, v9, 1.0
	v_fmac_f32_e32 v9, v11, v9
	v_div_scale_f32 v11, vcc, 1.0, v2, 1.0
	v_mul_f32_e32 v12, v11, v9
	v_fma_f32 v13, -v8, v12, v11
	v_fmac_f32_e32 v12, v13, v9
	v_fma_f32 v8, -v8, v12, v11
	v_div_fmas_f32 v8, v8, v9, v12
	v_div_fixup_f32 v2, v8, v2, 1.0
	v_mul_f32_e32 v11, v2, v6
	v_mul_f32_e32 v12, v2, v7
	;; [unrolled: 1-line block ×3, first 2 shown]
	v_cmp_class_f32_e64 vcc, v11, s2
	v_pk_mul_f32 v[8:9], v[2:3], v[0:1] op_sel_hi:[0,1]
	v_cndmask_b32_e32 v0, 0, v11, vcc
	v_cmp_class_f32_e64 vcc, v12, s2
	v_pk_mul_f32 v[6:7], v[2:3], v[4:5] op_sel_hi:[0,1]
	v_cndmask_b32_e32 v1, 0, v12, vcc
	v_cmp_class_f32_e64 vcc, v3, s2
	v_mov_b32_e32 v5, 0x207
	v_mul_f32_e32 v10, v2, v10
	v_cndmask_b32_e32 v2, 0, v3, vcc
	v_cmp_class_f32_e32 vcc, v7, v5
	v_cndmask_b32_e64 v4, v7, 0, vcc
	v_cmp_class_f32_e32 vcc, v6, v5
	v_cndmask_b32_e64 v3, v6, 0, vcc
	v_cmp_class_f32_e32 vcc, v9, v5
	v_cndmask_b32_e64 v6, v9, 0, vcc
	v_cmp_class_f32_e32 vcc, v8, v5
	v_cndmask_b32_e64 v5, v8, 0, vcc
	v_cmp_class_f32_e64 vcc, v10, s2
	s_waitcnt lgkmcnt(0)
	s_cmp_eq_u64 s[0:1], 0
	v_cndmask_b32_e32 v7, 0, v10, vcc
	s_cbranch_scc1 .LBB96_19
; %bb.4:
	v_lshlrev_b32_e32 v20, 2, v19
	global_load_dwordx4 v[8:11], v20, s[0:1]
	global_load_dwordx4 v[12:15], v20, s[0:1] offset:16
	s_waitcnt vmcnt(1)
	v_pk_add_f32 v[8:9], v[8:9], v[0:1]
	v_pk_add_f32 v[10:11], v[10:11], v[2:3]
	s_waitcnt vmcnt(0)
	v_pk_add_f32 v[12:13], v[12:13], v[4:5]
	v_pk_add_f32 v[14:15], v[14:15], v[6:7]
	s_cbranch_execnz .LBB96_6
.LBB96_5:
	v_pk_mov_b32 v[14:15], v[6:7], v[6:7] op_sel:[0,1]
	v_pk_mov_b32 v[12:13], v[4:5], v[4:5] op_sel:[0,1]
	;; [unrolled: 1-line block ×4, first 2 shown]
.LBB96_6:
	s_load_dwordx4 s[8:11], s[4:5], 0x30
	s_mov_b32 s25, 0
	v_cmp_eq_u32_e64 s[0:1], 0, v17
	s_waitcnt lgkmcnt(0)
	s_bitcmp1_b32 s11, 0
	s_cselect_b64 vcc, -1, 0
	s_cmp_gt_i32 s8, 0
	s_cselect_b64 s[18:19], -1, 0
	s_cmp_lt_i32 s8, 1
	s_cbranch_scc1 .LBB96_20
; %bb.7:
	s_load_dwordx4 s[12:15], s[4:5], 0x20
	v_mul_lo_u32 v21, v16, s8
	v_mov_b32_e32 v20, 0
	v_mov_b32_e32 v22, 0xc61c4000
	;; [unrolled: 1-line block ×3, first 2 shown]
	s_branch .LBB96_10
.LBB96_8:                               ;   in Loop: Header=BB96_10 Depth=1
	s_or_b64 exec, exec, s[4:5]
.LBB96_9:                               ;   in Loop: Header=BB96_10 Depth=1
	s_cmp_eq_u32 s8, s25
	v_add_u32_e32 v23, s24, v23
	s_cbranch_scc1 .LBB96_21
.LBB96_10:                              ; =>This Inner Loop Header: Depth=1
	v_cmp_gt_f32_e64 s[2:3], v9, v8
	v_cndmask_b32_e64 v24, v8, v9, s[2:3]
	v_cndmask_b32_e64 v25, v0, v1, s[2:3]
	v_cndmask_b32_e64 v26, 0, 1, s[2:3]
	v_cmp_gt_f32_e64 s[2:3], v10, v24
	v_cndmask_b32_e64 v24, v24, v10, s[2:3]
	v_cndmask_b32_e64 v25, v25, v2, s[2:3]
	v_cndmask_b32_e64 v26, v26, 2, s[2:3]
	;; [unrolled: 4-line block ×7, first 2 shown]
	v_or_b32_e32 v24, v19, v24
	ds_bpermute_b32 v29, v18, v28
	ds_bpermute_b32 v27, v18, v25
	ds_bpermute_b32 v26, v18, v24
	s_waitcnt lgkmcnt(0)
	v_cmp_lt_f32_e64 s[20:21], v28, v29
	v_cmp_nlt_f32_e64 s[2:3], v28, v29
	s_and_saveexec_b64 s[22:23], s[2:3]
	s_cbranch_execnz .LBB96_14
; %bb.11:                               ;   in Loop: Header=BB96_10 Depth=1
	s_or_b64 exec, exec, s[22:23]
	s_and_saveexec_b64 s[2:3], s[20:21]
	s_cbranch_execnz .LBB96_15
.LBB96_12:                              ;   in Loop: Header=BB96_10 Depth=1
	s_or_b64 exec, exec, s[2:3]
	s_and_saveexec_b64 s[20:21], s[0:1]
	s_cbranch_execnz .LBB96_16
.LBB96_13:                              ;   in Loop: Header=BB96_10 Depth=1
	s_or_b64 exec, exec, s[20:21]
	s_add_i32 s25, s25, 1
	s_cmp_ge_i32 s25, s8
	s_cbranch_scc1 .LBB96_9
	s_branch .LBB96_17
.LBB96_14:                              ;   in Loop: Header=BB96_10 Depth=1
	v_cmp_eq_f32_e64 s[2:3], v28, v29
	v_cmp_lt_i32_e64 s[4:5], v26, v24
	s_and_b64 s[2:3], s[2:3], s[4:5]
	s_andn2_b64 s[4:5], s[20:21], exec
	s_and_b64 s[2:3], s[2:3], exec
	s_or_b64 s[20:21], s[4:5], s[2:3]
	s_or_b64 exec, exec, s[22:23]
	s_and_saveexec_b64 s[2:3], s[20:21]
	s_cbranch_execz .LBB96_12
.LBB96_15:                              ;   in Loop: Header=BB96_10 Depth=1
	v_mov_b32_e32 v25, v27
	v_mov_b32_e32 v24, v26
	s_or_b64 exec, exec, s[2:3]
	s_and_saveexec_b64 s[20:21], s[0:1]
	s_cbranch_execz .LBB96_13
.LBB96_16:                              ;   in Loop: Header=BB96_10 Depth=1
	v_add_u32_e32 v26, s25, v21
	v_ashrrev_i32_e32 v27, 31, v26
	v_cmp_le_i32_e64 s[2:3], s9, v24
	v_cmp_gt_i32_e64 s[4:5], s10, v24
	v_lshlrev_b64 v[26:27], 2, v[26:27]
	s_and_b64 s[4:5], s[2:3], s[4:5]
	v_mov_b32_e32 v29, s7
	v_add_co_u32_e64 v28, s[2:3], s6, v26
	v_addc_co_u32_e64 v29, s[2:3], v29, v27, s[2:3]
	global_store_dword v[28:29], v25, off
	v_subrev_u32_e32 v28, s9, v24
	s_and_b64 s[2:3], s[16:17], s[4:5]
	v_cndmask_b32_e64 v30, 16, v28, s[2:3]
	v_mov_b32_e32 v29, s13
	v_add_co_u32_e64 v28, s[2:3], s12, v26
	v_addc_co_u32_e64 v29, s[2:3], v29, v27, s[2:3]
	global_store_dword v[28:29], v30, off
	v_mov_b32_e32 v28, s15
	v_add_co_u32_e64 v26, s[2:3], s14, v26
	v_add_f32_e32 v25, v20, v25
	v_addc_co_u32_e64 v27, s[2:3], v28, v27, s[2:3]
	v_cndmask_b32_e32 v20, v20, v25, vcc
	global_store_dword v[26:27], v23, off
	s_or_b64 exec, exec, s[20:21]
	s_add_i32 s25, s25, 1
	s_cmp_ge_i32 s25, s8
	s_cbranch_scc1 .LBB96_9
.LBB96_17:                              ;   in Loop: Header=BB96_10 Depth=1
	v_ashrrev_i32_e32 v26, 31, v24
	v_lshrrev_b32_e32 v25, 29, v26
	v_add_u32_e32 v27, v24, v25
	v_ashrrev_i32_e32 v25, 3, v27
	v_lshrrev_b32_e32 v27, 31, v27
	v_add_u32_e32 v27, v25, v27
	v_and_b32_e32 v27, -2, v27
	v_sub_u32_e32 v27, v25, v27
	v_cmp_eq_u32_e64 s[2:3], v17, v27
	s_and_saveexec_b64 s[4:5], s[2:3]
	s_cbranch_execz .LBB96_8
; %bb.18:                               ;   in Loop: Header=BB96_10 Depth=1
	v_lshrrev_b32_e32 v26, 28, v26
	v_add_u32_e32 v26, v24, v26
	v_lshlrev_b32_e32 v25, 3, v25
	v_ashrrev_i32_e32 v26, 4, v26
	v_sub_u32_e32 v24, v24, v25
	v_lshl_add_u32 v24, v26, 3, v24
	v_cmp_ne_u32_e64 s[2:3], 7, v24
	v_cndmask_b32_e64 v15, v22, v15, s[2:3]
	v_cmp_ne_u32_e64 s[2:3], 6, v24
	v_cndmask_b32_e64 v14, v22, v14, s[2:3]
	;; [unrolled: 2-line block ×8, first 2 shown]
	s_branch .LBB96_8
.LBB96_19:
                                        ; implicit-def: $vgpr8_vgpr9_vgpr10_vgpr11_vgpr12_vgpr13_vgpr14_vgpr15
	s_andn2_b64 vcc, exec, s[8:9]
	s_cbranch_vccz .LBB96_5
	s_branch .LBB96_6
.LBB96_20:
	v_mov_b32_e32 v20, 0
.LBB96_21:
	v_cmp_eq_u32_e64 s[0:1], 0, v17
	s_and_b64 s[0:1], s[0:1], vcc
	s_and_b64 exec, exec, s[0:1]
	s_cbranch_execz .LBB96_30
; %bb.22:
	s_andn2_b64 vcc, exec, s[18:19]
	s_cbranch_vccnz .LBB96_30
; %bb.23:
	v_cmp_lt_f32_e32 vcc, 0, v20
	s_mov_b32 s2, 0
	v_cndmask_b32_e32 v0, 1.0, v20, vcc
	v_mul_lo_u32 v4, v16, s8
	s_cmp_eq_u32 s8, 1
	s_mov_b64 s[0:1], -1
	s_cbranch_scc1 .LBB96_27
; %bb.24:
	s_and_b32 s2, s8, 0x7ffffffe
	v_mov_b32_e32 v1, v0
	v_mov_b32_e32 v5, s7
	s_mov_b32 s3, s2
	v_mov_b32_e32 v2, v4
.LBB96_25:                              ; =>This Inner Loop Header: Depth=1
	v_ashrrev_i32_e32 v3, 31, v2
	v_lshlrev_b64 v[6:7], 2, v[2:3]
	v_add_co_u32_e32 v6, vcc, s6, v6
	v_addc_co_u32_e32 v7, vcc, v5, v7, vcc
	global_load_dwordx2 v[8:9], v[6:7], off
	s_add_i32 s3, s3, -2
	s_cmp_lg_u32 s3, 0
	v_add_u32_e32 v2, 2, v2
	s_waitcnt vmcnt(0)
	v_div_scale_f32 v3, s[0:1], v1, v1, v9
	v_div_scale_f32 v11, s[0:1], v0, v0, v8
	v_rcp_f32_e32 v12, v3
	v_rcp_f32_e32 v13, v11
	v_div_scale_f32 v10, vcc, v9, v1, v9
	v_fma_f32 v15, -v3, v12, 1.0
	v_fma_f32 v16, -v11, v13, 1.0
	v_fmac_f32_e32 v12, v15, v12
	v_div_scale_f32 v14, s[0:1], v8, v0, v8
	v_fmac_f32_e32 v13, v16, v13
	v_mul_f32_e32 v15, v10, v12
	v_mul_f32_e32 v16, v14, v13
	v_fma_f32 v17, -v3, v15, v10
	v_fma_f32 v18, -v11, v16, v14
	v_fmac_f32_e32 v15, v17, v12
	v_fmac_f32_e32 v16, v18, v13
	v_fma_f32 v3, -v3, v15, v10
	v_fma_f32 v10, -v11, v16, v14
	v_div_fmas_f32 v3, v3, v12, v15
	s_mov_b64 vcc, s[0:1]
	v_div_fixup_f32 v9, v3, v1, v9
	v_div_fmas_f32 v3, v10, v13, v16
	v_div_fixup_f32 v8, v3, v0, v8
	global_store_dwordx2 v[6:7], v[8:9], off
	s_cbranch_scc1 .LBB96_25
; %bb.26:
	s_cmp_lg_u32 s2, s8
	s_cselect_b64 s[0:1], -1, 0
.LBB96_27:
	s_and_b64 vcc, exec, s[0:1]
	s_cbranch_vccz .LBB96_30
; %bb.28:
	v_ashrrev_i32_e32 v1, 31, v4
	v_add_co_u32_e32 v2, vcc, s2, v4
	v_addc_co_u32_e32 v3, vcc, 0, v1, vcc
	v_lshlrev_b64 v[2:3], 2, v[2:3]
	v_mov_b32_e32 v1, s7
	v_add_co_u32_e32 v2, vcc, s6, v2
	s_sub_i32 s0, s8, s2
	v_addc_co_u32_e32 v3, vcc, v1, v3, vcc
.LBB96_29:                              ; =>This Inner Loop Header: Depth=1
	global_load_dword v1, v[2:3], off
	s_add_i32 s0, s0, -1
	s_cmp_lg_u32 s0, 0
	s_waitcnt vmcnt(0)
	v_div_scale_f32 v4, s[2:3], v0, v0, v1
	v_rcp_f32_e32 v5, v4
	v_div_scale_f32 v6, vcc, v1, v0, v1
	v_fma_f32 v7, -v4, v5, 1.0
	v_fmac_f32_e32 v5, v7, v5
	v_mul_f32_e32 v7, v6, v5
	v_fma_f32 v8, -v4, v7, v6
	v_fmac_f32_e32 v7, v8, v5
	v_fma_f32 v4, -v4, v7, v6
	v_div_fmas_f32 v4, v4, v5, v7
	v_div_fixup_f32 v1, v4, v0, v1
	global_store_dword v[2:3], v1, off
	v_add_co_u32_e32 v2, vcc, 4, v2
	v_addc_co_u32_e32 v3, vcc, 0, v3, vcc
	s_cbranch_scc1 .LBB96_29
.LBB96_30:
	s_endpgm
	.section	.rodata,"a",@progbits
	.p2align	6, 0x0
	.amdhsa_kernel _ZN4vllm3moe10topkGatingILi8ELi16ELi4ELi16ELi32Ej6__halfLNS0_11ScoringFuncE0EEEvPKT5_PKbPfiPT4_PiiiibPKf
		.amdhsa_group_segment_fixed_size 0
		.amdhsa_private_segment_fixed_size 0
		.amdhsa_kernarg_size 72
		.amdhsa_user_sgpr_count 6
		.amdhsa_user_sgpr_private_segment_buffer 1
		.amdhsa_user_sgpr_dispatch_ptr 0
		.amdhsa_user_sgpr_queue_ptr 0
		.amdhsa_user_sgpr_kernarg_segment_ptr 1
		.amdhsa_user_sgpr_dispatch_id 0
		.amdhsa_user_sgpr_flat_scratch_init 0
		.amdhsa_user_sgpr_kernarg_preload_length 0
		.amdhsa_user_sgpr_kernarg_preload_offset 0
		.amdhsa_user_sgpr_private_segment_size 0
		.amdhsa_uses_dynamic_stack 0
		.amdhsa_system_sgpr_private_segment_wavefront_offset 0
		.amdhsa_system_sgpr_workgroup_id_x 1
		.amdhsa_system_sgpr_workgroup_id_y 0
		.amdhsa_system_sgpr_workgroup_id_z 0
		.amdhsa_system_sgpr_workgroup_info 0
		.amdhsa_system_vgpr_workitem_id 1
		.amdhsa_next_free_vgpr 31
		.amdhsa_next_free_sgpr 26
		.amdhsa_accum_offset 32
		.amdhsa_reserve_vcc 1
		.amdhsa_reserve_flat_scratch 0
		.amdhsa_float_round_mode_32 0
		.amdhsa_float_round_mode_16_64 0
		.amdhsa_float_denorm_mode_32 3
		.amdhsa_float_denorm_mode_16_64 3
		.amdhsa_dx10_clamp 1
		.amdhsa_ieee_mode 1
		.amdhsa_fp16_overflow 0
		.amdhsa_tg_split 0
		.amdhsa_exception_fp_ieee_invalid_op 0
		.amdhsa_exception_fp_denorm_src 0
		.amdhsa_exception_fp_ieee_div_zero 0
		.amdhsa_exception_fp_ieee_overflow 0
		.amdhsa_exception_fp_ieee_underflow 0
		.amdhsa_exception_fp_ieee_inexact 0
		.amdhsa_exception_int_div_zero 0
	.end_amdhsa_kernel
	.section	.text._ZN4vllm3moe10topkGatingILi8ELi16ELi4ELi16ELi32Ej6__halfLNS0_11ScoringFuncE0EEEvPKT5_PKbPfiPT4_PiiiibPKf,"axG",@progbits,_ZN4vllm3moe10topkGatingILi8ELi16ELi4ELi16ELi32Ej6__halfLNS0_11ScoringFuncE0EEEvPKT5_PKbPfiPT4_PiiiibPKf,comdat
.Lfunc_end96:
	.size	_ZN4vllm3moe10topkGatingILi8ELi16ELi4ELi16ELi32Ej6__halfLNS0_11ScoringFuncE0EEEvPKT5_PKbPfiPT4_PiiiibPKf, .Lfunc_end96-_ZN4vllm3moe10topkGatingILi8ELi16ELi4ELi16ELi32Ej6__halfLNS0_11ScoringFuncE0EEEvPKT5_PKbPfiPT4_PiiiibPKf
                                        ; -- End function
	.section	.AMDGPU.csdata,"",@progbits
; Kernel info:
; codeLenInByte = 2648
; NumSgprs: 30
; NumVgprs: 31
; NumAgprs: 0
; TotalNumVgprs: 31
; ScratchSize: 0
; MemoryBound: 0
; FloatMode: 240
; IeeeMode: 1
; LDSByteSize: 0 bytes/workgroup (compile time only)
; SGPRBlocks: 3
; VGPRBlocks: 3
; NumSGPRsForWavesPerEU: 30
; NumVGPRsForWavesPerEU: 31
; AccumOffset: 32
; Occupancy: 8
; WaveLimiterHint : 0
; COMPUTE_PGM_RSRC2:SCRATCH_EN: 0
; COMPUTE_PGM_RSRC2:USER_SGPR: 6
; COMPUTE_PGM_RSRC2:TRAP_HANDLER: 0
; COMPUTE_PGM_RSRC2:TGID_X_EN: 1
; COMPUTE_PGM_RSRC2:TGID_Y_EN: 0
; COMPUTE_PGM_RSRC2:TGID_Z_EN: 0
; COMPUTE_PGM_RSRC2:TIDIG_COMP_CNT: 1
; COMPUTE_PGM_RSRC3_GFX90A:ACCUM_OFFSET: 7
; COMPUTE_PGM_RSRC3_GFX90A:TG_SPLIT: 0
	.section	.text._ZN4vllm3moe10topkGatingILi8ELi32ELi4ELi16ELi64Ej6__halfLNS0_11ScoringFuncE0EEEvPKT5_PKbPfiPT4_PiiiibPKf,"axG",@progbits,_ZN4vllm3moe10topkGatingILi8ELi32ELi4ELi16ELi64Ej6__halfLNS0_11ScoringFuncE0EEEvPKT5_PKbPfiPT4_PiiiibPKf,comdat
	.protected	_ZN4vllm3moe10topkGatingILi8ELi32ELi4ELi16ELi64Ej6__halfLNS0_11ScoringFuncE0EEEvPKT5_PKbPfiPT4_PiiiibPKf ; -- Begin function _ZN4vllm3moe10topkGatingILi8ELi32ELi4ELi16ELi64Ej6__halfLNS0_11ScoringFuncE0EEEvPKT5_PKbPfiPT4_PiiiibPKf
	.globl	_ZN4vllm3moe10topkGatingILi8ELi32ELi4ELi16ELi64Ej6__halfLNS0_11ScoringFuncE0EEEvPKT5_PKbPfiPT4_PiiiibPKf
	.p2align	8
	.type	_ZN4vllm3moe10topkGatingILi8ELi32ELi4ELi16ELi64Ej6__halfLNS0_11ScoringFuncE0EEEvPKT5_PKbPfiPT4_PiiiibPKf,@function
_ZN4vllm3moe10topkGatingILi8ELi32ELi4ELi16ELi64Ej6__halfLNS0_11ScoringFuncE0EEEvPKT5_PKbPfiPT4_PiiiibPKf: ; @_ZN4vllm3moe10topkGatingILi8ELi32ELi4ELi16ELi64Ej6__halfLNS0_11ScoringFuncE0EEEvPKT5_PKbPfiPT4_PiiiibPKf
; %bb.0:
	s_load_dword s22, s[4:5], 0x18
	v_bfe_u32 v1, v0, 10, 10
	v_and_b32_e32 v0, 0x3ff, v0
	s_lshl_b32 s0, s6, 6
	v_lshlrev_b32_e32 v1, 4, v1
	v_lshrrev_b32_e32 v2, 2, v0
	v_add3_u32 v16, s0, v1, v2
	s_waitcnt lgkmcnt(0)
	v_cmp_gt_i32_e32 vcc, s22, v16
	s_and_saveexec_b64 s[0:1], vcc
	s_cbranch_execz .LBB97_26
; %bb.1:
	s_load_dwordx4 s[0:3], s[4:5], 0x0
	s_load_dwordx2 s[16:17], s[4:5], 0x10
	s_mov_b64 s[6:7], -1
	s_mov_b64 s[18:19], -1
	s_waitcnt lgkmcnt(0)
	s_cmp_eq_u64 s[2:3], 0
	s_cbranch_scc1 .LBB97_3
; %bb.2:
	v_ashrrev_i32_e32 v1, 31, v16
	v_mov_b32_e32 v3, s3
	v_add_co_u32_e32 v2, vcc, s2, v16
	v_addc_co_u32_e32 v3, vcc, v3, v1, vcc
	global_load_ubyte v1, v[2:3], off
	s_waitcnt vmcnt(0)
	v_and_b32_e32 v1, 1, v1
	v_cmp_eq_u32_e32 vcc, 1, v1
	s_xor_b64 s[2:3], vcc, -1
	s_orn2_b64 s[18:19], s[2:3], exec
.LBB97_3:
	v_lshlrev_b32_e32 v2, 5, v16
	v_ashrrev_i32_e32 v3, 31, v2
	v_lshlrev_b64 v[2:3], 1, v[2:3]
	v_mov_b32_e32 v1, s1
	v_add_co_u32_e32 v2, vcc, s0, v2
	v_and_b32_e32 v17, 3, v0
	v_addc_co_u32_e32 v1, vcc, v1, v3, vcc
	v_lshlrev_b32_e32 v0, 4, v17
	v_add_co_u32_e32 v0, vcc, v2, v0
	v_addc_co_u32_e32 v1, vcc, 0, v1, vcc
	global_load_dwordx4 v[0:3], v[0:1], off
	v_mbcnt_lo_u32_b32 v4, -1, 0
	v_mbcnt_hi_u32_b32 v8, -1, v4
	v_and_b32_e32 v4, 0x7c, v8
	v_xor_b32_e32 v5, 2, v8
	v_add_u32_e32 v9, 4, v4
	v_cmp_lt_i32_e32 vcc, v5, v9
	v_cndmask_b32_e32 v4, v8, v5, vcc
	v_lshlrev_b32_e32 v18, 2, v4
	v_xor_b32_e32 v12, 1, v8
	v_cmp_lt_i32_e32 vcc, v12, v9
	v_cndmask_b32_e32 v8, v8, v12, vcc
	v_lshlrev_b32_e32 v19, 2, v8
	s_mov_b32 s2, 0x3fb8aa3b
	s_mov_b32 s0, 0xc2ce8ed0
	;; [unrolled: 1-line block ×3, first 2 shown]
	v_mov_b32_e32 v8, 0x7f800000
	s_waitcnt vmcnt(0)
	v_cvt_f32_f16_e32 v6, v0
	v_cvt_f32_f16_sdwa v7, v0 dst_sel:DWORD dst_unused:UNUSED_PAD src0_sel:WORD_1
	v_cvt_f32_f16_e32 v10, v1
	v_cvt_f32_f16_sdwa v4, v1 dst_sel:DWORD dst_unused:UNUSED_PAD src0_sel:WORD_1
	;; [unrolled: 2-line block ×3, first 2 shown]
	v_cvt_f32_f16_sdwa v11, v3 dst_sel:DWORD dst_unused:UNUSED_PAD src0_sel:WORD_1
	v_cvt_f32_f16_e32 v1, v3
	v_max_f32_e32 v2, v6, v7
	v_max3_f32 v2, v2, v10, v4
	v_max3_f32 v2, v2, v5, v0
	;; [unrolled: 1-line block ×3, first 2 shown]
	ds_bpermute_b32 v3, v18, v2
	s_waitcnt lgkmcnt(0)
	v_max_f32_e32 v3, v3, v3
	v_max_f32_e32 v2, v2, v3
	ds_bpermute_b32 v3, v19, v2
	s_waitcnt lgkmcnt(0)
	v_max_f32_e32 v3, v3, v3
	v_max_f32_e32 v2, v2, v3
	v_pk_add_f32 v[6:7], v[6:7], v[2:3] op_sel_hi:[1,0] neg_lo:[0,1] neg_hi:[0,1]
	v_mul_f32_e32 v9, 0x3fb8aa3b, v7
	v_sub_f32_e32 v3, v10, v2
	v_mul_f32_e32 v10, 0x3fb8aa3b, v6
	v_fma_f32 v20, v7, s2, -v9
	v_rndne_f32_e32 v21, v9
	v_pk_add_f32 v[4:5], v[4:5], v[2:3] op_sel_hi:[1,0] neg_lo:[0,1] neg_hi:[0,1]
	v_mul_f32_e32 v12, 0x3fb8aa3b, v3
	v_fma_f32 v22, v6, s2, -v10
	v_rndne_f32_e32 v23, v10
	v_fmac_f32_e32 v20, 0x32a5705f, v7
	v_sub_f32_e32 v9, v9, v21
	v_mul_f32_e32 v13, 0x3fb8aa3b, v5
	v_fma_f32 v24, v3, s2, -v12
	v_rndne_f32_e32 v25, v12
	v_fmac_f32_e32 v22, 0x32a5705f, v6
	v_sub_f32_e32 v10, v10, v23
	v_add_f32_e32 v9, v9, v20
	v_mul_f32_e32 v14, 0x3fb8aa3b, v4
	v_fma_f32 v26, v5, s2, -v13
	v_rndne_f32_e32 v27, v13
	v_cvt_i32_f32_e32 v21, v21
	v_fmac_f32_e32 v24, 0x32a5705f, v3
	v_sub_f32_e32 v12, v12, v25
	v_add_f32_e32 v10, v10, v22
	v_exp_f32_e32 v9, v9
	v_fma_f32 v28, v4, s2, -v14
	v_rndne_f32_e32 v29, v14
	v_cvt_i32_f32_e32 v23, v23
	v_fmac_f32_e32 v26, 0x32a5705f, v5
	v_sub_f32_e32 v13, v13, v27
	v_add_f32_e32 v12, v12, v24
	v_exp_f32_e32 v10, v10
	v_cvt_i32_f32_e32 v25, v25
	v_fmac_f32_e32 v28, 0x32a5705f, v4
	v_sub_f32_e32 v14, v14, v29
	v_add_f32_e32 v13, v13, v26
	v_exp_f32_e32 v12, v12
	v_cvt_i32_f32_e32 v27, v27
	v_add_f32_e32 v14, v14, v28
	v_exp_f32_e32 v13, v13
	v_cvt_i32_f32_e32 v29, v29
	v_exp_f32_e32 v14, v14
	v_ldexp_f32 v9, v9, v21
	v_cmp_ngt_f32_e32 vcc, s0, v7
	v_ldexp_f32 v10, v10, v23
	v_cndmask_b32_e32 v9, 0, v9, vcc
	v_cmp_ngt_f32_e32 vcc, s0, v6
	v_ldexp_f32 v12, v12, v25
	v_cndmask_b32_e32 v10, 0, v10, vcc
	;; [unrolled: 3-line block ×4, first 2 shown]
	v_cmp_ngt_f32_e32 vcc, s0, v4
	v_pk_add_f32 v[0:1], v[0:1], v[2:3] op_sel_hi:[1,0] neg_lo:[0,1] neg_hi:[0,1]
	v_cndmask_b32_e32 v14, 0, v14, vcc
	v_cmp_nlt_f32_e32 vcc, s1, v7
	v_mul_f32_e32 v15, 0x3fb8aa3b, v1
	v_cndmask_b32_e32 v7, v8, v9, vcc
	v_cmp_nlt_f32_e32 vcc, s1, v6
	v_fma_f32 v30, v1, s2, -v15
	v_cndmask_b32_e32 v6, v8, v10, vcc
	v_cmp_nlt_f32_e32 vcc, s1, v3
	v_rndne_f32_e32 v10, v15
	v_fmac_f32_e32 v30, 0x32a5705f, v1
	v_cndmask_b32_e32 v3, v8, v12, vcc
	v_sub_f32_e32 v12, v15, v10
	v_add_f32_e32 v12, v12, v30
	v_exp_f32_e32 v12, v12
	v_cvt_i32_f32_e32 v10, v10
	v_cmp_nlt_f32_e32 vcc, s1, v5
	v_cndmask_b32_e32 v5, v8, v13, vcc
	v_cmp_nlt_f32_e32 vcc, s1, v4
	v_ldexp_f32 v10, v12, v10
	v_mul_f32_e32 v12, 0x3fb8aa3b, v0
	v_cndmask_b32_e32 v4, v8, v14, vcc
	v_fma_f32 v13, v0, s2, -v12
	v_rndne_f32_e32 v14, v12
	v_fmac_f32_e32 v13, 0x32a5705f, v0
	v_sub_f32_e32 v12, v12, v14
	v_add_f32_e32 v12, v12, v13
	v_exp_f32_e32 v12, v12
	v_cvt_i32_f32_e32 v13, v14
	v_cmp_ngt_f32_e32 vcc, s0, v1
	v_sub_f32_e32 v2, v11, v2
	v_cndmask_b32_e32 v10, 0, v10, vcc
	v_cmp_nlt_f32_e32 vcc, s1, v1
	v_mul_f32_e32 v11, 0x3fb8aa3b, v2
	v_cndmask_b32_e32 v1, v8, v10, vcc
	v_ldexp_f32 v10, v12, v13
	v_fma_f32 v12, v2, s2, -v11
	v_rndne_f32_e32 v13, v11
	v_fmac_f32_e32 v12, 0x32a5705f, v2
	v_sub_f32_e32 v11, v11, v13
	v_add_f32_e32 v11, v11, v12
	v_exp_f32_e32 v11, v11
	v_cvt_i32_f32_e32 v12, v13
	v_add_f32_e32 v9, v6, v7
	v_add_f32_e32 v9, v9, v3
	v_cmp_ngt_f32_e32 vcc, s0, v0
	v_add_f32_e32 v9, v9, v4
	v_cndmask_b32_e32 v10, 0, v10, vcc
	v_cmp_nlt_f32_e32 vcc, s1, v0
	v_add_f32_e32 v9, v9, v5
	v_cndmask_b32_e32 v0, v8, v10, vcc
	v_ldexp_f32 v10, v11, v12
	v_cmp_ngt_f32_e32 vcc, s0, v2
	v_add_f32_e32 v9, v9, v0
	v_cndmask_b32_e32 v10, 0, v10, vcc
	v_cmp_nlt_f32_e32 vcc, s1, v2
	v_add_f32_e32 v9, v9, v1
	v_cndmask_b32_e32 v10, v8, v10, vcc
	v_add_f32_e32 v2, v9, v10
	ds_bpermute_b32 v8, v18, v2
	s_movk_i32 s2, 0x1f8
	v_lshlrev_b32_e32 v20, 3, v17
	s_waitcnt lgkmcnt(0)
	v_add_f32_e32 v2, v2, v8
	ds_bpermute_b32 v8, v19, v2
	s_waitcnt lgkmcnt(0)
	v_add_f32_e32 v2, v2, v8
	v_div_scale_f32 v8, s[0:1], v2, v2, 1.0
	v_rcp_f32_e32 v9, v8
	s_load_dwordx2 s[0:1], s[4:5], 0x40
	v_fma_f32 v11, -v8, v9, 1.0
	v_fmac_f32_e32 v9, v11, v9
	v_div_scale_f32 v11, vcc, 1.0, v2, 1.0
	v_mul_f32_e32 v12, v11, v9
	v_fma_f32 v13, -v8, v12, v11
	v_fmac_f32_e32 v12, v13, v9
	v_fma_f32 v8, -v8, v12, v11
	v_div_fmas_f32 v8, v8, v9, v12
	v_div_fixup_f32 v2, v8, v2, 1.0
	v_mul_f32_e32 v11, v2, v6
	v_mul_f32_e32 v12, v2, v7
	v_mul_f32_e32 v3, v2, v3
	v_cmp_class_f32_e64 vcc, v11, s2
	v_pk_mul_f32 v[8:9], v[2:3], v[0:1] op_sel_hi:[0,1]
	v_cndmask_b32_e32 v0, 0, v11, vcc
	v_cmp_class_f32_e64 vcc, v12, s2
	v_pk_mul_f32 v[6:7], v[2:3], v[4:5] op_sel_hi:[0,1]
	v_cndmask_b32_e32 v1, 0, v12, vcc
	v_cmp_class_f32_e64 vcc, v3, s2
	v_mov_b32_e32 v5, 0x207
	v_mul_f32_e32 v10, v2, v10
	v_cndmask_b32_e32 v2, 0, v3, vcc
	v_cmp_class_f32_e32 vcc, v7, v5
	v_cndmask_b32_e64 v4, v7, 0, vcc
	v_cmp_class_f32_e32 vcc, v6, v5
	v_cndmask_b32_e64 v3, v6, 0, vcc
	v_cmp_class_f32_e32 vcc, v9, v5
	v_cndmask_b32_e64 v6, v9, 0, vcc
	v_cmp_class_f32_e32 vcc, v8, v5
	v_cndmask_b32_e64 v5, v8, 0, vcc
	v_cmp_class_f32_e64 vcc, v10, s2
	s_waitcnt lgkmcnt(0)
	s_cmp_eq_u64 s[0:1], 0
	v_cndmask_b32_e32 v7, 0, v10, vcc
	s_cbranch_scc1 .LBB97_15
; %bb.4:
	v_lshlrev_b32_e32 v21, 2, v20
	global_load_dwordx4 v[8:11], v21, s[0:1]
	global_load_dwordx4 v[12:15], v21, s[0:1] offset:16
	s_waitcnt vmcnt(1)
	v_pk_add_f32 v[8:9], v[8:9], v[0:1]
	v_pk_add_f32 v[10:11], v[10:11], v[2:3]
	s_waitcnt vmcnt(0)
	v_pk_add_f32 v[12:13], v[12:13], v[4:5]
	v_pk_add_f32 v[14:15], v[14:15], v[6:7]
	s_cbranch_execnz .LBB97_6
.LBB97_5:
	v_pk_mov_b32 v[14:15], v[6:7], v[6:7] op_sel:[0,1]
	v_pk_mov_b32 v[12:13], v[4:5], v[4:5] op_sel:[0,1]
	;; [unrolled: 1-line block ×4, first 2 shown]
.LBB97_6:
	s_load_dwordx4 s[8:11], s[4:5], 0x30
	s_mov_b32 s23, 0
	v_cmp_eq_u32_e64 s[0:1], 0, v17
	s_waitcnt lgkmcnt(0)
	s_bitcmp1_b32 s11, 0
	s_cselect_b64 vcc, -1, 0
	s_cmp_gt_i32 s8, 0
	s_cselect_b64 s[20:21], -1, 0
	s_cmp_lt_i32 s8, 1
	s_cbranch_scc1 .LBB97_16
; %bb.7:
	s_load_dwordx4 s[12:15], s[4:5], 0x20
	v_mul_lo_u32 v22, v16, s8
	v_mov_b32_e32 v21, 0
	v_mov_b32_e32 v23, 0xc61c4000
	;; [unrolled: 1-line block ×3, first 2 shown]
	s_branch .LBB97_10
.LBB97_8:                               ;   in Loop: Header=BB97_10 Depth=1
	s_or_b64 exec, exec, s[4:5]
.LBB97_9:                               ;   in Loop: Header=BB97_10 Depth=1
	s_cmp_eq_u32 s8, s23
	v_add_u32_e32 v24, s22, v24
	s_cbranch_scc1 .LBB97_17
.LBB97_10:                              ; =>This Inner Loop Header: Depth=1
	v_cmp_gt_f32_e64 s[2:3], v9, v8
	v_cndmask_b32_e64 v25, v8, v9, s[2:3]
	v_cndmask_b32_e64 v26, v0, v1, s[2:3]
	s_waitcnt lgkmcnt(0)
	v_cndmask_b32_e64 v27, 0, 1, s[2:3]
	v_cmp_gt_f32_e64 s[2:3], v10, v25
	v_cndmask_b32_e64 v25, v25, v10, s[2:3]
	v_cndmask_b32_e64 v26, v26, v2, s[2:3]
	v_cndmask_b32_e64 v27, v27, 2, s[2:3]
	v_cmp_gt_f32_e64 s[2:3], v11, v25
	v_cndmask_b32_e64 v25, v25, v11, s[2:3]
	v_cndmask_b32_e64 v26, v26, v3, s[2:3]
	;; [unrolled: 4-line block ×6, first 2 shown]
	v_or_b32_e32 v27, v20, v27
	ds_bpermute_b32 v28, v18, v25
	ds_bpermute_b32 v29, v18, v27
	v_cndmask_b32_e64 v26, v26, v7, s[2:3]
	ds_bpermute_b32 v30, v18, v26
	s_waitcnt lgkmcnt(0)
	v_cmp_eq_f32_e64 s[4:5], v25, v28
	v_cmp_lt_i32_e64 s[6:7], v29, v27
	v_cmp_lt_f32_e64 s[2:3], v25, v28
	s_and_b64 s[4:5], s[4:5], s[6:7]
	s_or_b64 s[2:3], s[2:3], s[4:5]
	v_cndmask_b32_e64 v29, v27, v29, s[2:3]
	v_cndmask_b32_e64 v25, v25, v28, s[2:3]
	ds_bpermute_b32 v28, v19, v25
	ds_bpermute_b32 v31, v19, v29
	v_cndmask_b32_e64 v26, v26, v30, s[2:3]
	ds_bpermute_b32 v27, v19, v26
	s_waitcnt lgkmcnt(2)
	v_cmp_eq_f32_e64 s[4:5], v25, v28
	s_waitcnt lgkmcnt(1)
	v_cmp_lt_i32_e64 s[6:7], v31, v29
	v_cmp_lt_f32_e64 s[2:3], v25, v28
	s_and_b64 s[4:5], s[4:5], s[6:7]
	s_or_b64 s[2:3], s[2:3], s[4:5]
	v_cndmask_b32_e64 v25, v29, v31, s[2:3]
	s_and_saveexec_b64 s[6:7], s[0:1]
	s_cbranch_execnz .LBB97_12
; %bb.11:                               ;   in Loop: Header=BB97_10 Depth=1
	s_or_b64 exec, exec, s[6:7]
	s_add_i32 s23, s23, 1
	s_cmp_ge_i32 s23, s8
	s_cbranch_scc1 .LBB97_9
	s_branch .LBB97_13
.LBB97_12:                              ;   in Loop: Header=BB97_10 Depth=1
	s_waitcnt lgkmcnt(0)
	v_cndmask_b32_e64 v30, v26, v27, s[2:3]
	v_add_u32_e32 v26, s23, v22
	v_ashrrev_i32_e32 v27, 31, v26
	v_cmp_le_i32_e64 s[2:3], s9, v25
	v_cmp_gt_i32_e64 s[4:5], s10, v25
	v_lshlrev_b64 v[26:27], 2, v[26:27]
	s_and_b64 s[4:5], s[2:3], s[4:5]
	v_mov_b32_e32 v29, s17
	v_add_co_u32_e64 v28, s[2:3], s16, v26
	v_addc_co_u32_e64 v29, s[2:3], v29, v27, s[2:3]
	global_store_dword v[28:29], v30, off
	v_subrev_u32_e32 v28, s9, v25
	s_and_b64 s[2:3], s[18:19], s[4:5]
	v_cndmask_b32_e64 v31, 32, v28, s[2:3]
	v_mov_b32_e32 v29, s13
	v_add_co_u32_e64 v28, s[2:3], s12, v26
	v_addc_co_u32_e64 v29, s[2:3], v29, v27, s[2:3]
	global_store_dword v[28:29], v31, off
	v_mov_b32_e32 v28, s15
	v_add_co_u32_e64 v26, s[2:3], s14, v26
	v_addc_co_u32_e64 v27, s[2:3], v28, v27, s[2:3]
	global_store_dword v[26:27], v24, off
	v_add_f32_e32 v26, v21, v30
	v_cndmask_b32_e32 v21, v21, v26, vcc
	s_or_b64 exec, exec, s[6:7]
	s_add_i32 s23, s23, 1
	s_cmp_ge_i32 s23, s8
	s_cbranch_scc1 .LBB97_9
.LBB97_13:                              ;   in Loop: Header=BB97_10 Depth=1
	s_waitcnt lgkmcnt(0)
	v_ashrrev_i32_e32 v27, 31, v25
	v_lshrrev_b32_e32 v26, 29, v27
	v_add_u32_e32 v26, v25, v26
	v_ashrrev_i32_e32 v26, 3, v26
	v_lshrrev_b32_e32 v28, 30, v26
	v_add_u32_e32 v28, v26, v28
	v_and_b32_e32 v28, -4, v28
	v_sub_u32_e32 v28, v26, v28
	v_cmp_eq_u32_e64 s[2:3], v17, v28
	s_and_saveexec_b64 s[4:5], s[2:3]
	s_cbranch_execz .LBB97_8
; %bb.14:                               ;   in Loop: Header=BB97_10 Depth=1
	v_lshrrev_b32_e32 v27, 27, v27
	v_add_u32_e32 v27, v25, v27
	v_lshlrev_b32_e32 v26, 3, v26
	v_ashrrev_i32_e32 v27, 5, v27
	v_sub_u32_e32 v25, v25, v26
	v_lshl_add_u32 v25, v27, 3, v25
	v_cmp_ne_u32_e64 s[2:3], 7, v25
	v_cndmask_b32_e64 v15, v23, v15, s[2:3]
	v_cmp_ne_u32_e64 s[2:3], 6, v25
	v_cndmask_b32_e64 v14, v23, v14, s[2:3]
	;; [unrolled: 2-line block ×8, first 2 shown]
	s_branch .LBB97_8
.LBB97_15:
                                        ; implicit-def: $vgpr8_vgpr9_vgpr10_vgpr11_vgpr12_vgpr13_vgpr14_vgpr15
	s_andn2_b64 vcc, exec, s[6:7]
	s_cbranch_vccz .LBB97_5
	s_branch .LBB97_6
.LBB97_16:
	v_mov_b32_e32 v21, 0
.LBB97_17:
	v_cmp_eq_u32_e64 s[0:1], 0, v17
	s_and_b64 s[0:1], s[0:1], vcc
	s_and_b64 exec, exec, s[0:1]
	s_cbranch_execz .LBB97_26
; %bb.18:
	s_andn2_b64 vcc, exec, s[20:21]
	s_cbranch_vccnz .LBB97_26
; %bb.19:
	v_cmp_lt_f32_e32 vcc, 0, v21
	s_mov_b32 s2, 0
	v_cndmask_b32_e32 v0, 1.0, v21, vcc
	v_mul_lo_u32 v4, v16, s8
	s_cmp_eq_u32 s8, 1
	s_mov_b64 s[0:1], -1
	s_cbranch_scc1 .LBB97_23
; %bb.20:
	s_and_b32 s2, s8, 0x7ffffffe
	v_mov_b32_e32 v1, v0
	v_mov_b32_e32 v5, s17
	s_mov_b32 s3, s2
	v_mov_b32_e32 v2, v4
.LBB97_21:                              ; =>This Inner Loop Header: Depth=1
	v_ashrrev_i32_e32 v3, 31, v2
	v_lshlrev_b64 v[6:7], 2, v[2:3]
	v_add_co_u32_e32 v6, vcc, s16, v6
	v_addc_co_u32_e32 v7, vcc, v5, v7, vcc
	global_load_dwordx2 v[8:9], v[6:7], off
	s_add_i32 s3, s3, -2
	s_cmp_lg_u32 s3, 0
	v_add_u32_e32 v2, 2, v2
	s_waitcnt vmcnt(0)
	v_div_scale_f32 v3, s[0:1], v1, v1, v9
	v_div_scale_f32 v11, s[0:1], v0, v0, v8
	v_rcp_f32_e32 v12, v3
	v_rcp_f32_e32 v13, v11
	v_div_scale_f32 v10, vcc, v9, v1, v9
	v_fma_f32 v15, -v3, v12, 1.0
	v_fma_f32 v16, -v11, v13, 1.0
	v_fmac_f32_e32 v12, v15, v12
	v_div_scale_f32 v14, s[0:1], v8, v0, v8
	v_fmac_f32_e32 v13, v16, v13
	v_mul_f32_e32 v15, v10, v12
	v_mul_f32_e32 v16, v14, v13
	v_fma_f32 v17, -v3, v15, v10
	v_fma_f32 v18, -v11, v16, v14
	v_fmac_f32_e32 v15, v17, v12
	v_fmac_f32_e32 v16, v18, v13
	v_fma_f32 v3, -v3, v15, v10
	v_fma_f32 v10, -v11, v16, v14
	v_div_fmas_f32 v3, v3, v12, v15
	s_mov_b64 vcc, s[0:1]
	v_div_fixup_f32 v9, v3, v1, v9
	v_div_fmas_f32 v3, v10, v13, v16
	v_div_fixup_f32 v8, v3, v0, v8
	global_store_dwordx2 v[6:7], v[8:9], off
	s_cbranch_scc1 .LBB97_21
; %bb.22:
	s_cmp_lg_u32 s2, s8
	s_cselect_b64 s[0:1], -1, 0
.LBB97_23:
	s_and_b64 vcc, exec, s[0:1]
	s_cbranch_vccz .LBB97_26
; %bb.24:
	v_ashrrev_i32_e32 v1, 31, v4
	v_add_co_u32_e32 v2, vcc, s2, v4
	v_addc_co_u32_e32 v3, vcc, 0, v1, vcc
	v_lshlrev_b64 v[2:3], 2, v[2:3]
	v_mov_b32_e32 v1, s17
	v_add_co_u32_e32 v2, vcc, s16, v2
	s_sub_i32 s0, s8, s2
	v_addc_co_u32_e32 v3, vcc, v1, v3, vcc
.LBB97_25:                              ; =>This Inner Loop Header: Depth=1
	global_load_dword v1, v[2:3], off
	s_add_i32 s0, s0, -1
	s_cmp_lg_u32 s0, 0
	s_waitcnt vmcnt(0)
	v_div_scale_f32 v4, s[2:3], v0, v0, v1
	v_rcp_f32_e32 v5, v4
	v_div_scale_f32 v6, vcc, v1, v0, v1
	v_fma_f32 v7, -v4, v5, 1.0
	v_fmac_f32_e32 v5, v7, v5
	v_mul_f32_e32 v7, v6, v5
	v_fma_f32 v8, -v4, v7, v6
	v_fmac_f32_e32 v7, v8, v5
	v_fma_f32 v4, -v4, v7, v6
	v_div_fmas_f32 v4, v4, v5, v7
	v_div_fixup_f32 v1, v4, v0, v1
	global_store_dword v[2:3], v1, off
	v_add_co_u32_e32 v2, vcc, 4, v2
	v_addc_co_u32_e32 v3, vcc, 0, v3, vcc
	s_cbranch_scc1 .LBB97_25
.LBB97_26:
	s_endpgm
	.section	.rodata,"a",@progbits
	.p2align	6, 0x0
	.amdhsa_kernel _ZN4vllm3moe10topkGatingILi8ELi32ELi4ELi16ELi64Ej6__halfLNS0_11ScoringFuncE0EEEvPKT5_PKbPfiPT4_PiiiibPKf
		.amdhsa_group_segment_fixed_size 0
		.amdhsa_private_segment_fixed_size 0
		.amdhsa_kernarg_size 72
		.amdhsa_user_sgpr_count 6
		.amdhsa_user_sgpr_private_segment_buffer 1
		.amdhsa_user_sgpr_dispatch_ptr 0
		.amdhsa_user_sgpr_queue_ptr 0
		.amdhsa_user_sgpr_kernarg_segment_ptr 1
		.amdhsa_user_sgpr_dispatch_id 0
		.amdhsa_user_sgpr_flat_scratch_init 0
		.amdhsa_user_sgpr_kernarg_preload_length 0
		.amdhsa_user_sgpr_kernarg_preload_offset 0
		.amdhsa_user_sgpr_private_segment_size 0
		.amdhsa_uses_dynamic_stack 0
		.amdhsa_system_sgpr_private_segment_wavefront_offset 0
		.amdhsa_system_sgpr_workgroup_id_x 1
		.amdhsa_system_sgpr_workgroup_id_y 0
		.amdhsa_system_sgpr_workgroup_id_z 0
		.amdhsa_system_sgpr_workgroup_info 0
		.amdhsa_system_vgpr_workitem_id 1
		.amdhsa_next_free_vgpr 32
		.amdhsa_next_free_sgpr 24
		.amdhsa_accum_offset 32
		.amdhsa_reserve_vcc 1
		.amdhsa_reserve_flat_scratch 0
		.amdhsa_float_round_mode_32 0
		.amdhsa_float_round_mode_16_64 0
		.amdhsa_float_denorm_mode_32 3
		.amdhsa_float_denorm_mode_16_64 3
		.amdhsa_dx10_clamp 1
		.amdhsa_ieee_mode 1
		.amdhsa_fp16_overflow 0
		.amdhsa_tg_split 0
		.amdhsa_exception_fp_ieee_invalid_op 0
		.amdhsa_exception_fp_denorm_src 0
		.amdhsa_exception_fp_ieee_div_zero 0
		.amdhsa_exception_fp_ieee_overflow 0
		.amdhsa_exception_fp_ieee_underflow 0
		.amdhsa_exception_fp_ieee_inexact 0
		.amdhsa_exception_int_div_zero 0
	.end_amdhsa_kernel
	.section	.text._ZN4vllm3moe10topkGatingILi8ELi32ELi4ELi16ELi64Ej6__halfLNS0_11ScoringFuncE0EEEvPKT5_PKbPfiPT4_PiiiibPKf,"axG",@progbits,_ZN4vllm3moe10topkGatingILi8ELi32ELi4ELi16ELi64Ej6__halfLNS0_11ScoringFuncE0EEEvPKT5_PKbPfiPT4_PiiiibPKf,comdat
.Lfunc_end97:
	.size	_ZN4vllm3moe10topkGatingILi8ELi32ELi4ELi16ELi64Ej6__halfLNS0_11ScoringFuncE0EEEvPKT5_PKbPfiPT4_PiiiibPKf, .Lfunc_end97-_ZN4vllm3moe10topkGatingILi8ELi32ELi4ELi16ELi64Ej6__halfLNS0_11ScoringFuncE0EEEvPKT5_PKbPfiPT4_PiiiibPKf
                                        ; -- End function
	.section	.AMDGPU.csdata,"",@progbits
; Kernel info:
; codeLenInByte = 2744
; NumSgprs: 28
; NumVgprs: 32
; NumAgprs: 0
; TotalNumVgprs: 32
; ScratchSize: 0
; MemoryBound: 0
; FloatMode: 240
; IeeeMode: 1
; LDSByteSize: 0 bytes/workgroup (compile time only)
; SGPRBlocks: 3
; VGPRBlocks: 3
; NumSGPRsForWavesPerEU: 28
; NumVGPRsForWavesPerEU: 32
; AccumOffset: 32
; Occupancy: 8
; WaveLimiterHint : 0
; COMPUTE_PGM_RSRC2:SCRATCH_EN: 0
; COMPUTE_PGM_RSRC2:USER_SGPR: 6
; COMPUTE_PGM_RSRC2:TRAP_HANDLER: 0
; COMPUTE_PGM_RSRC2:TGID_X_EN: 1
; COMPUTE_PGM_RSRC2:TGID_Y_EN: 0
; COMPUTE_PGM_RSRC2:TGID_Z_EN: 0
; COMPUTE_PGM_RSRC2:TIDIG_COMP_CNT: 1
; COMPUTE_PGM_RSRC3_GFX90A:ACCUM_OFFSET: 7
; COMPUTE_PGM_RSRC3_GFX90A:TG_SPLIT: 0
	.section	.text._ZN4vllm3moe10topkGatingILi8ELi32ELi4ELi16ELi32Ej6__halfLNS0_11ScoringFuncE0EEEvPKT5_PKbPfiPT4_PiiiibPKf,"axG",@progbits,_ZN4vllm3moe10topkGatingILi8ELi32ELi4ELi16ELi32Ej6__halfLNS0_11ScoringFuncE0EEEvPKT5_PKbPfiPT4_PiiiibPKf,comdat
	.protected	_ZN4vllm3moe10topkGatingILi8ELi32ELi4ELi16ELi32Ej6__halfLNS0_11ScoringFuncE0EEEvPKT5_PKbPfiPT4_PiiiibPKf ; -- Begin function _ZN4vllm3moe10topkGatingILi8ELi32ELi4ELi16ELi32Ej6__halfLNS0_11ScoringFuncE0EEEvPKT5_PKbPfiPT4_PiiiibPKf
	.globl	_ZN4vllm3moe10topkGatingILi8ELi32ELi4ELi16ELi32Ej6__halfLNS0_11ScoringFuncE0EEEvPKT5_PKbPfiPT4_PiiiibPKf
	.p2align	8
	.type	_ZN4vllm3moe10topkGatingILi8ELi32ELi4ELi16ELi32Ej6__halfLNS0_11ScoringFuncE0EEEvPKT5_PKbPfiPT4_PiiiibPKf,@function
_ZN4vllm3moe10topkGatingILi8ELi32ELi4ELi16ELi32Ej6__halfLNS0_11ScoringFuncE0EEEvPKT5_PKbPfiPT4_PiiiibPKf: ; @_ZN4vllm3moe10topkGatingILi8ELi32ELi4ELi16ELi32Ej6__halfLNS0_11ScoringFuncE0EEEvPKT5_PKbPfiPT4_PiiiibPKf
; %bb.0:
	s_load_dword s22, s[4:5], 0x18
	v_bfe_u32 v1, v0, 10, 10
	v_and_b32_e32 v0, 0x3ff, v0
	s_lshl_b32 s0, s6, 5
	v_lshlrev_b32_e32 v1, 3, v1
	v_lshrrev_b32_e32 v2, 2, v0
	v_add3_u32 v16, s0, v1, v2
	s_waitcnt lgkmcnt(0)
	v_cmp_gt_i32_e32 vcc, s22, v16
	s_and_saveexec_b64 s[0:1], vcc
	s_cbranch_execz .LBB98_26
; %bb.1:
	s_load_dwordx4 s[0:3], s[4:5], 0x0
	s_load_dwordx2 s[16:17], s[4:5], 0x10
	s_mov_b64 s[6:7], -1
	s_mov_b64 s[18:19], -1
	s_waitcnt lgkmcnt(0)
	s_cmp_eq_u64 s[2:3], 0
	s_cbranch_scc1 .LBB98_3
; %bb.2:
	v_ashrrev_i32_e32 v1, 31, v16
	v_mov_b32_e32 v3, s3
	v_add_co_u32_e32 v2, vcc, s2, v16
	v_addc_co_u32_e32 v3, vcc, v3, v1, vcc
	global_load_ubyte v1, v[2:3], off
	s_waitcnt vmcnt(0)
	v_and_b32_e32 v1, 1, v1
	v_cmp_eq_u32_e32 vcc, 1, v1
	s_xor_b64 s[2:3], vcc, -1
	s_orn2_b64 s[18:19], s[2:3], exec
.LBB98_3:
	v_lshlrev_b32_e32 v2, 5, v16
	v_ashrrev_i32_e32 v3, 31, v2
	v_lshlrev_b64 v[2:3], 1, v[2:3]
	v_mov_b32_e32 v1, s1
	v_add_co_u32_e32 v2, vcc, s0, v2
	v_and_b32_e32 v17, 3, v0
	v_addc_co_u32_e32 v1, vcc, v1, v3, vcc
	v_lshlrev_b32_e32 v0, 4, v17
	v_add_co_u32_e32 v0, vcc, v2, v0
	v_addc_co_u32_e32 v1, vcc, 0, v1, vcc
	global_load_dwordx4 v[0:3], v[0:1], off
	v_mbcnt_lo_u32_b32 v4, -1, 0
	v_mbcnt_hi_u32_b32 v8, -1, v4
	v_and_b32_e32 v4, 0x7c, v8
	v_xor_b32_e32 v5, 2, v8
	v_add_u32_e32 v9, 4, v4
	v_cmp_lt_i32_e32 vcc, v5, v9
	v_cndmask_b32_e32 v4, v8, v5, vcc
	v_lshlrev_b32_e32 v18, 2, v4
	v_xor_b32_e32 v12, 1, v8
	v_cmp_lt_i32_e32 vcc, v12, v9
	v_cndmask_b32_e32 v8, v8, v12, vcc
	v_lshlrev_b32_e32 v19, 2, v8
	s_mov_b32 s2, 0x3fb8aa3b
	s_mov_b32 s0, 0xc2ce8ed0
	;; [unrolled: 1-line block ×3, first 2 shown]
	v_mov_b32_e32 v8, 0x7f800000
	s_waitcnt vmcnt(0)
	v_cvt_f32_f16_e32 v6, v0
	v_cvt_f32_f16_sdwa v7, v0 dst_sel:DWORD dst_unused:UNUSED_PAD src0_sel:WORD_1
	v_cvt_f32_f16_e32 v10, v1
	v_cvt_f32_f16_sdwa v4, v1 dst_sel:DWORD dst_unused:UNUSED_PAD src0_sel:WORD_1
	;; [unrolled: 2-line block ×3, first 2 shown]
	v_cvt_f32_f16_sdwa v11, v3 dst_sel:DWORD dst_unused:UNUSED_PAD src0_sel:WORD_1
	v_cvt_f32_f16_e32 v1, v3
	v_max_f32_e32 v2, v6, v7
	v_max3_f32 v2, v2, v10, v4
	v_max3_f32 v2, v2, v5, v0
	;; [unrolled: 1-line block ×3, first 2 shown]
	ds_bpermute_b32 v3, v18, v2
	s_waitcnt lgkmcnt(0)
	v_max_f32_e32 v3, v3, v3
	v_max_f32_e32 v2, v2, v3
	ds_bpermute_b32 v3, v19, v2
	s_waitcnt lgkmcnt(0)
	v_max_f32_e32 v3, v3, v3
	v_max_f32_e32 v2, v2, v3
	v_pk_add_f32 v[6:7], v[6:7], v[2:3] op_sel_hi:[1,0] neg_lo:[0,1] neg_hi:[0,1]
	v_mul_f32_e32 v9, 0x3fb8aa3b, v7
	v_sub_f32_e32 v3, v10, v2
	v_mul_f32_e32 v10, 0x3fb8aa3b, v6
	v_fma_f32 v20, v7, s2, -v9
	v_rndne_f32_e32 v21, v9
	v_pk_add_f32 v[4:5], v[4:5], v[2:3] op_sel_hi:[1,0] neg_lo:[0,1] neg_hi:[0,1]
	v_mul_f32_e32 v12, 0x3fb8aa3b, v3
	v_fma_f32 v22, v6, s2, -v10
	v_rndne_f32_e32 v23, v10
	v_fmac_f32_e32 v20, 0x32a5705f, v7
	v_sub_f32_e32 v9, v9, v21
	v_mul_f32_e32 v13, 0x3fb8aa3b, v5
	v_fma_f32 v24, v3, s2, -v12
	v_rndne_f32_e32 v25, v12
	v_fmac_f32_e32 v22, 0x32a5705f, v6
	v_sub_f32_e32 v10, v10, v23
	v_add_f32_e32 v9, v9, v20
	v_mul_f32_e32 v14, 0x3fb8aa3b, v4
	v_fma_f32 v26, v5, s2, -v13
	v_rndne_f32_e32 v27, v13
	v_cvt_i32_f32_e32 v21, v21
	v_fmac_f32_e32 v24, 0x32a5705f, v3
	v_sub_f32_e32 v12, v12, v25
	v_add_f32_e32 v10, v10, v22
	v_exp_f32_e32 v9, v9
	v_fma_f32 v28, v4, s2, -v14
	v_rndne_f32_e32 v29, v14
	v_cvt_i32_f32_e32 v23, v23
	v_fmac_f32_e32 v26, 0x32a5705f, v5
	v_sub_f32_e32 v13, v13, v27
	v_add_f32_e32 v12, v12, v24
	v_exp_f32_e32 v10, v10
	v_cvt_i32_f32_e32 v25, v25
	v_fmac_f32_e32 v28, 0x32a5705f, v4
	v_sub_f32_e32 v14, v14, v29
	v_add_f32_e32 v13, v13, v26
	v_exp_f32_e32 v12, v12
	v_cvt_i32_f32_e32 v27, v27
	v_add_f32_e32 v14, v14, v28
	v_exp_f32_e32 v13, v13
	v_cvt_i32_f32_e32 v29, v29
	v_exp_f32_e32 v14, v14
	v_ldexp_f32 v9, v9, v21
	v_cmp_ngt_f32_e32 vcc, s0, v7
	v_ldexp_f32 v10, v10, v23
	v_cndmask_b32_e32 v9, 0, v9, vcc
	v_cmp_ngt_f32_e32 vcc, s0, v6
	v_ldexp_f32 v12, v12, v25
	v_cndmask_b32_e32 v10, 0, v10, vcc
	;; [unrolled: 3-line block ×4, first 2 shown]
	v_cmp_ngt_f32_e32 vcc, s0, v4
	v_pk_add_f32 v[0:1], v[0:1], v[2:3] op_sel_hi:[1,0] neg_lo:[0,1] neg_hi:[0,1]
	v_cndmask_b32_e32 v14, 0, v14, vcc
	v_cmp_nlt_f32_e32 vcc, s1, v7
	v_mul_f32_e32 v15, 0x3fb8aa3b, v1
	v_cndmask_b32_e32 v7, v8, v9, vcc
	v_cmp_nlt_f32_e32 vcc, s1, v6
	v_fma_f32 v30, v1, s2, -v15
	v_cndmask_b32_e32 v6, v8, v10, vcc
	v_cmp_nlt_f32_e32 vcc, s1, v3
	v_rndne_f32_e32 v10, v15
	v_fmac_f32_e32 v30, 0x32a5705f, v1
	v_cndmask_b32_e32 v3, v8, v12, vcc
	v_sub_f32_e32 v12, v15, v10
	v_add_f32_e32 v12, v12, v30
	v_exp_f32_e32 v12, v12
	v_cvt_i32_f32_e32 v10, v10
	v_cmp_nlt_f32_e32 vcc, s1, v5
	v_cndmask_b32_e32 v5, v8, v13, vcc
	v_cmp_nlt_f32_e32 vcc, s1, v4
	v_ldexp_f32 v10, v12, v10
	v_mul_f32_e32 v12, 0x3fb8aa3b, v0
	v_cndmask_b32_e32 v4, v8, v14, vcc
	v_fma_f32 v13, v0, s2, -v12
	v_rndne_f32_e32 v14, v12
	v_fmac_f32_e32 v13, 0x32a5705f, v0
	v_sub_f32_e32 v12, v12, v14
	v_add_f32_e32 v12, v12, v13
	v_exp_f32_e32 v12, v12
	v_cvt_i32_f32_e32 v13, v14
	v_cmp_ngt_f32_e32 vcc, s0, v1
	v_sub_f32_e32 v2, v11, v2
	v_cndmask_b32_e32 v10, 0, v10, vcc
	v_cmp_nlt_f32_e32 vcc, s1, v1
	v_mul_f32_e32 v11, 0x3fb8aa3b, v2
	v_cndmask_b32_e32 v1, v8, v10, vcc
	v_ldexp_f32 v10, v12, v13
	v_fma_f32 v12, v2, s2, -v11
	v_rndne_f32_e32 v13, v11
	v_fmac_f32_e32 v12, 0x32a5705f, v2
	v_sub_f32_e32 v11, v11, v13
	v_add_f32_e32 v11, v11, v12
	v_exp_f32_e32 v11, v11
	v_cvt_i32_f32_e32 v12, v13
	v_add_f32_e32 v9, v6, v7
	v_add_f32_e32 v9, v9, v3
	v_cmp_ngt_f32_e32 vcc, s0, v0
	v_add_f32_e32 v9, v9, v4
	v_cndmask_b32_e32 v10, 0, v10, vcc
	v_cmp_nlt_f32_e32 vcc, s1, v0
	v_add_f32_e32 v9, v9, v5
	v_cndmask_b32_e32 v0, v8, v10, vcc
	v_ldexp_f32 v10, v11, v12
	v_cmp_ngt_f32_e32 vcc, s0, v2
	v_add_f32_e32 v9, v9, v0
	v_cndmask_b32_e32 v10, 0, v10, vcc
	v_cmp_nlt_f32_e32 vcc, s1, v2
	v_add_f32_e32 v9, v9, v1
	v_cndmask_b32_e32 v10, v8, v10, vcc
	v_add_f32_e32 v2, v9, v10
	ds_bpermute_b32 v8, v18, v2
	s_movk_i32 s2, 0x1f8
	v_lshlrev_b32_e32 v20, 3, v17
	s_waitcnt lgkmcnt(0)
	v_add_f32_e32 v2, v2, v8
	ds_bpermute_b32 v8, v19, v2
	s_waitcnt lgkmcnt(0)
	v_add_f32_e32 v2, v2, v8
	v_div_scale_f32 v8, s[0:1], v2, v2, 1.0
	v_rcp_f32_e32 v9, v8
	s_load_dwordx2 s[0:1], s[4:5], 0x40
	v_fma_f32 v11, -v8, v9, 1.0
	v_fmac_f32_e32 v9, v11, v9
	v_div_scale_f32 v11, vcc, 1.0, v2, 1.0
	v_mul_f32_e32 v12, v11, v9
	v_fma_f32 v13, -v8, v12, v11
	v_fmac_f32_e32 v12, v13, v9
	v_fma_f32 v8, -v8, v12, v11
	v_div_fmas_f32 v8, v8, v9, v12
	v_div_fixup_f32 v2, v8, v2, 1.0
	v_mul_f32_e32 v11, v2, v6
	v_mul_f32_e32 v12, v2, v7
	v_mul_f32_e32 v3, v2, v3
	v_cmp_class_f32_e64 vcc, v11, s2
	v_pk_mul_f32 v[8:9], v[2:3], v[0:1] op_sel_hi:[0,1]
	v_cndmask_b32_e32 v0, 0, v11, vcc
	v_cmp_class_f32_e64 vcc, v12, s2
	v_pk_mul_f32 v[6:7], v[2:3], v[4:5] op_sel_hi:[0,1]
	v_cndmask_b32_e32 v1, 0, v12, vcc
	v_cmp_class_f32_e64 vcc, v3, s2
	v_mov_b32_e32 v5, 0x207
	v_mul_f32_e32 v10, v2, v10
	v_cndmask_b32_e32 v2, 0, v3, vcc
	v_cmp_class_f32_e32 vcc, v7, v5
	v_cndmask_b32_e64 v4, v7, 0, vcc
	v_cmp_class_f32_e32 vcc, v6, v5
	v_cndmask_b32_e64 v3, v6, 0, vcc
	v_cmp_class_f32_e32 vcc, v9, v5
	v_cndmask_b32_e64 v6, v9, 0, vcc
	v_cmp_class_f32_e32 vcc, v8, v5
	v_cndmask_b32_e64 v5, v8, 0, vcc
	v_cmp_class_f32_e64 vcc, v10, s2
	s_waitcnt lgkmcnt(0)
	s_cmp_eq_u64 s[0:1], 0
	v_cndmask_b32_e32 v7, 0, v10, vcc
	s_cbranch_scc1 .LBB98_15
; %bb.4:
	v_lshlrev_b32_e32 v21, 2, v20
	global_load_dwordx4 v[8:11], v21, s[0:1]
	global_load_dwordx4 v[12:15], v21, s[0:1] offset:16
	s_waitcnt vmcnt(1)
	v_pk_add_f32 v[8:9], v[8:9], v[0:1]
	v_pk_add_f32 v[10:11], v[10:11], v[2:3]
	s_waitcnt vmcnt(0)
	v_pk_add_f32 v[12:13], v[12:13], v[4:5]
	v_pk_add_f32 v[14:15], v[14:15], v[6:7]
	s_cbranch_execnz .LBB98_6
.LBB98_5:
	v_pk_mov_b32 v[14:15], v[6:7], v[6:7] op_sel:[0,1]
	v_pk_mov_b32 v[12:13], v[4:5], v[4:5] op_sel:[0,1]
	;; [unrolled: 1-line block ×4, first 2 shown]
.LBB98_6:
	s_load_dwordx4 s[8:11], s[4:5], 0x30
	s_mov_b32 s23, 0
	v_cmp_eq_u32_e64 s[0:1], 0, v17
	s_waitcnt lgkmcnt(0)
	s_bitcmp1_b32 s11, 0
	s_cselect_b64 vcc, -1, 0
	s_cmp_gt_i32 s8, 0
	s_cselect_b64 s[20:21], -1, 0
	s_cmp_lt_i32 s8, 1
	s_cbranch_scc1 .LBB98_16
; %bb.7:
	s_load_dwordx4 s[12:15], s[4:5], 0x20
	v_mul_lo_u32 v22, v16, s8
	v_mov_b32_e32 v21, 0
	v_mov_b32_e32 v23, 0xc61c4000
	;; [unrolled: 1-line block ×3, first 2 shown]
	s_branch .LBB98_10
.LBB98_8:                               ;   in Loop: Header=BB98_10 Depth=1
	s_or_b64 exec, exec, s[4:5]
.LBB98_9:                               ;   in Loop: Header=BB98_10 Depth=1
	s_cmp_eq_u32 s8, s23
	v_add_u32_e32 v24, s22, v24
	s_cbranch_scc1 .LBB98_17
.LBB98_10:                              ; =>This Inner Loop Header: Depth=1
	v_cmp_gt_f32_e64 s[2:3], v9, v8
	v_cndmask_b32_e64 v25, v8, v9, s[2:3]
	v_cndmask_b32_e64 v26, v0, v1, s[2:3]
	s_waitcnt lgkmcnt(0)
	v_cndmask_b32_e64 v27, 0, 1, s[2:3]
	v_cmp_gt_f32_e64 s[2:3], v10, v25
	v_cndmask_b32_e64 v25, v25, v10, s[2:3]
	v_cndmask_b32_e64 v26, v26, v2, s[2:3]
	v_cndmask_b32_e64 v27, v27, 2, s[2:3]
	v_cmp_gt_f32_e64 s[2:3], v11, v25
	v_cndmask_b32_e64 v25, v25, v11, s[2:3]
	v_cndmask_b32_e64 v26, v26, v3, s[2:3]
	;; [unrolled: 4-line block ×6, first 2 shown]
	v_or_b32_e32 v27, v20, v27
	ds_bpermute_b32 v28, v18, v25
	ds_bpermute_b32 v29, v18, v27
	v_cndmask_b32_e64 v26, v26, v7, s[2:3]
	ds_bpermute_b32 v30, v18, v26
	s_waitcnt lgkmcnt(0)
	v_cmp_eq_f32_e64 s[4:5], v25, v28
	v_cmp_lt_i32_e64 s[6:7], v29, v27
	v_cmp_lt_f32_e64 s[2:3], v25, v28
	s_and_b64 s[4:5], s[4:5], s[6:7]
	s_or_b64 s[2:3], s[2:3], s[4:5]
	v_cndmask_b32_e64 v29, v27, v29, s[2:3]
	v_cndmask_b32_e64 v25, v25, v28, s[2:3]
	ds_bpermute_b32 v28, v19, v25
	ds_bpermute_b32 v31, v19, v29
	v_cndmask_b32_e64 v26, v26, v30, s[2:3]
	ds_bpermute_b32 v27, v19, v26
	s_waitcnt lgkmcnt(2)
	v_cmp_eq_f32_e64 s[4:5], v25, v28
	s_waitcnt lgkmcnt(1)
	v_cmp_lt_i32_e64 s[6:7], v31, v29
	v_cmp_lt_f32_e64 s[2:3], v25, v28
	s_and_b64 s[4:5], s[4:5], s[6:7]
	s_or_b64 s[2:3], s[2:3], s[4:5]
	v_cndmask_b32_e64 v25, v29, v31, s[2:3]
	s_and_saveexec_b64 s[6:7], s[0:1]
	s_cbranch_execnz .LBB98_12
; %bb.11:                               ;   in Loop: Header=BB98_10 Depth=1
	s_or_b64 exec, exec, s[6:7]
	s_add_i32 s23, s23, 1
	s_cmp_ge_i32 s23, s8
	s_cbranch_scc1 .LBB98_9
	s_branch .LBB98_13
.LBB98_12:                              ;   in Loop: Header=BB98_10 Depth=1
	s_waitcnt lgkmcnt(0)
	v_cndmask_b32_e64 v30, v26, v27, s[2:3]
	v_add_u32_e32 v26, s23, v22
	v_ashrrev_i32_e32 v27, 31, v26
	v_cmp_le_i32_e64 s[2:3], s9, v25
	v_cmp_gt_i32_e64 s[4:5], s10, v25
	v_lshlrev_b64 v[26:27], 2, v[26:27]
	s_and_b64 s[4:5], s[2:3], s[4:5]
	v_mov_b32_e32 v29, s17
	v_add_co_u32_e64 v28, s[2:3], s16, v26
	v_addc_co_u32_e64 v29, s[2:3], v29, v27, s[2:3]
	global_store_dword v[28:29], v30, off
	v_subrev_u32_e32 v28, s9, v25
	s_and_b64 s[2:3], s[18:19], s[4:5]
	v_cndmask_b32_e64 v31, 32, v28, s[2:3]
	v_mov_b32_e32 v29, s13
	v_add_co_u32_e64 v28, s[2:3], s12, v26
	v_addc_co_u32_e64 v29, s[2:3], v29, v27, s[2:3]
	global_store_dword v[28:29], v31, off
	v_mov_b32_e32 v28, s15
	v_add_co_u32_e64 v26, s[2:3], s14, v26
	v_addc_co_u32_e64 v27, s[2:3], v28, v27, s[2:3]
	global_store_dword v[26:27], v24, off
	v_add_f32_e32 v26, v21, v30
	v_cndmask_b32_e32 v21, v21, v26, vcc
	s_or_b64 exec, exec, s[6:7]
	s_add_i32 s23, s23, 1
	s_cmp_ge_i32 s23, s8
	s_cbranch_scc1 .LBB98_9
.LBB98_13:                              ;   in Loop: Header=BB98_10 Depth=1
	s_waitcnt lgkmcnt(0)
	v_ashrrev_i32_e32 v27, 31, v25
	v_lshrrev_b32_e32 v26, 29, v27
	v_add_u32_e32 v26, v25, v26
	v_ashrrev_i32_e32 v26, 3, v26
	v_lshrrev_b32_e32 v28, 30, v26
	v_add_u32_e32 v28, v26, v28
	v_and_b32_e32 v28, -4, v28
	v_sub_u32_e32 v28, v26, v28
	v_cmp_eq_u32_e64 s[2:3], v17, v28
	s_and_saveexec_b64 s[4:5], s[2:3]
	s_cbranch_execz .LBB98_8
; %bb.14:                               ;   in Loop: Header=BB98_10 Depth=1
	v_lshrrev_b32_e32 v27, 27, v27
	v_add_u32_e32 v27, v25, v27
	v_lshlrev_b32_e32 v26, 3, v26
	v_ashrrev_i32_e32 v27, 5, v27
	v_sub_u32_e32 v25, v25, v26
	v_lshl_add_u32 v25, v27, 3, v25
	v_cmp_ne_u32_e64 s[2:3], 7, v25
	v_cndmask_b32_e64 v15, v23, v15, s[2:3]
	v_cmp_ne_u32_e64 s[2:3], 6, v25
	v_cndmask_b32_e64 v14, v23, v14, s[2:3]
	;; [unrolled: 2-line block ×8, first 2 shown]
	s_branch .LBB98_8
.LBB98_15:
                                        ; implicit-def: $vgpr8_vgpr9_vgpr10_vgpr11_vgpr12_vgpr13_vgpr14_vgpr15
	s_andn2_b64 vcc, exec, s[6:7]
	s_cbranch_vccz .LBB98_5
	s_branch .LBB98_6
.LBB98_16:
	v_mov_b32_e32 v21, 0
.LBB98_17:
	v_cmp_eq_u32_e64 s[0:1], 0, v17
	s_and_b64 s[0:1], s[0:1], vcc
	s_and_b64 exec, exec, s[0:1]
	s_cbranch_execz .LBB98_26
; %bb.18:
	s_andn2_b64 vcc, exec, s[20:21]
	s_cbranch_vccnz .LBB98_26
; %bb.19:
	v_cmp_lt_f32_e32 vcc, 0, v21
	s_mov_b32 s2, 0
	v_cndmask_b32_e32 v0, 1.0, v21, vcc
	v_mul_lo_u32 v4, v16, s8
	s_cmp_eq_u32 s8, 1
	s_mov_b64 s[0:1], -1
	s_cbranch_scc1 .LBB98_23
; %bb.20:
	s_and_b32 s2, s8, 0x7ffffffe
	v_mov_b32_e32 v1, v0
	v_mov_b32_e32 v5, s17
	s_mov_b32 s3, s2
	v_mov_b32_e32 v2, v4
.LBB98_21:                              ; =>This Inner Loop Header: Depth=1
	v_ashrrev_i32_e32 v3, 31, v2
	v_lshlrev_b64 v[6:7], 2, v[2:3]
	v_add_co_u32_e32 v6, vcc, s16, v6
	v_addc_co_u32_e32 v7, vcc, v5, v7, vcc
	global_load_dwordx2 v[8:9], v[6:7], off
	s_add_i32 s3, s3, -2
	s_cmp_lg_u32 s3, 0
	v_add_u32_e32 v2, 2, v2
	s_waitcnt vmcnt(0)
	v_div_scale_f32 v3, s[0:1], v1, v1, v9
	v_div_scale_f32 v11, s[0:1], v0, v0, v8
	v_rcp_f32_e32 v12, v3
	v_rcp_f32_e32 v13, v11
	v_div_scale_f32 v10, vcc, v9, v1, v9
	v_fma_f32 v15, -v3, v12, 1.0
	v_fma_f32 v16, -v11, v13, 1.0
	v_fmac_f32_e32 v12, v15, v12
	v_div_scale_f32 v14, s[0:1], v8, v0, v8
	v_fmac_f32_e32 v13, v16, v13
	v_mul_f32_e32 v15, v10, v12
	v_mul_f32_e32 v16, v14, v13
	v_fma_f32 v17, -v3, v15, v10
	v_fma_f32 v18, -v11, v16, v14
	v_fmac_f32_e32 v15, v17, v12
	v_fmac_f32_e32 v16, v18, v13
	v_fma_f32 v3, -v3, v15, v10
	v_fma_f32 v10, -v11, v16, v14
	v_div_fmas_f32 v3, v3, v12, v15
	s_mov_b64 vcc, s[0:1]
	v_div_fixup_f32 v9, v3, v1, v9
	v_div_fmas_f32 v3, v10, v13, v16
	v_div_fixup_f32 v8, v3, v0, v8
	global_store_dwordx2 v[6:7], v[8:9], off
	s_cbranch_scc1 .LBB98_21
; %bb.22:
	s_cmp_lg_u32 s2, s8
	s_cselect_b64 s[0:1], -1, 0
.LBB98_23:
	s_and_b64 vcc, exec, s[0:1]
	s_cbranch_vccz .LBB98_26
; %bb.24:
	v_ashrrev_i32_e32 v1, 31, v4
	v_add_co_u32_e32 v2, vcc, s2, v4
	v_addc_co_u32_e32 v3, vcc, 0, v1, vcc
	v_lshlrev_b64 v[2:3], 2, v[2:3]
	v_mov_b32_e32 v1, s17
	v_add_co_u32_e32 v2, vcc, s16, v2
	s_sub_i32 s0, s8, s2
	v_addc_co_u32_e32 v3, vcc, v1, v3, vcc
.LBB98_25:                              ; =>This Inner Loop Header: Depth=1
	global_load_dword v1, v[2:3], off
	s_add_i32 s0, s0, -1
	s_cmp_lg_u32 s0, 0
	s_waitcnt vmcnt(0)
	v_div_scale_f32 v4, s[2:3], v0, v0, v1
	v_rcp_f32_e32 v5, v4
	v_div_scale_f32 v6, vcc, v1, v0, v1
	v_fma_f32 v7, -v4, v5, 1.0
	v_fmac_f32_e32 v5, v7, v5
	v_mul_f32_e32 v7, v6, v5
	v_fma_f32 v8, -v4, v7, v6
	v_fmac_f32_e32 v7, v8, v5
	v_fma_f32 v4, -v4, v7, v6
	v_div_fmas_f32 v4, v4, v5, v7
	v_div_fixup_f32 v1, v4, v0, v1
	global_store_dword v[2:3], v1, off
	v_add_co_u32_e32 v2, vcc, 4, v2
	v_addc_co_u32_e32 v3, vcc, 0, v3, vcc
	s_cbranch_scc1 .LBB98_25
.LBB98_26:
	s_endpgm
	.section	.rodata,"a",@progbits
	.p2align	6, 0x0
	.amdhsa_kernel _ZN4vllm3moe10topkGatingILi8ELi32ELi4ELi16ELi32Ej6__halfLNS0_11ScoringFuncE0EEEvPKT5_PKbPfiPT4_PiiiibPKf
		.amdhsa_group_segment_fixed_size 0
		.amdhsa_private_segment_fixed_size 0
		.amdhsa_kernarg_size 72
		.amdhsa_user_sgpr_count 6
		.amdhsa_user_sgpr_private_segment_buffer 1
		.amdhsa_user_sgpr_dispatch_ptr 0
		.amdhsa_user_sgpr_queue_ptr 0
		.amdhsa_user_sgpr_kernarg_segment_ptr 1
		.amdhsa_user_sgpr_dispatch_id 0
		.amdhsa_user_sgpr_flat_scratch_init 0
		.amdhsa_user_sgpr_kernarg_preload_length 0
		.amdhsa_user_sgpr_kernarg_preload_offset 0
		.amdhsa_user_sgpr_private_segment_size 0
		.amdhsa_uses_dynamic_stack 0
		.amdhsa_system_sgpr_private_segment_wavefront_offset 0
		.amdhsa_system_sgpr_workgroup_id_x 1
		.amdhsa_system_sgpr_workgroup_id_y 0
		.amdhsa_system_sgpr_workgroup_id_z 0
		.amdhsa_system_sgpr_workgroup_info 0
		.amdhsa_system_vgpr_workitem_id 1
		.amdhsa_next_free_vgpr 32
		.amdhsa_next_free_sgpr 24
		.amdhsa_accum_offset 32
		.amdhsa_reserve_vcc 1
		.amdhsa_reserve_flat_scratch 0
		.amdhsa_float_round_mode_32 0
		.amdhsa_float_round_mode_16_64 0
		.amdhsa_float_denorm_mode_32 3
		.amdhsa_float_denorm_mode_16_64 3
		.amdhsa_dx10_clamp 1
		.amdhsa_ieee_mode 1
		.amdhsa_fp16_overflow 0
		.amdhsa_tg_split 0
		.amdhsa_exception_fp_ieee_invalid_op 0
		.amdhsa_exception_fp_denorm_src 0
		.amdhsa_exception_fp_ieee_div_zero 0
		.amdhsa_exception_fp_ieee_overflow 0
		.amdhsa_exception_fp_ieee_underflow 0
		.amdhsa_exception_fp_ieee_inexact 0
		.amdhsa_exception_int_div_zero 0
	.end_amdhsa_kernel
	.section	.text._ZN4vllm3moe10topkGatingILi8ELi32ELi4ELi16ELi32Ej6__halfLNS0_11ScoringFuncE0EEEvPKT5_PKbPfiPT4_PiiiibPKf,"axG",@progbits,_ZN4vllm3moe10topkGatingILi8ELi32ELi4ELi16ELi32Ej6__halfLNS0_11ScoringFuncE0EEEvPKT5_PKbPfiPT4_PiiiibPKf,comdat
.Lfunc_end98:
	.size	_ZN4vllm3moe10topkGatingILi8ELi32ELi4ELi16ELi32Ej6__halfLNS0_11ScoringFuncE0EEEvPKT5_PKbPfiPT4_PiiiibPKf, .Lfunc_end98-_ZN4vllm3moe10topkGatingILi8ELi32ELi4ELi16ELi32Ej6__halfLNS0_11ScoringFuncE0EEEvPKT5_PKbPfiPT4_PiiiibPKf
                                        ; -- End function
	.section	.AMDGPU.csdata,"",@progbits
; Kernel info:
; codeLenInByte = 2744
; NumSgprs: 28
; NumVgprs: 32
; NumAgprs: 0
; TotalNumVgprs: 32
; ScratchSize: 0
; MemoryBound: 0
; FloatMode: 240
; IeeeMode: 1
; LDSByteSize: 0 bytes/workgroup (compile time only)
; SGPRBlocks: 3
; VGPRBlocks: 3
; NumSGPRsForWavesPerEU: 28
; NumVGPRsForWavesPerEU: 32
; AccumOffset: 32
; Occupancy: 8
; WaveLimiterHint : 0
; COMPUTE_PGM_RSRC2:SCRATCH_EN: 0
; COMPUTE_PGM_RSRC2:USER_SGPR: 6
; COMPUTE_PGM_RSRC2:TRAP_HANDLER: 0
; COMPUTE_PGM_RSRC2:TGID_X_EN: 1
; COMPUTE_PGM_RSRC2:TGID_Y_EN: 0
; COMPUTE_PGM_RSRC2:TGID_Z_EN: 0
; COMPUTE_PGM_RSRC2:TIDIG_COMP_CNT: 1
; COMPUTE_PGM_RSRC3_GFX90A:ACCUM_OFFSET: 7
; COMPUTE_PGM_RSRC3_GFX90A:TG_SPLIT: 0
	.section	.text._ZN4vllm3moe10topkGatingILi8ELi64ELi4ELi16ELi64Ej6__halfLNS0_11ScoringFuncE0EEEvPKT5_PKbPfiPT4_PiiiibPKf,"axG",@progbits,_ZN4vllm3moe10topkGatingILi8ELi64ELi4ELi16ELi64Ej6__halfLNS0_11ScoringFuncE0EEEvPKT5_PKbPfiPT4_PiiiibPKf,comdat
	.protected	_ZN4vllm3moe10topkGatingILi8ELi64ELi4ELi16ELi64Ej6__halfLNS0_11ScoringFuncE0EEEvPKT5_PKbPfiPT4_PiiiibPKf ; -- Begin function _ZN4vllm3moe10topkGatingILi8ELi64ELi4ELi16ELi64Ej6__halfLNS0_11ScoringFuncE0EEEvPKT5_PKbPfiPT4_PiiiibPKf
	.globl	_ZN4vllm3moe10topkGatingILi8ELi64ELi4ELi16ELi64Ej6__halfLNS0_11ScoringFuncE0EEEvPKT5_PKbPfiPT4_PiiiibPKf
	.p2align	8
	.type	_ZN4vllm3moe10topkGatingILi8ELi64ELi4ELi16ELi64Ej6__halfLNS0_11ScoringFuncE0EEEvPKT5_PKbPfiPT4_PiiiibPKf,@function
_ZN4vllm3moe10topkGatingILi8ELi64ELi4ELi16ELi64Ej6__halfLNS0_11ScoringFuncE0EEEvPKT5_PKbPfiPT4_PiiiibPKf: ; @_ZN4vllm3moe10topkGatingILi8ELi64ELi4ELi16ELi64Ej6__halfLNS0_11ScoringFuncE0EEEvPKT5_PKbPfiPT4_PiiiibPKf
; %bb.0:
	s_load_dword s24, s[4:5], 0x18
	v_bfe_u32 v1, v0, 10, 10
	v_and_b32_e32 v0, 0x3ff, v0
	s_lshl_b32 s0, s6, 5
	v_lshlrev_b32_e32 v1, 3, v1
	v_lshrrev_b32_e32 v2, 3, v0
	v_add3_u32 v17, s0, v1, v2
	s_waitcnt lgkmcnt(0)
	v_cmp_gt_i32_e32 vcc, s24, v17
	s_and_saveexec_b64 s[0:1], vcc
	s_cbranch_execz .LBB99_30
; %bb.1:
	s_load_dwordx4 s[0:3], s[4:5], 0x0
	s_load_dwordx2 s[16:17], s[4:5], 0x10
	s_mov_b64 s[6:7], -1
	s_mov_b64 s[18:19], -1
	s_waitcnt lgkmcnt(0)
	s_cmp_eq_u64 s[2:3], 0
	s_cbranch_scc1 .LBB99_3
; %bb.2:
	v_ashrrev_i32_e32 v1, 31, v17
	v_mov_b32_e32 v3, s3
	v_add_co_u32_e32 v2, vcc, s2, v17
	v_addc_co_u32_e32 v3, vcc, v3, v1, vcc
	global_load_ubyte v1, v[2:3], off
	s_waitcnt vmcnt(0)
	v_and_b32_e32 v1, 1, v1
	v_cmp_eq_u32_e32 vcc, 1, v1
	s_xor_b64 s[2:3], vcc, -1
	s_orn2_b64 s[18:19], s[2:3], exec
.LBB99_3:
	v_lshlrev_b32_e32 v2, 6, v17
	v_ashrrev_i32_e32 v3, 31, v2
	v_lshlrev_b64 v[2:3], 1, v[2:3]
	v_mov_b32_e32 v1, s1
	v_add_co_u32_e32 v2, vcc, s0, v2
	v_and_b32_e32 v21, 7, v0
	v_addc_co_u32_e32 v1, vcc, v1, v3, vcc
	v_lshlrev_b32_e32 v0, 4, v21
	v_add_co_u32_e32 v0, vcc, v2, v0
	v_addc_co_u32_e32 v1, vcc, 0, v1, vcc
	global_load_dwordx4 v[0:3], v[0:1], off
	v_mbcnt_lo_u32_b32 v4, -1, 0
	v_mbcnt_hi_u32_b32 v8, -1, v4
	v_and_b32_e32 v4, 0x78, v8
	v_xor_b32_e32 v5, 4, v8
	v_add_u32_e32 v9, 8, v4
	v_cmp_lt_i32_e32 vcc, v5, v9
	v_cndmask_b32_e32 v4, v8, v5, vcc
	v_lshlrev_b32_e32 v22, 2, v4
	v_xor_b32_e32 v12, 2, v8
	v_cmp_lt_i32_e32 vcc, v12, v9
	v_cndmask_b32_e32 v12, v8, v12, vcc
	v_lshlrev_b32_e32 v23, 2, v12
	v_xor_b32_e32 v12, 1, v8
	v_cmp_lt_i32_e32 vcc, v12, v9
	v_cndmask_b32_e32 v8, v8, v12, vcc
	v_lshlrev_b32_e32 v24, 2, v8
	s_mov_b32 s2, 0x3fb8aa3b
	s_mov_b32 s0, 0xc2ce8ed0
	;; [unrolled: 1-line block ×3, first 2 shown]
	v_mov_b32_e32 v8, 0x7f800000
	s_waitcnt vmcnt(0)
	v_cvt_f32_f16_e32 v6, v0
	v_cvt_f32_f16_sdwa v7, v0 dst_sel:DWORD dst_unused:UNUSED_PAD src0_sel:WORD_1
	v_cvt_f32_f16_e32 v10, v1
	v_cvt_f32_f16_sdwa v4, v1 dst_sel:DWORD dst_unused:UNUSED_PAD src0_sel:WORD_1
	v_cvt_f32_f16_e32 v5, v2
	v_cvt_f32_f16_sdwa v0, v2 dst_sel:DWORD dst_unused:UNUSED_PAD src0_sel:WORD_1
	v_cvt_f32_f16_sdwa v11, v3 dst_sel:DWORD dst_unused:UNUSED_PAD src0_sel:WORD_1
	v_cvt_f32_f16_e32 v1, v3
	v_max_f32_e32 v2, v6, v7
	v_max3_f32 v2, v2, v10, v4
	v_max3_f32 v2, v2, v5, v0
	;; [unrolled: 1-line block ×3, first 2 shown]
	ds_bpermute_b32 v3, v22, v2
	s_waitcnt lgkmcnt(0)
	v_max_f32_e32 v3, v3, v3
	v_max_f32_e32 v2, v2, v3
	ds_bpermute_b32 v3, v23, v2
	s_waitcnt lgkmcnt(0)
	v_max_f32_e32 v3, v3, v3
	v_max_f32_e32 v2, v2, v3
	;; [unrolled: 4-line block ×3, first 2 shown]
	v_pk_add_f32 v[6:7], v[6:7], v[2:3] op_sel_hi:[1,0] neg_lo:[0,1] neg_hi:[0,1]
	v_mul_f32_e32 v9, 0x3fb8aa3b, v7
	v_sub_f32_e32 v3, v10, v2
	v_mul_f32_e32 v10, 0x3fb8aa3b, v6
	v_fma_f32 v16, v7, s2, -v9
	v_rndne_f32_e32 v18, v9
	v_pk_add_f32 v[4:5], v[4:5], v[2:3] op_sel_hi:[1,0] neg_lo:[0,1] neg_hi:[0,1]
	v_mul_f32_e32 v12, 0x3fb8aa3b, v3
	v_fma_f32 v19, v6, s2, -v10
	v_rndne_f32_e32 v20, v10
	v_fmac_f32_e32 v16, 0x32a5705f, v7
	v_sub_f32_e32 v9, v9, v18
	v_mul_f32_e32 v13, 0x3fb8aa3b, v5
	v_fma_f32 v25, v3, s2, -v12
	v_rndne_f32_e32 v26, v12
	v_fmac_f32_e32 v19, 0x32a5705f, v6
	v_sub_f32_e32 v10, v10, v20
	v_add_f32_e32 v9, v9, v16
	v_mul_f32_e32 v14, 0x3fb8aa3b, v4
	v_fma_f32 v27, v5, s2, -v13
	v_rndne_f32_e32 v28, v13
	v_cvt_i32_f32_e32 v18, v18
	v_fmac_f32_e32 v25, 0x32a5705f, v3
	v_sub_f32_e32 v12, v12, v26
	v_add_f32_e32 v10, v10, v19
	v_exp_f32_e32 v9, v9
	v_fma_f32 v29, v4, s2, -v14
	v_rndne_f32_e32 v30, v14
	v_cvt_i32_f32_e32 v20, v20
	v_fmac_f32_e32 v27, 0x32a5705f, v5
	v_sub_f32_e32 v13, v13, v28
	v_add_f32_e32 v12, v12, v25
	v_exp_f32_e32 v10, v10
	v_cvt_i32_f32_e32 v26, v26
	v_fmac_f32_e32 v29, 0x32a5705f, v4
	v_sub_f32_e32 v14, v14, v30
	v_add_f32_e32 v13, v13, v27
	v_exp_f32_e32 v12, v12
	v_cvt_i32_f32_e32 v28, v28
	v_add_f32_e32 v14, v14, v29
	v_exp_f32_e32 v13, v13
	v_cvt_i32_f32_e32 v30, v30
	v_exp_f32_e32 v14, v14
	v_ldexp_f32 v9, v9, v18
	v_cmp_ngt_f32_e32 vcc, s0, v7
	v_ldexp_f32 v10, v10, v20
	v_cndmask_b32_e32 v9, 0, v9, vcc
	v_cmp_ngt_f32_e32 vcc, s0, v6
	v_ldexp_f32 v12, v12, v26
	v_cndmask_b32_e32 v10, 0, v10, vcc
	;; [unrolled: 3-line block ×4, first 2 shown]
	v_cmp_ngt_f32_e32 vcc, s0, v4
	v_pk_add_f32 v[0:1], v[0:1], v[2:3] op_sel_hi:[1,0] neg_lo:[0,1] neg_hi:[0,1]
	v_cndmask_b32_e32 v14, 0, v14, vcc
	v_cmp_nlt_f32_e32 vcc, s1, v7
	v_mul_f32_e32 v15, 0x3fb8aa3b, v1
	v_cndmask_b32_e32 v7, v8, v9, vcc
	v_cmp_nlt_f32_e32 vcc, s1, v6
	v_fma_f32 v31, v1, s2, -v15
	v_cndmask_b32_e32 v6, v8, v10, vcc
	v_cmp_nlt_f32_e32 vcc, s1, v3
	v_rndne_f32_e32 v10, v15
	v_fmac_f32_e32 v31, 0x32a5705f, v1
	v_cndmask_b32_e32 v3, v8, v12, vcc
	v_sub_f32_e32 v12, v15, v10
	v_add_f32_e32 v12, v12, v31
	v_exp_f32_e32 v12, v12
	v_cvt_i32_f32_e32 v10, v10
	v_cmp_nlt_f32_e32 vcc, s1, v5
	v_cndmask_b32_e32 v5, v8, v13, vcc
	v_cmp_nlt_f32_e32 vcc, s1, v4
	v_ldexp_f32 v10, v12, v10
	v_mul_f32_e32 v12, 0x3fb8aa3b, v0
	v_cndmask_b32_e32 v4, v8, v14, vcc
	v_fma_f32 v13, v0, s2, -v12
	v_rndne_f32_e32 v14, v12
	v_fmac_f32_e32 v13, 0x32a5705f, v0
	v_sub_f32_e32 v12, v12, v14
	v_add_f32_e32 v12, v12, v13
	v_exp_f32_e32 v12, v12
	v_cvt_i32_f32_e32 v13, v14
	v_cmp_ngt_f32_e32 vcc, s0, v1
	v_sub_f32_e32 v2, v11, v2
	v_cndmask_b32_e32 v10, 0, v10, vcc
	v_cmp_nlt_f32_e32 vcc, s1, v1
	v_mul_f32_e32 v11, 0x3fb8aa3b, v2
	v_cndmask_b32_e32 v1, v8, v10, vcc
	v_ldexp_f32 v10, v12, v13
	v_fma_f32 v12, v2, s2, -v11
	v_rndne_f32_e32 v13, v11
	v_fmac_f32_e32 v12, 0x32a5705f, v2
	v_sub_f32_e32 v11, v11, v13
	v_add_f32_e32 v11, v11, v12
	v_exp_f32_e32 v11, v11
	v_cvt_i32_f32_e32 v12, v13
	v_add_f32_e32 v9, v6, v7
	v_add_f32_e32 v9, v9, v3
	v_cmp_ngt_f32_e32 vcc, s0, v0
	v_add_f32_e32 v9, v9, v4
	v_cndmask_b32_e32 v10, 0, v10, vcc
	v_cmp_nlt_f32_e32 vcc, s1, v0
	v_add_f32_e32 v9, v9, v5
	v_cndmask_b32_e32 v0, v8, v10, vcc
	v_ldexp_f32 v10, v11, v12
	v_cmp_ngt_f32_e32 vcc, s0, v2
	v_add_f32_e32 v9, v9, v0
	v_cndmask_b32_e32 v10, 0, v10, vcc
	v_cmp_nlt_f32_e32 vcc, s1, v2
	v_add_f32_e32 v9, v9, v1
	v_cndmask_b32_e32 v10, v8, v10, vcc
	v_add_f32_e32 v2, v9, v10
	ds_bpermute_b32 v8, v22, v2
	s_movk_i32 s2, 0x1f8
	v_lshlrev_b32_e32 v25, 3, v21
	s_waitcnt lgkmcnt(0)
	v_add_f32_e32 v2, v2, v8
	ds_bpermute_b32 v8, v23, v2
	s_waitcnt lgkmcnt(0)
	v_add_f32_e32 v2, v2, v8
	ds_bpermute_b32 v8, v24, v2
	s_waitcnt lgkmcnt(0)
	v_add_f32_e32 v2, v2, v8
	v_div_scale_f32 v8, s[0:1], v2, v2, 1.0
	v_rcp_f32_e32 v9, v8
	s_load_dwordx2 s[0:1], s[4:5], 0x40
	v_fma_f32 v11, -v8, v9, 1.0
	v_fmac_f32_e32 v9, v11, v9
	v_div_scale_f32 v11, vcc, 1.0, v2, 1.0
	v_mul_f32_e32 v12, v11, v9
	v_fma_f32 v13, -v8, v12, v11
	v_fmac_f32_e32 v12, v13, v9
	v_fma_f32 v8, -v8, v12, v11
	v_div_fmas_f32 v8, v8, v9, v12
	v_div_fixup_f32 v2, v8, v2, 1.0
	v_mul_f32_e32 v11, v2, v6
	v_mul_f32_e32 v12, v2, v7
	;; [unrolled: 1-line block ×3, first 2 shown]
	v_cmp_class_f32_e64 vcc, v11, s2
	v_pk_mul_f32 v[8:9], v[2:3], v[0:1] op_sel_hi:[0,1]
	v_cndmask_b32_e32 v0, 0, v11, vcc
	v_cmp_class_f32_e64 vcc, v12, s2
	v_pk_mul_f32 v[6:7], v[2:3], v[4:5] op_sel_hi:[0,1]
	v_cndmask_b32_e32 v1, 0, v12, vcc
	v_cmp_class_f32_e64 vcc, v3, s2
	v_mov_b32_e32 v5, 0x207
	v_mul_f32_e32 v10, v2, v10
	v_cndmask_b32_e32 v2, 0, v3, vcc
	v_cmp_class_f32_e32 vcc, v7, v5
	v_cndmask_b32_e64 v4, v7, 0, vcc
	v_cmp_class_f32_e32 vcc, v6, v5
	v_cndmask_b32_e64 v3, v6, 0, vcc
	;; [unrolled: 2-line block ×4, first 2 shown]
	v_cmp_class_f32_e64 vcc, v10, s2
	s_waitcnt lgkmcnt(0)
	s_cmp_eq_u64 s[0:1], 0
	v_cndmask_b32_e32 v7, 0, v10, vcc
	s_cbranch_scc1 .LBB99_19
; %bb.4:
	v_lshlrev_b32_e32 v16, 2, v25
	global_load_dwordx4 v[8:11], v16, s[0:1]
	global_load_dwordx4 v[12:15], v16, s[0:1] offset:16
	s_waitcnt vmcnt(1)
	v_pk_add_f32 v[8:9], v[8:9], v[0:1]
	v_pk_add_f32 v[10:11], v[10:11], v[2:3]
	s_waitcnt vmcnt(0)
	v_pk_add_f32 v[12:13], v[12:13], v[4:5]
	v_pk_add_f32 v[14:15], v[14:15], v[6:7]
	s_cbranch_execnz .LBB99_6
.LBB99_5:
	v_pk_mov_b32 v[14:15], v[6:7], v[6:7] op_sel:[0,1]
	v_pk_mov_b32 v[12:13], v[4:5], v[4:5] op_sel:[0,1]
	;; [unrolled: 1-line block ×4, first 2 shown]
.LBB99_6:
	s_load_dwordx4 s[8:11], s[4:5], 0x30
	s_mov_b32 s25, 0
	v_cmp_eq_u32_e64 s[0:1], 0, v21
	s_waitcnt lgkmcnt(0)
	s_bitcmp1_b32 s11, 0
	s_cselect_b64 vcc, -1, 0
	s_cmp_gt_i32 s8, 0
	s_cselect_b64 s[20:21], -1, 0
	s_cmp_lt_i32 s8, 1
	s_cbranch_scc1 .LBB99_20
; %bb.7:
	s_load_dwordx4 s[12:15], s[4:5], 0x20
	v_mul_lo_u32 v27, v17, s8
	v_mov_b32_e32 v26, 0
	v_mov_b32_e32 v28, 0xc61c4000
	;; [unrolled: 1-line block ×3, first 2 shown]
	s_branch .LBB99_10
.LBB99_8:                               ;   in Loop: Header=BB99_10 Depth=1
	s_or_b64 exec, exec, s[4:5]
.LBB99_9:                               ;   in Loop: Header=BB99_10 Depth=1
	s_cmp_eq_u32 s8, s25
	v_add_u32_e32 v29, s24, v29
	s_cbranch_scc1 .LBB99_21
.LBB99_10:                              ; =>This Inner Loop Header: Depth=1
	v_cmp_gt_f32_e64 s[2:3], v9, v8
	v_cndmask_b32_e64 v16, v8, v9, s[2:3]
	v_cndmask_b32_e64 v18, v0, v1, s[2:3]
	s_waitcnt lgkmcnt(0)
	v_cndmask_b32_e64 v19, 0, 1, s[2:3]
	v_cmp_gt_f32_e64 s[2:3], v10, v16
	v_cndmask_b32_e64 v16, v16, v10, s[2:3]
	v_cndmask_b32_e64 v18, v18, v2, s[2:3]
	v_cndmask_b32_e64 v19, v19, 2, s[2:3]
	v_cmp_gt_f32_e64 s[2:3], v11, v16
	v_cndmask_b32_e64 v16, v16, v11, s[2:3]
	v_cndmask_b32_e64 v18, v18, v3, s[2:3]
	;; [unrolled: 4-line block ×6, first 2 shown]
	v_or_b32_e32 v19, v25, v19
	ds_bpermute_b32 v20, v22, v16
	ds_bpermute_b32 v30, v22, v19
	v_cndmask_b32_e64 v18, v18, v7, s[2:3]
	ds_bpermute_b32 v32, v22, v18
	s_waitcnt lgkmcnt(0)
	v_cmp_eq_f32_e64 s[4:5], v16, v20
	v_cmp_lt_i32_e64 s[6:7], v30, v19
	v_cmp_lt_f32_e64 s[2:3], v16, v20
	s_and_b64 s[4:5], s[4:5], s[6:7]
	s_or_b64 s[2:3], s[2:3], s[4:5]
	v_cndmask_b32_e64 v31, v16, v20, s[2:3]
	v_cndmask_b32_e64 v30, v19, v30, s[2:3]
	;; [unrolled: 1-line block ×3, first 2 shown]
	ds_bpermute_b32 v33, v23, v31
	ds_bpermute_b32 v20, v23, v16
	;; [unrolled: 1-line block ×3, first 2 shown]
                                        ; implicit-def: $vgpr18_vgpr19
	s_waitcnt lgkmcnt(2)
	v_cmp_lt_f32_e64 s[6:7], v31, v33
	v_cmp_nlt_f32_e64 s[2:3], v31, v33
	s_and_saveexec_b64 s[22:23], s[2:3]
	s_cbranch_execz .LBB99_12
; %bb.11:                               ;   in Loop: Header=BB99_10 Depth=1
	v_cmp_eq_f32_e64 s[2:3], v31, v33
	s_waitcnt lgkmcnt(0)
	v_cmp_lt_i32_e64 s[4:5], v32, v30
	s_and_b64 s[2:3], s[2:3], s[4:5]
	s_andn2_b64 s[4:5], s[6:7], exec
	s_and_b64 s[2:3], s[2:3], exec
	s_or_b64 s[6:7], s[4:5], s[2:3]
	v_pk_mov_b32 v[18:19], v[16:17], v[16:17] op_sel:[0,1]
.LBB99_12:                              ;   in Loop: Header=BB99_10 Depth=1
	s_or_b64 exec, exec, s[22:23]
	s_and_saveexec_b64 s[2:3], s[6:7]
	s_cbranch_execz .LBB99_14
; %bb.13:                               ;   in Loop: Header=BB99_10 Depth=1
	v_mov_b32_e32 v31, v33
	s_waitcnt lgkmcnt(1)
	v_mov_b32_e32 v16, v20
	s_waitcnt lgkmcnt(0)
	v_mov_b32_e32 v30, v32
	v_pk_mov_b32 v[18:19], v[20:21], v[20:21] op_sel:[0,1]
.LBB99_14:                              ;   in Loop: Header=BB99_10 Depth=1
	s_or_b64 exec, exec, s[2:3]
	s_waitcnt lgkmcnt(1)
	ds_bpermute_b32 v20, v24, v31
	s_waitcnt lgkmcnt(1)
	ds_bpermute_b32 v32, v24, v30
	ds_bpermute_b32 v19, v24, v16
	s_waitcnt lgkmcnt(2)
	v_cmp_eq_f32_e64 s[4:5], v31, v20
	s_waitcnt lgkmcnt(1)
	v_cmp_lt_i32_e64 s[6:7], v32, v30
	v_cmp_lt_f32_e64 s[2:3], v31, v20
	s_and_b64 s[4:5], s[4:5], s[6:7]
	s_or_b64 s[2:3], s[2:3], s[4:5]
	v_cndmask_b32_e64 v16, v30, v32, s[2:3]
	s_and_saveexec_b64 s[6:7], s[0:1]
	s_cbranch_execnz .LBB99_16
; %bb.15:                               ;   in Loop: Header=BB99_10 Depth=1
	s_or_b64 exec, exec, s[6:7]
	s_add_i32 s25, s25, 1
	s_cmp_ge_i32 s25, s8
	s_cbranch_scc1 .LBB99_9
	s_branch .LBB99_17
.LBB99_16:                              ;   in Loop: Header=BB99_10 Depth=1
	s_waitcnt lgkmcnt(0)
	v_cndmask_b32_e64 v20, v18, v19, s[2:3]
	v_add_u32_e32 v18, s25, v27
	v_ashrrev_i32_e32 v19, 31, v18
	v_cmp_le_i32_e64 s[2:3], s9, v16
	v_cmp_gt_i32_e64 s[4:5], s10, v16
	v_lshlrev_b64 v[18:19], 2, v[18:19]
	s_and_b64 s[4:5], s[2:3], s[4:5]
	v_mov_b32_e32 v31, s17
	v_add_co_u32_e64 v30, s[2:3], s16, v18
	v_addc_co_u32_e64 v31, s[2:3], v31, v19, s[2:3]
	global_store_dword v[30:31], v20, off
	v_subrev_u32_e32 v30, s9, v16
	s_and_b64 s[2:3], s[18:19], s[4:5]
	v_cndmask_b32_e64 v32, 64, v30, s[2:3]
	v_mov_b32_e32 v31, s13
	v_add_co_u32_e64 v30, s[2:3], s12, v18
	v_addc_co_u32_e64 v31, s[2:3], v31, v19, s[2:3]
	global_store_dword v[30:31], v32, off
	v_mov_b32_e32 v30, s15
	v_add_co_u32_e64 v18, s[2:3], s14, v18
	v_addc_co_u32_e64 v19, s[2:3], v30, v19, s[2:3]
	global_store_dword v[18:19], v29, off
	v_add_f32_e32 v18, v26, v20
	v_cndmask_b32_e32 v26, v26, v18, vcc
	s_or_b64 exec, exec, s[6:7]
	s_add_i32 s25, s25, 1
	s_cmp_ge_i32 s25, s8
	s_cbranch_scc1 .LBB99_9
.LBB99_17:                              ;   in Loop: Header=BB99_10 Depth=1
	s_waitcnt lgkmcnt(0)
	v_ashrrev_i32_e32 v19, 31, v16
	v_lshrrev_b32_e32 v18, 29, v19
	v_add_u32_e32 v18, v16, v18
	v_ashrrev_i32_e32 v18, 3, v18
	v_lshrrev_b32_e32 v20, 29, v18
	v_add_u32_e32 v20, v18, v20
	v_and_b32_e32 v20, -8, v20
	v_sub_u32_e32 v20, v18, v20
	v_cmp_eq_u32_e64 s[2:3], v21, v20
	s_and_saveexec_b64 s[4:5], s[2:3]
	s_cbranch_execz .LBB99_8
; %bb.18:                               ;   in Loop: Header=BB99_10 Depth=1
	v_lshrrev_b32_e32 v19, 26, v19
	v_add_u32_e32 v19, v16, v19
	v_lshlrev_b32_e32 v18, 3, v18
	v_ashrrev_i32_e32 v19, 6, v19
	v_sub_u32_e32 v16, v16, v18
	v_lshl_add_u32 v16, v19, 3, v16
	v_cmp_ne_u32_e64 s[2:3], 7, v16
	v_cndmask_b32_e64 v15, v28, v15, s[2:3]
	v_cmp_ne_u32_e64 s[2:3], 6, v16
	v_cndmask_b32_e64 v14, v28, v14, s[2:3]
	;; [unrolled: 2-line block ×8, first 2 shown]
	s_branch .LBB99_8
.LBB99_19:
                                        ; implicit-def: $vgpr8_vgpr9_vgpr10_vgpr11_vgpr12_vgpr13_vgpr14_vgpr15
	s_andn2_b64 vcc, exec, s[6:7]
	s_cbranch_vccz .LBB99_5
	s_branch .LBB99_6
.LBB99_20:
	v_mov_b32_e32 v26, 0
.LBB99_21:
	v_cmp_eq_u32_e64 s[0:1], 0, v21
	s_and_b64 s[0:1], s[0:1], vcc
	s_and_b64 exec, exec, s[0:1]
	s_cbranch_execz .LBB99_30
; %bb.22:
	s_andn2_b64 vcc, exec, s[20:21]
	s_cbranch_vccnz .LBB99_30
; %bb.23:
	v_cmp_lt_f32_e32 vcc, 0, v26
	s_mov_b32 s2, 0
	v_cndmask_b32_e32 v0, 1.0, v26, vcc
	v_mul_lo_u32 v4, v17, s8
	s_cmp_eq_u32 s8, 1
	s_mov_b64 s[0:1], -1
	s_cbranch_scc1 .LBB99_27
; %bb.24:
	s_and_b32 s2, s8, 0x7ffffffe
	v_mov_b32_e32 v1, v0
	v_mov_b32_e32 v5, s17
	s_mov_b32 s3, s2
	v_mov_b32_e32 v2, v4
.LBB99_25:                              ; =>This Inner Loop Header: Depth=1
	v_ashrrev_i32_e32 v3, 31, v2
	v_lshlrev_b64 v[6:7], 2, v[2:3]
	v_add_co_u32_e32 v6, vcc, s16, v6
	v_addc_co_u32_e32 v7, vcc, v5, v7, vcc
	global_load_dwordx2 v[8:9], v[6:7], off
	s_add_i32 s3, s3, -2
	s_cmp_lg_u32 s3, 0
	v_add_u32_e32 v2, 2, v2
	s_waitcnt vmcnt(0)
	v_div_scale_f32 v3, s[0:1], v1, v1, v9
	v_div_scale_f32 v11, s[0:1], v0, v0, v8
	v_rcp_f32_e32 v12, v3
	v_rcp_f32_e32 v13, v11
	v_div_scale_f32 v10, vcc, v9, v1, v9
	v_fma_f32 v15, -v3, v12, 1.0
	v_fma_f32 v16, -v11, v13, 1.0
	v_fmac_f32_e32 v12, v15, v12
	v_div_scale_f32 v14, s[0:1], v8, v0, v8
	v_fmac_f32_e32 v13, v16, v13
	v_mul_f32_e32 v15, v10, v12
	v_mul_f32_e32 v16, v14, v13
	v_fma_f32 v17, -v3, v15, v10
	v_fma_f32 v18, -v11, v16, v14
	v_fmac_f32_e32 v15, v17, v12
	v_fmac_f32_e32 v16, v18, v13
	v_fma_f32 v3, -v3, v15, v10
	v_fma_f32 v10, -v11, v16, v14
	v_div_fmas_f32 v3, v3, v12, v15
	s_mov_b64 vcc, s[0:1]
	v_div_fixup_f32 v9, v3, v1, v9
	v_div_fmas_f32 v3, v10, v13, v16
	v_div_fixup_f32 v8, v3, v0, v8
	global_store_dwordx2 v[6:7], v[8:9], off
	s_cbranch_scc1 .LBB99_25
; %bb.26:
	s_cmp_lg_u32 s2, s8
	s_cselect_b64 s[0:1], -1, 0
.LBB99_27:
	s_and_b64 vcc, exec, s[0:1]
	s_cbranch_vccz .LBB99_30
; %bb.28:
	v_ashrrev_i32_e32 v1, 31, v4
	v_add_co_u32_e32 v2, vcc, s2, v4
	v_addc_co_u32_e32 v3, vcc, 0, v1, vcc
	v_lshlrev_b64 v[2:3], 2, v[2:3]
	v_mov_b32_e32 v1, s17
	v_add_co_u32_e32 v2, vcc, s16, v2
	s_sub_i32 s0, s8, s2
	v_addc_co_u32_e32 v3, vcc, v1, v3, vcc
.LBB99_29:                              ; =>This Inner Loop Header: Depth=1
	global_load_dword v1, v[2:3], off
	s_add_i32 s0, s0, -1
	s_cmp_lg_u32 s0, 0
	s_waitcnt vmcnt(0)
	v_div_scale_f32 v4, s[2:3], v0, v0, v1
	v_rcp_f32_e32 v5, v4
	v_div_scale_f32 v6, vcc, v1, v0, v1
	v_fma_f32 v7, -v4, v5, 1.0
	v_fmac_f32_e32 v5, v7, v5
	v_mul_f32_e32 v7, v6, v5
	v_fma_f32 v8, -v4, v7, v6
	v_fmac_f32_e32 v7, v8, v5
	v_fma_f32 v4, -v4, v7, v6
	v_div_fmas_f32 v4, v4, v5, v7
	v_div_fixup_f32 v1, v4, v0, v1
	global_store_dword v[2:3], v1, off
	v_add_co_u32_e32 v2, vcc, 4, v2
	v_addc_co_u32_e32 v3, vcc, 0, v3, vcc
	s_cbranch_scc1 .LBB99_29
.LBB99_30:
	s_endpgm
	.section	.rodata,"a",@progbits
	.p2align	6, 0x0
	.amdhsa_kernel _ZN4vllm3moe10topkGatingILi8ELi64ELi4ELi16ELi64Ej6__halfLNS0_11ScoringFuncE0EEEvPKT5_PKbPfiPT4_PiiiibPKf
		.amdhsa_group_segment_fixed_size 0
		.amdhsa_private_segment_fixed_size 0
		.amdhsa_kernarg_size 72
		.amdhsa_user_sgpr_count 6
		.amdhsa_user_sgpr_private_segment_buffer 1
		.amdhsa_user_sgpr_dispatch_ptr 0
		.amdhsa_user_sgpr_queue_ptr 0
		.amdhsa_user_sgpr_kernarg_segment_ptr 1
		.amdhsa_user_sgpr_dispatch_id 0
		.amdhsa_user_sgpr_flat_scratch_init 0
		.amdhsa_user_sgpr_kernarg_preload_length 0
		.amdhsa_user_sgpr_kernarg_preload_offset 0
		.amdhsa_user_sgpr_private_segment_size 0
		.amdhsa_uses_dynamic_stack 0
		.amdhsa_system_sgpr_private_segment_wavefront_offset 0
		.amdhsa_system_sgpr_workgroup_id_x 1
		.amdhsa_system_sgpr_workgroup_id_y 0
		.amdhsa_system_sgpr_workgroup_id_z 0
		.amdhsa_system_sgpr_workgroup_info 0
		.amdhsa_system_vgpr_workitem_id 1
		.amdhsa_next_free_vgpr 34
		.amdhsa_next_free_sgpr 26
		.amdhsa_accum_offset 36
		.amdhsa_reserve_vcc 1
		.amdhsa_reserve_flat_scratch 0
		.amdhsa_float_round_mode_32 0
		.amdhsa_float_round_mode_16_64 0
		.amdhsa_float_denorm_mode_32 3
		.amdhsa_float_denorm_mode_16_64 3
		.amdhsa_dx10_clamp 1
		.amdhsa_ieee_mode 1
		.amdhsa_fp16_overflow 0
		.amdhsa_tg_split 0
		.amdhsa_exception_fp_ieee_invalid_op 0
		.amdhsa_exception_fp_denorm_src 0
		.amdhsa_exception_fp_ieee_div_zero 0
		.amdhsa_exception_fp_ieee_overflow 0
		.amdhsa_exception_fp_ieee_underflow 0
		.amdhsa_exception_fp_ieee_inexact 0
		.amdhsa_exception_int_div_zero 0
	.end_amdhsa_kernel
	.section	.text._ZN4vllm3moe10topkGatingILi8ELi64ELi4ELi16ELi64Ej6__halfLNS0_11ScoringFuncE0EEEvPKT5_PKbPfiPT4_PiiiibPKf,"axG",@progbits,_ZN4vllm3moe10topkGatingILi8ELi64ELi4ELi16ELi64Ej6__halfLNS0_11ScoringFuncE0EEEvPKT5_PKbPfiPT4_PiiiibPKf,comdat
.Lfunc_end99:
	.size	_ZN4vllm3moe10topkGatingILi8ELi64ELi4ELi16ELi64Ej6__halfLNS0_11ScoringFuncE0EEEvPKT5_PKbPfiPT4_PiiiibPKf, .Lfunc_end99-_ZN4vllm3moe10topkGatingILi8ELi64ELi4ELi16ELi64Ej6__halfLNS0_11ScoringFuncE0EEEvPKT5_PKbPfiPT4_PiiiibPKf
                                        ; -- End function
	.section	.AMDGPU.csdata,"",@progbits
; Kernel info:
; codeLenInByte = 2944
; NumSgprs: 30
; NumVgprs: 34
; NumAgprs: 0
; TotalNumVgprs: 34
; ScratchSize: 0
; MemoryBound: 0
; FloatMode: 240
; IeeeMode: 1
; LDSByteSize: 0 bytes/workgroup (compile time only)
; SGPRBlocks: 3
; VGPRBlocks: 4
; NumSGPRsForWavesPerEU: 30
; NumVGPRsForWavesPerEU: 34
; AccumOffset: 36
; Occupancy: 8
; WaveLimiterHint : 0
; COMPUTE_PGM_RSRC2:SCRATCH_EN: 0
; COMPUTE_PGM_RSRC2:USER_SGPR: 6
; COMPUTE_PGM_RSRC2:TRAP_HANDLER: 0
; COMPUTE_PGM_RSRC2:TGID_X_EN: 1
; COMPUTE_PGM_RSRC2:TGID_Y_EN: 0
; COMPUTE_PGM_RSRC2:TGID_Z_EN: 0
; COMPUTE_PGM_RSRC2:TIDIG_COMP_CNT: 1
; COMPUTE_PGM_RSRC3_GFX90A:ACCUM_OFFSET: 8
; COMPUTE_PGM_RSRC3_GFX90A:TG_SPLIT: 0
	.section	.text._ZN4vllm3moe10topkGatingILi8ELi64ELi4ELi16ELi32Ej6__halfLNS0_11ScoringFuncE0EEEvPKT5_PKbPfiPT4_PiiiibPKf,"axG",@progbits,_ZN4vllm3moe10topkGatingILi8ELi64ELi4ELi16ELi32Ej6__halfLNS0_11ScoringFuncE0EEEvPKT5_PKbPfiPT4_PiiiibPKf,comdat
	.protected	_ZN4vllm3moe10topkGatingILi8ELi64ELi4ELi16ELi32Ej6__halfLNS0_11ScoringFuncE0EEEvPKT5_PKbPfiPT4_PiiiibPKf ; -- Begin function _ZN4vllm3moe10topkGatingILi8ELi64ELi4ELi16ELi32Ej6__halfLNS0_11ScoringFuncE0EEEvPKT5_PKbPfiPT4_PiiiibPKf
	.globl	_ZN4vllm3moe10topkGatingILi8ELi64ELi4ELi16ELi32Ej6__halfLNS0_11ScoringFuncE0EEEvPKT5_PKbPfiPT4_PiiiibPKf
	.p2align	8
	.type	_ZN4vllm3moe10topkGatingILi8ELi64ELi4ELi16ELi32Ej6__halfLNS0_11ScoringFuncE0EEEvPKT5_PKbPfiPT4_PiiiibPKf,@function
_ZN4vllm3moe10topkGatingILi8ELi64ELi4ELi16ELi32Ej6__halfLNS0_11ScoringFuncE0EEEvPKT5_PKbPfiPT4_PiiiibPKf: ; @_ZN4vllm3moe10topkGatingILi8ELi64ELi4ELi16ELi32Ej6__halfLNS0_11ScoringFuncE0EEEvPKT5_PKbPfiPT4_PiiiibPKf
; %bb.0:
	s_load_dword s24, s[4:5], 0x18
	v_bfe_u32 v1, v0, 10, 10
	v_and_b32_e32 v0, 0x3ff, v0
	s_lshl_b32 s0, s6, 4
	v_lshlrev_b32_e32 v1, 2, v1
	v_lshrrev_b32_e32 v2, 3, v0
	v_add3_u32 v17, s0, v1, v2
	s_waitcnt lgkmcnt(0)
	v_cmp_gt_i32_e32 vcc, s24, v17
	s_and_saveexec_b64 s[0:1], vcc
	s_cbranch_execz .LBB100_30
; %bb.1:
	s_load_dwordx4 s[0:3], s[4:5], 0x0
	s_load_dwordx2 s[16:17], s[4:5], 0x10
	s_mov_b64 s[6:7], -1
	s_mov_b64 s[18:19], -1
	s_waitcnt lgkmcnt(0)
	s_cmp_eq_u64 s[2:3], 0
	s_cbranch_scc1 .LBB100_3
; %bb.2:
	v_ashrrev_i32_e32 v1, 31, v17
	v_mov_b32_e32 v3, s3
	v_add_co_u32_e32 v2, vcc, s2, v17
	v_addc_co_u32_e32 v3, vcc, v3, v1, vcc
	global_load_ubyte v1, v[2:3], off
	s_waitcnt vmcnt(0)
	v_and_b32_e32 v1, 1, v1
	v_cmp_eq_u32_e32 vcc, 1, v1
	s_xor_b64 s[2:3], vcc, -1
	s_orn2_b64 s[18:19], s[2:3], exec
.LBB100_3:
	v_lshlrev_b32_e32 v2, 6, v17
	v_ashrrev_i32_e32 v3, 31, v2
	v_lshlrev_b64 v[2:3], 1, v[2:3]
	v_mov_b32_e32 v1, s1
	v_add_co_u32_e32 v2, vcc, s0, v2
	v_and_b32_e32 v21, 7, v0
	v_addc_co_u32_e32 v1, vcc, v1, v3, vcc
	v_lshlrev_b32_e32 v0, 4, v21
	v_add_co_u32_e32 v0, vcc, v2, v0
	v_addc_co_u32_e32 v1, vcc, 0, v1, vcc
	global_load_dwordx4 v[0:3], v[0:1], off
	v_mbcnt_lo_u32_b32 v4, -1, 0
	v_mbcnt_hi_u32_b32 v8, -1, v4
	v_and_b32_e32 v4, 0x78, v8
	v_xor_b32_e32 v5, 4, v8
	v_add_u32_e32 v9, 8, v4
	v_cmp_lt_i32_e32 vcc, v5, v9
	v_cndmask_b32_e32 v4, v8, v5, vcc
	v_lshlrev_b32_e32 v22, 2, v4
	v_xor_b32_e32 v12, 2, v8
	v_cmp_lt_i32_e32 vcc, v12, v9
	v_cndmask_b32_e32 v12, v8, v12, vcc
	v_lshlrev_b32_e32 v23, 2, v12
	v_xor_b32_e32 v12, 1, v8
	v_cmp_lt_i32_e32 vcc, v12, v9
	v_cndmask_b32_e32 v8, v8, v12, vcc
	v_lshlrev_b32_e32 v24, 2, v8
	s_mov_b32 s2, 0x3fb8aa3b
	s_mov_b32 s0, 0xc2ce8ed0
	;; [unrolled: 1-line block ×3, first 2 shown]
	v_mov_b32_e32 v8, 0x7f800000
	s_waitcnt vmcnt(0)
	v_cvt_f32_f16_e32 v6, v0
	v_cvt_f32_f16_sdwa v7, v0 dst_sel:DWORD dst_unused:UNUSED_PAD src0_sel:WORD_1
	v_cvt_f32_f16_e32 v10, v1
	v_cvt_f32_f16_sdwa v4, v1 dst_sel:DWORD dst_unused:UNUSED_PAD src0_sel:WORD_1
	;; [unrolled: 2-line block ×3, first 2 shown]
	v_cvt_f32_f16_sdwa v11, v3 dst_sel:DWORD dst_unused:UNUSED_PAD src0_sel:WORD_1
	v_cvt_f32_f16_e32 v1, v3
	v_max_f32_e32 v2, v6, v7
	v_max3_f32 v2, v2, v10, v4
	v_max3_f32 v2, v2, v5, v0
	;; [unrolled: 1-line block ×3, first 2 shown]
	ds_bpermute_b32 v3, v22, v2
	s_waitcnt lgkmcnt(0)
	v_max_f32_e32 v3, v3, v3
	v_max_f32_e32 v2, v2, v3
	ds_bpermute_b32 v3, v23, v2
	s_waitcnt lgkmcnt(0)
	v_max_f32_e32 v3, v3, v3
	v_max_f32_e32 v2, v2, v3
	;; [unrolled: 4-line block ×3, first 2 shown]
	v_pk_add_f32 v[6:7], v[6:7], v[2:3] op_sel_hi:[1,0] neg_lo:[0,1] neg_hi:[0,1]
	v_mul_f32_e32 v9, 0x3fb8aa3b, v7
	v_sub_f32_e32 v3, v10, v2
	v_mul_f32_e32 v10, 0x3fb8aa3b, v6
	v_fma_f32 v16, v7, s2, -v9
	v_rndne_f32_e32 v18, v9
	v_pk_add_f32 v[4:5], v[4:5], v[2:3] op_sel_hi:[1,0] neg_lo:[0,1] neg_hi:[0,1]
	v_mul_f32_e32 v12, 0x3fb8aa3b, v3
	v_fma_f32 v19, v6, s2, -v10
	v_rndne_f32_e32 v20, v10
	v_fmac_f32_e32 v16, 0x32a5705f, v7
	v_sub_f32_e32 v9, v9, v18
	v_mul_f32_e32 v13, 0x3fb8aa3b, v5
	v_fma_f32 v25, v3, s2, -v12
	v_rndne_f32_e32 v26, v12
	v_fmac_f32_e32 v19, 0x32a5705f, v6
	v_sub_f32_e32 v10, v10, v20
	v_add_f32_e32 v9, v9, v16
	v_mul_f32_e32 v14, 0x3fb8aa3b, v4
	v_fma_f32 v27, v5, s2, -v13
	v_rndne_f32_e32 v28, v13
	v_cvt_i32_f32_e32 v18, v18
	v_fmac_f32_e32 v25, 0x32a5705f, v3
	v_sub_f32_e32 v12, v12, v26
	v_add_f32_e32 v10, v10, v19
	v_exp_f32_e32 v9, v9
	v_fma_f32 v29, v4, s2, -v14
	v_rndne_f32_e32 v30, v14
	v_cvt_i32_f32_e32 v20, v20
	v_fmac_f32_e32 v27, 0x32a5705f, v5
	v_sub_f32_e32 v13, v13, v28
	v_add_f32_e32 v12, v12, v25
	v_exp_f32_e32 v10, v10
	v_cvt_i32_f32_e32 v26, v26
	v_fmac_f32_e32 v29, 0x32a5705f, v4
	v_sub_f32_e32 v14, v14, v30
	v_add_f32_e32 v13, v13, v27
	v_exp_f32_e32 v12, v12
	v_cvt_i32_f32_e32 v28, v28
	v_add_f32_e32 v14, v14, v29
	v_exp_f32_e32 v13, v13
	v_cvt_i32_f32_e32 v30, v30
	v_exp_f32_e32 v14, v14
	v_ldexp_f32 v9, v9, v18
	v_cmp_ngt_f32_e32 vcc, s0, v7
	v_ldexp_f32 v10, v10, v20
	v_cndmask_b32_e32 v9, 0, v9, vcc
	v_cmp_ngt_f32_e32 vcc, s0, v6
	v_ldexp_f32 v12, v12, v26
	v_cndmask_b32_e32 v10, 0, v10, vcc
	;; [unrolled: 3-line block ×4, first 2 shown]
	v_cmp_ngt_f32_e32 vcc, s0, v4
	v_pk_add_f32 v[0:1], v[0:1], v[2:3] op_sel_hi:[1,0] neg_lo:[0,1] neg_hi:[0,1]
	v_cndmask_b32_e32 v14, 0, v14, vcc
	v_cmp_nlt_f32_e32 vcc, s1, v7
	v_mul_f32_e32 v15, 0x3fb8aa3b, v1
	v_cndmask_b32_e32 v7, v8, v9, vcc
	v_cmp_nlt_f32_e32 vcc, s1, v6
	v_fma_f32 v31, v1, s2, -v15
	v_cndmask_b32_e32 v6, v8, v10, vcc
	v_cmp_nlt_f32_e32 vcc, s1, v3
	v_rndne_f32_e32 v10, v15
	v_fmac_f32_e32 v31, 0x32a5705f, v1
	v_cndmask_b32_e32 v3, v8, v12, vcc
	v_sub_f32_e32 v12, v15, v10
	v_add_f32_e32 v12, v12, v31
	v_exp_f32_e32 v12, v12
	v_cvt_i32_f32_e32 v10, v10
	v_cmp_nlt_f32_e32 vcc, s1, v5
	v_cndmask_b32_e32 v5, v8, v13, vcc
	v_cmp_nlt_f32_e32 vcc, s1, v4
	v_ldexp_f32 v10, v12, v10
	v_mul_f32_e32 v12, 0x3fb8aa3b, v0
	v_cndmask_b32_e32 v4, v8, v14, vcc
	v_fma_f32 v13, v0, s2, -v12
	v_rndne_f32_e32 v14, v12
	v_fmac_f32_e32 v13, 0x32a5705f, v0
	v_sub_f32_e32 v12, v12, v14
	v_add_f32_e32 v12, v12, v13
	v_exp_f32_e32 v12, v12
	v_cvt_i32_f32_e32 v13, v14
	v_cmp_ngt_f32_e32 vcc, s0, v1
	v_sub_f32_e32 v2, v11, v2
	v_cndmask_b32_e32 v10, 0, v10, vcc
	v_cmp_nlt_f32_e32 vcc, s1, v1
	v_mul_f32_e32 v11, 0x3fb8aa3b, v2
	v_cndmask_b32_e32 v1, v8, v10, vcc
	v_ldexp_f32 v10, v12, v13
	v_fma_f32 v12, v2, s2, -v11
	v_rndne_f32_e32 v13, v11
	v_fmac_f32_e32 v12, 0x32a5705f, v2
	v_sub_f32_e32 v11, v11, v13
	v_add_f32_e32 v11, v11, v12
	v_exp_f32_e32 v11, v11
	v_cvt_i32_f32_e32 v12, v13
	v_add_f32_e32 v9, v6, v7
	v_add_f32_e32 v9, v9, v3
	v_cmp_ngt_f32_e32 vcc, s0, v0
	v_add_f32_e32 v9, v9, v4
	v_cndmask_b32_e32 v10, 0, v10, vcc
	v_cmp_nlt_f32_e32 vcc, s1, v0
	v_add_f32_e32 v9, v9, v5
	v_cndmask_b32_e32 v0, v8, v10, vcc
	v_ldexp_f32 v10, v11, v12
	v_cmp_ngt_f32_e32 vcc, s0, v2
	v_add_f32_e32 v9, v9, v0
	v_cndmask_b32_e32 v10, 0, v10, vcc
	v_cmp_nlt_f32_e32 vcc, s1, v2
	v_add_f32_e32 v9, v9, v1
	v_cndmask_b32_e32 v10, v8, v10, vcc
	v_add_f32_e32 v2, v9, v10
	ds_bpermute_b32 v8, v22, v2
	s_movk_i32 s2, 0x1f8
	v_lshlrev_b32_e32 v25, 3, v21
	s_waitcnt lgkmcnt(0)
	v_add_f32_e32 v2, v2, v8
	ds_bpermute_b32 v8, v23, v2
	s_waitcnt lgkmcnt(0)
	v_add_f32_e32 v2, v2, v8
	ds_bpermute_b32 v8, v24, v2
	s_waitcnt lgkmcnt(0)
	v_add_f32_e32 v2, v2, v8
	v_div_scale_f32 v8, s[0:1], v2, v2, 1.0
	v_rcp_f32_e32 v9, v8
	s_load_dwordx2 s[0:1], s[4:5], 0x40
	v_fma_f32 v11, -v8, v9, 1.0
	v_fmac_f32_e32 v9, v11, v9
	v_div_scale_f32 v11, vcc, 1.0, v2, 1.0
	v_mul_f32_e32 v12, v11, v9
	v_fma_f32 v13, -v8, v12, v11
	v_fmac_f32_e32 v12, v13, v9
	v_fma_f32 v8, -v8, v12, v11
	v_div_fmas_f32 v8, v8, v9, v12
	v_div_fixup_f32 v2, v8, v2, 1.0
	v_mul_f32_e32 v11, v2, v6
	v_mul_f32_e32 v12, v2, v7
	;; [unrolled: 1-line block ×3, first 2 shown]
	v_cmp_class_f32_e64 vcc, v11, s2
	v_pk_mul_f32 v[8:9], v[2:3], v[0:1] op_sel_hi:[0,1]
	v_cndmask_b32_e32 v0, 0, v11, vcc
	v_cmp_class_f32_e64 vcc, v12, s2
	v_pk_mul_f32 v[6:7], v[2:3], v[4:5] op_sel_hi:[0,1]
	v_cndmask_b32_e32 v1, 0, v12, vcc
	v_cmp_class_f32_e64 vcc, v3, s2
	v_mov_b32_e32 v5, 0x207
	v_mul_f32_e32 v10, v2, v10
	v_cndmask_b32_e32 v2, 0, v3, vcc
	v_cmp_class_f32_e32 vcc, v7, v5
	v_cndmask_b32_e64 v4, v7, 0, vcc
	v_cmp_class_f32_e32 vcc, v6, v5
	v_cndmask_b32_e64 v3, v6, 0, vcc
	v_cmp_class_f32_e32 vcc, v9, v5
	v_cndmask_b32_e64 v6, v9, 0, vcc
	v_cmp_class_f32_e32 vcc, v8, v5
	v_cndmask_b32_e64 v5, v8, 0, vcc
	v_cmp_class_f32_e64 vcc, v10, s2
	s_waitcnt lgkmcnt(0)
	s_cmp_eq_u64 s[0:1], 0
	v_cndmask_b32_e32 v7, 0, v10, vcc
	s_cbranch_scc1 .LBB100_19
; %bb.4:
	v_lshlrev_b32_e32 v16, 2, v25
	global_load_dwordx4 v[8:11], v16, s[0:1]
	global_load_dwordx4 v[12:15], v16, s[0:1] offset:16
	s_waitcnt vmcnt(1)
	v_pk_add_f32 v[8:9], v[8:9], v[0:1]
	v_pk_add_f32 v[10:11], v[10:11], v[2:3]
	s_waitcnt vmcnt(0)
	v_pk_add_f32 v[12:13], v[12:13], v[4:5]
	v_pk_add_f32 v[14:15], v[14:15], v[6:7]
	s_cbranch_execnz .LBB100_6
.LBB100_5:
	v_pk_mov_b32 v[14:15], v[6:7], v[6:7] op_sel:[0,1]
	v_pk_mov_b32 v[12:13], v[4:5], v[4:5] op_sel:[0,1]
	;; [unrolled: 1-line block ×4, first 2 shown]
.LBB100_6:
	s_load_dwordx4 s[8:11], s[4:5], 0x30
	s_mov_b32 s25, 0
	v_cmp_eq_u32_e64 s[0:1], 0, v21
	s_waitcnt lgkmcnt(0)
	s_bitcmp1_b32 s11, 0
	s_cselect_b64 vcc, -1, 0
	s_cmp_gt_i32 s8, 0
	s_cselect_b64 s[20:21], -1, 0
	s_cmp_lt_i32 s8, 1
	s_cbranch_scc1 .LBB100_20
; %bb.7:
	s_load_dwordx4 s[12:15], s[4:5], 0x20
	v_mul_lo_u32 v27, v17, s8
	v_mov_b32_e32 v26, 0
	v_mov_b32_e32 v28, 0xc61c4000
	;; [unrolled: 1-line block ×3, first 2 shown]
	s_branch .LBB100_10
.LBB100_8:                              ;   in Loop: Header=BB100_10 Depth=1
	s_or_b64 exec, exec, s[4:5]
.LBB100_9:                              ;   in Loop: Header=BB100_10 Depth=1
	s_cmp_eq_u32 s8, s25
	v_add_u32_e32 v29, s24, v29
	s_cbranch_scc1 .LBB100_21
.LBB100_10:                             ; =>This Inner Loop Header: Depth=1
	v_cmp_gt_f32_e64 s[2:3], v9, v8
	v_cndmask_b32_e64 v16, v8, v9, s[2:3]
	v_cndmask_b32_e64 v18, v0, v1, s[2:3]
	s_waitcnt lgkmcnt(0)
	v_cndmask_b32_e64 v19, 0, 1, s[2:3]
	v_cmp_gt_f32_e64 s[2:3], v10, v16
	v_cndmask_b32_e64 v16, v16, v10, s[2:3]
	v_cndmask_b32_e64 v18, v18, v2, s[2:3]
	v_cndmask_b32_e64 v19, v19, 2, s[2:3]
	v_cmp_gt_f32_e64 s[2:3], v11, v16
	v_cndmask_b32_e64 v16, v16, v11, s[2:3]
	v_cndmask_b32_e64 v18, v18, v3, s[2:3]
	;; [unrolled: 4-line block ×6, first 2 shown]
	v_or_b32_e32 v19, v25, v19
	ds_bpermute_b32 v20, v22, v16
	ds_bpermute_b32 v30, v22, v19
	v_cndmask_b32_e64 v18, v18, v7, s[2:3]
	ds_bpermute_b32 v32, v22, v18
	s_waitcnt lgkmcnt(0)
	v_cmp_eq_f32_e64 s[4:5], v16, v20
	v_cmp_lt_i32_e64 s[6:7], v30, v19
	v_cmp_lt_f32_e64 s[2:3], v16, v20
	s_and_b64 s[4:5], s[4:5], s[6:7]
	s_or_b64 s[2:3], s[2:3], s[4:5]
	v_cndmask_b32_e64 v31, v16, v20, s[2:3]
	v_cndmask_b32_e64 v30, v19, v30, s[2:3]
	;; [unrolled: 1-line block ×3, first 2 shown]
	ds_bpermute_b32 v33, v23, v31
	ds_bpermute_b32 v20, v23, v16
	;; [unrolled: 1-line block ×3, first 2 shown]
                                        ; implicit-def: $vgpr18_vgpr19
	s_waitcnt lgkmcnt(2)
	v_cmp_lt_f32_e64 s[6:7], v31, v33
	v_cmp_nlt_f32_e64 s[2:3], v31, v33
	s_and_saveexec_b64 s[22:23], s[2:3]
	s_cbranch_execz .LBB100_12
; %bb.11:                               ;   in Loop: Header=BB100_10 Depth=1
	v_cmp_eq_f32_e64 s[2:3], v31, v33
	s_waitcnt lgkmcnt(0)
	v_cmp_lt_i32_e64 s[4:5], v32, v30
	s_and_b64 s[2:3], s[2:3], s[4:5]
	s_andn2_b64 s[4:5], s[6:7], exec
	s_and_b64 s[2:3], s[2:3], exec
	s_or_b64 s[6:7], s[4:5], s[2:3]
	v_pk_mov_b32 v[18:19], v[16:17], v[16:17] op_sel:[0,1]
.LBB100_12:                             ;   in Loop: Header=BB100_10 Depth=1
	s_or_b64 exec, exec, s[22:23]
	s_and_saveexec_b64 s[2:3], s[6:7]
	s_cbranch_execz .LBB100_14
; %bb.13:                               ;   in Loop: Header=BB100_10 Depth=1
	v_mov_b32_e32 v31, v33
	s_waitcnt lgkmcnt(1)
	v_mov_b32_e32 v16, v20
	s_waitcnt lgkmcnt(0)
	v_mov_b32_e32 v30, v32
	v_pk_mov_b32 v[18:19], v[20:21], v[20:21] op_sel:[0,1]
.LBB100_14:                             ;   in Loop: Header=BB100_10 Depth=1
	s_or_b64 exec, exec, s[2:3]
	s_waitcnt lgkmcnt(1)
	ds_bpermute_b32 v20, v24, v31
	s_waitcnt lgkmcnt(1)
	ds_bpermute_b32 v32, v24, v30
	ds_bpermute_b32 v19, v24, v16
	s_waitcnt lgkmcnt(2)
	v_cmp_eq_f32_e64 s[4:5], v31, v20
	s_waitcnt lgkmcnt(1)
	v_cmp_lt_i32_e64 s[6:7], v32, v30
	v_cmp_lt_f32_e64 s[2:3], v31, v20
	s_and_b64 s[4:5], s[4:5], s[6:7]
	s_or_b64 s[2:3], s[2:3], s[4:5]
	v_cndmask_b32_e64 v16, v30, v32, s[2:3]
	s_and_saveexec_b64 s[6:7], s[0:1]
	s_cbranch_execnz .LBB100_16
; %bb.15:                               ;   in Loop: Header=BB100_10 Depth=1
	s_or_b64 exec, exec, s[6:7]
	s_add_i32 s25, s25, 1
	s_cmp_ge_i32 s25, s8
	s_cbranch_scc1 .LBB100_9
	s_branch .LBB100_17
.LBB100_16:                             ;   in Loop: Header=BB100_10 Depth=1
	s_waitcnt lgkmcnt(0)
	v_cndmask_b32_e64 v20, v18, v19, s[2:3]
	v_add_u32_e32 v18, s25, v27
	v_ashrrev_i32_e32 v19, 31, v18
	v_cmp_le_i32_e64 s[2:3], s9, v16
	v_cmp_gt_i32_e64 s[4:5], s10, v16
	v_lshlrev_b64 v[18:19], 2, v[18:19]
	s_and_b64 s[4:5], s[2:3], s[4:5]
	v_mov_b32_e32 v31, s17
	v_add_co_u32_e64 v30, s[2:3], s16, v18
	v_addc_co_u32_e64 v31, s[2:3], v31, v19, s[2:3]
	global_store_dword v[30:31], v20, off
	v_subrev_u32_e32 v30, s9, v16
	s_and_b64 s[2:3], s[18:19], s[4:5]
	v_cndmask_b32_e64 v32, 64, v30, s[2:3]
	v_mov_b32_e32 v31, s13
	v_add_co_u32_e64 v30, s[2:3], s12, v18
	v_addc_co_u32_e64 v31, s[2:3], v31, v19, s[2:3]
	global_store_dword v[30:31], v32, off
	v_mov_b32_e32 v30, s15
	v_add_co_u32_e64 v18, s[2:3], s14, v18
	v_addc_co_u32_e64 v19, s[2:3], v30, v19, s[2:3]
	global_store_dword v[18:19], v29, off
	v_add_f32_e32 v18, v26, v20
	v_cndmask_b32_e32 v26, v26, v18, vcc
	s_or_b64 exec, exec, s[6:7]
	s_add_i32 s25, s25, 1
	s_cmp_ge_i32 s25, s8
	s_cbranch_scc1 .LBB100_9
.LBB100_17:                             ;   in Loop: Header=BB100_10 Depth=1
	s_waitcnt lgkmcnt(0)
	v_ashrrev_i32_e32 v19, 31, v16
	v_lshrrev_b32_e32 v18, 29, v19
	v_add_u32_e32 v18, v16, v18
	v_ashrrev_i32_e32 v18, 3, v18
	v_lshrrev_b32_e32 v20, 29, v18
	v_add_u32_e32 v20, v18, v20
	v_and_b32_e32 v20, -8, v20
	v_sub_u32_e32 v20, v18, v20
	v_cmp_eq_u32_e64 s[2:3], v21, v20
	s_and_saveexec_b64 s[4:5], s[2:3]
	s_cbranch_execz .LBB100_8
; %bb.18:                               ;   in Loop: Header=BB100_10 Depth=1
	v_lshrrev_b32_e32 v19, 26, v19
	v_add_u32_e32 v19, v16, v19
	v_lshlrev_b32_e32 v18, 3, v18
	v_ashrrev_i32_e32 v19, 6, v19
	v_sub_u32_e32 v16, v16, v18
	v_lshl_add_u32 v16, v19, 3, v16
	v_cmp_ne_u32_e64 s[2:3], 7, v16
	v_cndmask_b32_e64 v15, v28, v15, s[2:3]
	v_cmp_ne_u32_e64 s[2:3], 6, v16
	v_cndmask_b32_e64 v14, v28, v14, s[2:3]
	v_cmp_ne_u32_e64 s[2:3], 5, v16
	v_cndmask_b32_e64 v13, v28, v13, s[2:3]
	v_cmp_ne_u32_e64 s[2:3], 4, v16
	v_cndmask_b32_e64 v12, v28, v12, s[2:3]
	v_cmp_ne_u32_e64 s[2:3], 3, v16
	v_cndmask_b32_e64 v11, v28, v11, s[2:3]
	v_cmp_ne_u32_e64 s[2:3], 2, v16
	v_cndmask_b32_e64 v10, v28, v10, s[2:3]
	v_cmp_ne_u32_e64 s[2:3], 1, v16
	v_cndmask_b32_e64 v9, v28, v9, s[2:3]
	v_cmp_ne_u32_e64 s[2:3], 0, v16
	v_cndmask_b32_e64 v8, v28, v8, s[2:3]
	s_branch .LBB100_8
.LBB100_19:
                                        ; implicit-def: $vgpr8_vgpr9_vgpr10_vgpr11_vgpr12_vgpr13_vgpr14_vgpr15
	s_andn2_b64 vcc, exec, s[6:7]
	s_cbranch_vccz .LBB100_5
	s_branch .LBB100_6
.LBB100_20:
	v_mov_b32_e32 v26, 0
.LBB100_21:
	v_cmp_eq_u32_e64 s[0:1], 0, v21
	s_and_b64 s[0:1], s[0:1], vcc
	s_and_b64 exec, exec, s[0:1]
	s_cbranch_execz .LBB100_30
; %bb.22:
	s_andn2_b64 vcc, exec, s[20:21]
	s_cbranch_vccnz .LBB100_30
; %bb.23:
	v_cmp_lt_f32_e32 vcc, 0, v26
	s_mov_b32 s2, 0
	v_cndmask_b32_e32 v0, 1.0, v26, vcc
	v_mul_lo_u32 v4, v17, s8
	s_cmp_eq_u32 s8, 1
	s_mov_b64 s[0:1], -1
	s_cbranch_scc1 .LBB100_27
; %bb.24:
	s_and_b32 s2, s8, 0x7ffffffe
	v_mov_b32_e32 v1, v0
	v_mov_b32_e32 v5, s17
	s_mov_b32 s3, s2
	v_mov_b32_e32 v2, v4
.LBB100_25:                             ; =>This Inner Loop Header: Depth=1
	v_ashrrev_i32_e32 v3, 31, v2
	v_lshlrev_b64 v[6:7], 2, v[2:3]
	v_add_co_u32_e32 v6, vcc, s16, v6
	v_addc_co_u32_e32 v7, vcc, v5, v7, vcc
	global_load_dwordx2 v[8:9], v[6:7], off
	s_add_i32 s3, s3, -2
	s_cmp_lg_u32 s3, 0
	v_add_u32_e32 v2, 2, v2
	s_waitcnt vmcnt(0)
	v_div_scale_f32 v3, s[0:1], v1, v1, v9
	v_div_scale_f32 v11, s[0:1], v0, v0, v8
	v_rcp_f32_e32 v12, v3
	v_rcp_f32_e32 v13, v11
	v_div_scale_f32 v10, vcc, v9, v1, v9
	v_fma_f32 v15, -v3, v12, 1.0
	v_fma_f32 v16, -v11, v13, 1.0
	v_fmac_f32_e32 v12, v15, v12
	v_div_scale_f32 v14, s[0:1], v8, v0, v8
	v_fmac_f32_e32 v13, v16, v13
	v_mul_f32_e32 v15, v10, v12
	v_mul_f32_e32 v16, v14, v13
	v_fma_f32 v17, -v3, v15, v10
	v_fma_f32 v18, -v11, v16, v14
	v_fmac_f32_e32 v15, v17, v12
	v_fmac_f32_e32 v16, v18, v13
	v_fma_f32 v3, -v3, v15, v10
	v_fma_f32 v10, -v11, v16, v14
	v_div_fmas_f32 v3, v3, v12, v15
	s_mov_b64 vcc, s[0:1]
	v_div_fixup_f32 v9, v3, v1, v9
	v_div_fmas_f32 v3, v10, v13, v16
	v_div_fixup_f32 v8, v3, v0, v8
	global_store_dwordx2 v[6:7], v[8:9], off
	s_cbranch_scc1 .LBB100_25
; %bb.26:
	s_cmp_lg_u32 s2, s8
	s_cselect_b64 s[0:1], -1, 0
.LBB100_27:
	s_and_b64 vcc, exec, s[0:1]
	s_cbranch_vccz .LBB100_30
; %bb.28:
	v_ashrrev_i32_e32 v1, 31, v4
	v_add_co_u32_e32 v2, vcc, s2, v4
	v_addc_co_u32_e32 v3, vcc, 0, v1, vcc
	v_lshlrev_b64 v[2:3], 2, v[2:3]
	v_mov_b32_e32 v1, s17
	v_add_co_u32_e32 v2, vcc, s16, v2
	s_sub_i32 s0, s8, s2
	v_addc_co_u32_e32 v3, vcc, v1, v3, vcc
.LBB100_29:                             ; =>This Inner Loop Header: Depth=1
	global_load_dword v1, v[2:3], off
	s_add_i32 s0, s0, -1
	s_cmp_lg_u32 s0, 0
	s_waitcnt vmcnt(0)
	v_div_scale_f32 v4, s[2:3], v0, v0, v1
	v_rcp_f32_e32 v5, v4
	v_div_scale_f32 v6, vcc, v1, v0, v1
	v_fma_f32 v7, -v4, v5, 1.0
	v_fmac_f32_e32 v5, v7, v5
	v_mul_f32_e32 v7, v6, v5
	v_fma_f32 v8, -v4, v7, v6
	v_fmac_f32_e32 v7, v8, v5
	v_fma_f32 v4, -v4, v7, v6
	v_div_fmas_f32 v4, v4, v5, v7
	v_div_fixup_f32 v1, v4, v0, v1
	global_store_dword v[2:3], v1, off
	v_add_co_u32_e32 v2, vcc, 4, v2
	v_addc_co_u32_e32 v3, vcc, 0, v3, vcc
	s_cbranch_scc1 .LBB100_29
.LBB100_30:
	s_endpgm
	.section	.rodata,"a",@progbits
	.p2align	6, 0x0
	.amdhsa_kernel _ZN4vllm3moe10topkGatingILi8ELi64ELi4ELi16ELi32Ej6__halfLNS0_11ScoringFuncE0EEEvPKT5_PKbPfiPT4_PiiiibPKf
		.amdhsa_group_segment_fixed_size 0
		.amdhsa_private_segment_fixed_size 0
		.amdhsa_kernarg_size 72
		.amdhsa_user_sgpr_count 6
		.amdhsa_user_sgpr_private_segment_buffer 1
		.amdhsa_user_sgpr_dispatch_ptr 0
		.amdhsa_user_sgpr_queue_ptr 0
		.amdhsa_user_sgpr_kernarg_segment_ptr 1
		.amdhsa_user_sgpr_dispatch_id 0
		.amdhsa_user_sgpr_flat_scratch_init 0
		.amdhsa_user_sgpr_kernarg_preload_length 0
		.amdhsa_user_sgpr_kernarg_preload_offset 0
		.amdhsa_user_sgpr_private_segment_size 0
		.amdhsa_uses_dynamic_stack 0
		.amdhsa_system_sgpr_private_segment_wavefront_offset 0
		.amdhsa_system_sgpr_workgroup_id_x 1
		.amdhsa_system_sgpr_workgroup_id_y 0
		.amdhsa_system_sgpr_workgroup_id_z 0
		.amdhsa_system_sgpr_workgroup_info 0
		.amdhsa_system_vgpr_workitem_id 1
		.amdhsa_next_free_vgpr 34
		.amdhsa_next_free_sgpr 26
		.amdhsa_accum_offset 36
		.amdhsa_reserve_vcc 1
		.amdhsa_reserve_flat_scratch 0
		.amdhsa_float_round_mode_32 0
		.amdhsa_float_round_mode_16_64 0
		.amdhsa_float_denorm_mode_32 3
		.amdhsa_float_denorm_mode_16_64 3
		.amdhsa_dx10_clamp 1
		.amdhsa_ieee_mode 1
		.amdhsa_fp16_overflow 0
		.amdhsa_tg_split 0
		.amdhsa_exception_fp_ieee_invalid_op 0
		.amdhsa_exception_fp_denorm_src 0
		.amdhsa_exception_fp_ieee_div_zero 0
		.amdhsa_exception_fp_ieee_overflow 0
		.amdhsa_exception_fp_ieee_underflow 0
		.amdhsa_exception_fp_ieee_inexact 0
		.amdhsa_exception_int_div_zero 0
	.end_amdhsa_kernel
	.section	.text._ZN4vllm3moe10topkGatingILi8ELi64ELi4ELi16ELi32Ej6__halfLNS0_11ScoringFuncE0EEEvPKT5_PKbPfiPT4_PiiiibPKf,"axG",@progbits,_ZN4vllm3moe10topkGatingILi8ELi64ELi4ELi16ELi32Ej6__halfLNS0_11ScoringFuncE0EEEvPKT5_PKbPfiPT4_PiiiibPKf,comdat
.Lfunc_end100:
	.size	_ZN4vllm3moe10topkGatingILi8ELi64ELi4ELi16ELi32Ej6__halfLNS0_11ScoringFuncE0EEEvPKT5_PKbPfiPT4_PiiiibPKf, .Lfunc_end100-_ZN4vllm3moe10topkGatingILi8ELi64ELi4ELi16ELi32Ej6__halfLNS0_11ScoringFuncE0EEEvPKT5_PKbPfiPT4_PiiiibPKf
                                        ; -- End function
	.section	.AMDGPU.csdata,"",@progbits
; Kernel info:
; codeLenInByte = 2944
; NumSgprs: 30
; NumVgprs: 34
; NumAgprs: 0
; TotalNumVgprs: 34
; ScratchSize: 0
; MemoryBound: 0
; FloatMode: 240
; IeeeMode: 1
; LDSByteSize: 0 bytes/workgroup (compile time only)
; SGPRBlocks: 3
; VGPRBlocks: 4
; NumSGPRsForWavesPerEU: 30
; NumVGPRsForWavesPerEU: 34
; AccumOffset: 36
; Occupancy: 8
; WaveLimiterHint : 0
; COMPUTE_PGM_RSRC2:SCRATCH_EN: 0
; COMPUTE_PGM_RSRC2:USER_SGPR: 6
; COMPUTE_PGM_RSRC2:TRAP_HANDLER: 0
; COMPUTE_PGM_RSRC2:TGID_X_EN: 1
; COMPUTE_PGM_RSRC2:TGID_Y_EN: 0
; COMPUTE_PGM_RSRC2:TGID_Z_EN: 0
; COMPUTE_PGM_RSRC2:TIDIG_COMP_CNT: 1
; COMPUTE_PGM_RSRC3_GFX90A:ACCUM_OFFSET: 8
; COMPUTE_PGM_RSRC3_GFX90A:TG_SPLIT: 0
	.section	.text._ZN4vllm3moe10topkGatingILi8ELi128ELi4ELi16ELi64Ej6__halfLNS0_11ScoringFuncE0EEEvPKT5_PKbPfiPT4_PiiiibPKf,"axG",@progbits,_ZN4vllm3moe10topkGatingILi8ELi128ELi4ELi16ELi64Ej6__halfLNS0_11ScoringFuncE0EEEvPKT5_PKbPfiPT4_PiiiibPKf,comdat
	.protected	_ZN4vllm3moe10topkGatingILi8ELi128ELi4ELi16ELi64Ej6__halfLNS0_11ScoringFuncE0EEEvPKT5_PKbPfiPT4_PiiiibPKf ; -- Begin function _ZN4vllm3moe10topkGatingILi8ELi128ELi4ELi16ELi64Ej6__halfLNS0_11ScoringFuncE0EEEvPKT5_PKbPfiPT4_PiiiibPKf
	.globl	_ZN4vllm3moe10topkGatingILi8ELi128ELi4ELi16ELi64Ej6__halfLNS0_11ScoringFuncE0EEEvPKT5_PKbPfiPT4_PiiiibPKf
	.p2align	8
	.type	_ZN4vllm3moe10topkGatingILi8ELi128ELi4ELi16ELi64Ej6__halfLNS0_11ScoringFuncE0EEEvPKT5_PKbPfiPT4_PiiiibPKf,@function
_ZN4vllm3moe10topkGatingILi8ELi128ELi4ELi16ELi64Ej6__halfLNS0_11ScoringFuncE0EEEvPKT5_PKbPfiPT4_PiiiibPKf: ; @_ZN4vllm3moe10topkGatingILi8ELi128ELi4ELi16ELi64Ej6__halfLNS0_11ScoringFuncE0EEEvPKT5_PKbPfiPT4_PiiiibPKf
; %bb.0:
	s_load_dword s24, s[4:5], 0x18
	v_bfe_u32 v1, v0, 10, 10
	v_and_b32_e32 v0, 0x3ff, v0
	s_lshl_b32 s0, s6, 4
	v_lshlrev_b32_e32 v1, 2, v1
	v_lshrrev_b32_e32 v2, 4, v0
	v_add3_u32 v17, s0, v1, v2
	s_waitcnt lgkmcnt(0)
	v_cmp_gt_i32_e32 vcc, s24, v17
	s_and_saveexec_b64 s[0:1], vcc
	s_cbranch_execz .LBB101_34
; %bb.1:
	s_load_dwordx4 s[0:3], s[4:5], 0x0
	s_load_dwordx2 s[16:17], s[4:5], 0x10
	s_mov_b64 s[6:7], -1
	s_mov_b64 s[18:19], -1
	s_waitcnt lgkmcnt(0)
	s_cmp_eq_u64 s[2:3], 0
	s_cbranch_scc1 .LBB101_3
; %bb.2:
	v_ashrrev_i32_e32 v1, 31, v17
	v_mov_b32_e32 v3, s3
	v_add_co_u32_e32 v2, vcc, s2, v17
	v_addc_co_u32_e32 v3, vcc, v3, v1, vcc
	global_load_ubyte v1, v[2:3], off
	s_waitcnt vmcnt(0)
	v_and_b32_e32 v1, 1, v1
	v_cmp_eq_u32_e32 vcc, 1, v1
	s_xor_b64 s[2:3], vcc, -1
	s_orn2_b64 s[18:19], s[2:3], exec
.LBB101_3:
	v_lshlrev_b32_e32 v2, 7, v17
	v_ashrrev_i32_e32 v3, 31, v2
	v_lshlrev_b64 v[2:3], 1, v[2:3]
	v_mov_b32_e32 v1, s1
	v_add_co_u32_e32 v2, vcc, s0, v2
	v_and_b32_e32 v21, 15, v0
	v_addc_co_u32_e32 v1, vcc, v1, v3, vcc
	v_lshlrev_b32_e32 v0, 4, v21
	v_add_co_u32_e32 v0, vcc, v2, v0
	v_addc_co_u32_e32 v1, vcc, 0, v1, vcc
	global_load_dwordx4 v[0:3], v[0:1], off
	v_mbcnt_lo_u32_b32 v4, -1, 0
	v_mbcnt_hi_u32_b32 v6, -1, v4
	v_and_b32_e32 v4, 0x70, v6
	v_xor_b32_e32 v5, 8, v6
	v_add_u32_e32 v7, 16, v4
	v_cmp_lt_i32_e32 vcc, v5, v7
	v_cndmask_b32_e32 v4, v6, v5, vcc
	v_lshlrev_b32_e32 v22, 2, v4
	v_xor_b32_e32 v12, 4, v6
	v_cmp_lt_i32_e32 vcc, v12, v7
	v_cndmask_b32_e32 v12, v6, v12, vcc
	v_lshlrev_b32_e32 v23, 2, v12
	v_xor_b32_e32 v12, 2, v6
	;; [unrolled: 4-line block ×3, first 2 shown]
	v_cmp_lt_i32_e32 vcc, v12, v7
	v_cndmask_b32_e32 v6, v6, v12, vcc
	v_lshlrev_b32_e32 v25, 2, v6
	s_mov_b32 s2, 0x3fb8aa3b
	s_mov_b32 s0, 0xc2ce8ed0
	;; [unrolled: 1-line block ×3, first 2 shown]
	v_mov_b32_e32 v6, 0x7f800000
	s_waitcnt vmcnt(0)
	v_cvt_f32_f16_e32 v8, v0
	v_cvt_f32_f16_sdwa v9, v0 dst_sel:DWORD dst_unused:UNUSED_PAD src0_sel:WORD_1
	v_cvt_f32_f16_e32 v10, v1
	v_cvt_f32_f16_sdwa v4, v1 dst_sel:DWORD dst_unused:UNUSED_PAD src0_sel:WORD_1
	;; [unrolled: 2-line block ×3, first 2 shown]
	v_cvt_f32_f16_sdwa v11, v3 dst_sel:DWORD dst_unused:UNUSED_PAD src0_sel:WORD_1
	v_cvt_f32_f16_e32 v1, v3
	v_max_f32_e32 v2, v8, v9
	v_max3_f32 v2, v2, v10, v4
	v_max3_f32 v2, v2, v5, v0
	;; [unrolled: 1-line block ×3, first 2 shown]
	ds_bpermute_b32 v3, v22, v2
	s_waitcnt lgkmcnt(0)
	v_max_f32_e32 v3, v3, v3
	v_max_f32_e32 v2, v2, v3
	ds_bpermute_b32 v3, v23, v2
	s_waitcnt lgkmcnt(0)
	v_max_f32_e32 v3, v3, v3
	v_max_f32_e32 v2, v2, v3
	;; [unrolled: 4-line block ×4, first 2 shown]
	v_sub_f32_e32 v3, v8, v2
	v_sub_f32_e32 v7, v9, v2
	v_mul_f32_e32 v9, 0x3fb8aa3b, v3
	v_sub_f32_e32 v8, v10, v2
	v_mul_f32_e32 v10, 0x3fb8aa3b, v7
	v_fma_f32 v16, v3, s2, -v9
	v_rndne_f32_e32 v18, v9
	v_pk_add_f32 v[4:5], v[4:5], v[2:3] op_sel_hi:[1,0] neg_lo:[0,1] neg_hi:[0,1]
	v_mul_f32_e32 v12, 0x3fb8aa3b, v8
	v_fma_f32 v19, v7, s2, -v10
	v_rndne_f32_e32 v20, v10
	v_fmac_f32_e32 v16, 0x32a5705f, v3
	v_sub_f32_e32 v9, v9, v18
	v_mul_f32_e32 v13, 0x3fb8aa3b, v5
	v_fma_f32 v26, v8, s2, -v12
	v_rndne_f32_e32 v27, v12
	v_fmac_f32_e32 v19, 0x32a5705f, v7
	v_sub_f32_e32 v10, v10, v20
	v_add_f32_e32 v9, v9, v16
	v_mul_f32_e32 v14, 0x3fb8aa3b, v4
	v_fma_f32 v28, v5, s2, -v13
	v_rndne_f32_e32 v29, v13
	v_cvt_i32_f32_e32 v18, v18
	v_fmac_f32_e32 v26, 0x32a5705f, v8
	v_sub_f32_e32 v12, v12, v27
	v_add_f32_e32 v10, v10, v19
	v_exp_f32_e32 v9, v9
	v_fma_f32 v30, v4, s2, -v14
	v_rndne_f32_e32 v31, v14
	v_cvt_i32_f32_e32 v20, v20
	v_fmac_f32_e32 v28, 0x32a5705f, v5
	v_sub_f32_e32 v13, v13, v29
	v_add_f32_e32 v12, v12, v26
	v_exp_f32_e32 v10, v10
	v_cvt_i32_f32_e32 v27, v27
	v_fmac_f32_e32 v30, 0x32a5705f, v4
	v_sub_f32_e32 v14, v14, v31
	v_add_f32_e32 v13, v13, v28
	v_exp_f32_e32 v12, v12
	v_cvt_i32_f32_e32 v29, v29
	v_add_f32_e32 v14, v14, v30
	v_exp_f32_e32 v13, v13
	v_cvt_i32_f32_e32 v31, v31
	v_exp_f32_e32 v14, v14
	v_ldexp_f32 v9, v9, v18
	v_cmp_ngt_f32_e32 vcc, s0, v3
	v_ldexp_f32 v10, v10, v20
	v_cndmask_b32_e32 v9, 0, v9, vcc
	v_cmp_ngt_f32_e32 vcc, s0, v7
	v_ldexp_f32 v12, v12, v27
	v_cndmask_b32_e32 v10, 0, v10, vcc
	;; [unrolled: 3-line block ×4, first 2 shown]
	v_cmp_ngt_f32_e32 vcc, s0, v4
	v_pk_add_f32 v[0:1], v[0:1], v[2:3] op_sel_hi:[1,0] neg_lo:[0,1] neg_hi:[0,1]
	v_cndmask_b32_e32 v14, 0, v14, vcc
	v_cmp_nlt_f32_e32 vcc, s1, v3
	v_mul_f32_e32 v15, 0x3fb8aa3b, v1
	v_cndmask_b32_e32 v3, v6, v9, vcc
	v_cmp_nlt_f32_e32 vcc, s1, v7
	v_fma_f32 v32, v1, s2, -v15
	v_cndmask_b32_e32 v7, v6, v10, vcc
	v_cmp_nlt_f32_e32 vcc, s1, v8
	v_rndne_f32_e32 v10, v15
	v_cndmask_b32_e32 v8, v6, v12, vcc
	v_fmac_f32_e32 v32, 0x32a5705f, v1
	v_sub_f32_e32 v12, v15, v10
	v_add_f32_e32 v12, v12, v32
	v_exp_f32_e32 v12, v12
	v_cvt_i32_f32_e32 v10, v10
	v_cmp_nlt_f32_e32 vcc, s1, v5
	v_cndmask_b32_e32 v5, v6, v13, vcc
	v_cmp_nlt_f32_e32 vcc, s1, v4
	v_ldexp_f32 v10, v12, v10
	v_mul_f32_e32 v12, 0x3fb8aa3b, v0
	v_cndmask_b32_e32 v4, v6, v14, vcc
	v_fma_f32 v13, v0, s2, -v12
	v_rndne_f32_e32 v14, v12
	v_fmac_f32_e32 v13, 0x32a5705f, v0
	v_sub_f32_e32 v12, v12, v14
	v_add_f32_e32 v12, v12, v13
	v_exp_f32_e32 v12, v12
	v_cvt_i32_f32_e32 v13, v14
	v_cmp_ngt_f32_e32 vcc, s0, v1
	v_sub_f32_e32 v2, v11, v2
	v_cndmask_b32_e32 v10, 0, v10, vcc
	v_cmp_nlt_f32_e32 vcc, s1, v1
	v_mul_f32_e32 v11, 0x3fb8aa3b, v2
	v_cndmask_b32_e32 v1, v6, v10, vcc
	v_ldexp_f32 v10, v12, v13
	v_fma_f32 v12, v2, s2, -v11
	v_rndne_f32_e32 v13, v11
	v_fmac_f32_e32 v12, 0x32a5705f, v2
	v_sub_f32_e32 v11, v11, v13
	v_add_f32_e32 v11, v11, v12
	v_exp_f32_e32 v11, v11
	v_cvt_i32_f32_e32 v12, v13
	v_add_f32_e32 v9, v3, v7
	v_add_f32_e32 v9, v9, v8
	v_cmp_ngt_f32_e32 vcc, s0, v0
	v_add_f32_e32 v9, v9, v4
	v_cndmask_b32_e32 v10, 0, v10, vcc
	v_cmp_nlt_f32_e32 vcc, s1, v0
	v_add_f32_e32 v9, v9, v5
	v_cndmask_b32_e32 v0, v6, v10, vcc
	v_ldexp_f32 v10, v11, v12
	v_cmp_ngt_f32_e32 vcc, s0, v2
	v_add_f32_e32 v9, v9, v0
	v_cndmask_b32_e32 v10, 0, v10, vcc
	v_cmp_nlt_f32_e32 vcc, s1, v2
	v_add_f32_e32 v9, v9, v1
	v_cndmask_b32_e32 v10, v6, v10, vcc
	v_add_f32_e32 v2, v9, v10
	ds_bpermute_b32 v6, v22, v2
	s_movk_i32 s2, 0x1f8
	v_lshlrev_b32_e32 v26, 3, v21
	s_waitcnt lgkmcnt(0)
	v_add_f32_e32 v2, v2, v6
	ds_bpermute_b32 v6, v23, v2
	s_waitcnt lgkmcnt(0)
	v_add_f32_e32 v2, v2, v6
	ds_bpermute_b32 v6, v24, v2
	;; [unrolled: 3-line block ×3, first 2 shown]
	s_waitcnt lgkmcnt(0)
	v_add_f32_e32 v2, v2, v6
	v_div_scale_f32 v6, s[0:1], v2, v2, 1.0
	v_rcp_f32_e32 v9, v6
	s_load_dwordx2 s[0:1], s[4:5], 0x40
	v_fma_f32 v11, -v6, v9, 1.0
	v_fmac_f32_e32 v9, v11, v9
	v_div_scale_f32 v11, vcc, 1.0, v2, 1.0
	v_mul_f32_e32 v12, v11, v9
	v_fma_f32 v13, -v6, v12, v11
	v_fmac_f32_e32 v12, v13, v9
	v_fma_f32 v6, -v6, v12, v11
	v_div_fmas_f32 v6, v6, v9, v12
	v_div_fixup_f32 v2, v6, v2, 1.0
	v_mul_f32_e32 v3, v2, v3
	v_mul_f32_e32 v11, v2, v7
	v_cmp_class_f32_e64 vcc, v3, s2
	v_mul_f32_e32 v12, v2, v8
	v_pk_mul_f32 v[8:9], v[2:3], v[0:1] op_sel_hi:[0,1]
	v_cndmask_b32_e32 v0, 0, v3, vcc
	v_cmp_class_f32_e64 vcc, v11, s2
	v_pk_mul_f32 v[6:7], v[2:3], v[4:5] op_sel_hi:[0,1]
	v_cndmask_b32_e32 v1, 0, v11, vcc
	v_cmp_class_f32_e64 vcc, v12, s2
	v_mov_b32_e32 v5, 0x207
	v_mul_f32_e32 v10, v2, v10
	v_cndmask_b32_e32 v2, 0, v12, vcc
	v_cmp_class_f32_e32 vcc, v7, v5
	v_cndmask_b32_e64 v4, v7, 0, vcc
	v_cmp_class_f32_e32 vcc, v6, v5
	v_cndmask_b32_e64 v3, v6, 0, vcc
	;; [unrolled: 2-line block ×4, first 2 shown]
	v_cmp_class_f32_e64 vcc, v10, s2
	s_waitcnt lgkmcnt(0)
	s_cmp_eq_u64 s[0:1], 0
	v_cndmask_b32_e32 v7, 0, v10, vcc
	s_cbranch_scc1 .LBB101_23
; %bb.4:
	v_lshlrev_b32_e32 v16, 2, v26
	global_load_dwordx4 v[8:11], v16, s[0:1]
	global_load_dwordx4 v[12:15], v16, s[0:1] offset:16
	s_waitcnt vmcnt(1)
	v_pk_add_f32 v[8:9], v[8:9], v[0:1]
	v_pk_add_f32 v[10:11], v[10:11], v[2:3]
	s_waitcnt vmcnt(0)
	v_pk_add_f32 v[12:13], v[12:13], v[4:5]
	v_pk_add_f32 v[14:15], v[14:15], v[6:7]
	s_cbranch_execnz .LBB101_6
.LBB101_5:
	v_pk_mov_b32 v[14:15], v[6:7], v[6:7] op_sel:[0,1]
	v_pk_mov_b32 v[12:13], v[4:5], v[4:5] op_sel:[0,1]
	;; [unrolled: 1-line block ×4, first 2 shown]
.LBB101_6:
	s_load_dwordx4 s[8:11], s[4:5], 0x30
	s_mov_b32 s25, 0
	v_cmp_eq_u32_e64 s[0:1], 0, v21
	s_waitcnt lgkmcnt(0)
	s_bitcmp1_b32 s11, 0
	s_cselect_b64 vcc, -1, 0
	s_cmp_gt_i32 s8, 0
	s_cselect_b64 s[20:21], -1, 0
	s_cmp_lt_i32 s8, 1
	s_cbranch_scc1 .LBB101_24
; %bb.7:
	s_load_dwordx4 s[12:15], s[4:5], 0x20
	v_mul_lo_u32 v28, v17, s8
	v_mov_b32_e32 v27, 0
	v_mov_b32_e32 v29, 0x80
	;; [unrolled: 1-line block ×4, first 2 shown]
	s_branch .LBB101_10
.LBB101_8:                              ;   in Loop: Header=BB101_10 Depth=1
	s_or_b64 exec, exec, s[4:5]
.LBB101_9:                              ;   in Loop: Header=BB101_10 Depth=1
	s_cmp_eq_u32 s8, s25
	v_add_u32_e32 v31, s24, v31
	s_cbranch_scc1 .LBB101_25
.LBB101_10:                             ; =>This Inner Loop Header: Depth=1
	v_cmp_gt_f32_e64 s[2:3], v9, v8
	v_cndmask_b32_e64 v16, v8, v9, s[2:3]
	v_cndmask_b32_e64 v18, v0, v1, s[2:3]
	s_waitcnt lgkmcnt(0)
	v_cndmask_b32_e64 v19, 0, 1, s[2:3]
	v_cmp_gt_f32_e64 s[2:3], v10, v16
	v_cndmask_b32_e64 v16, v16, v10, s[2:3]
	v_cndmask_b32_e64 v18, v18, v2, s[2:3]
	v_cndmask_b32_e64 v19, v19, 2, s[2:3]
	v_cmp_gt_f32_e64 s[2:3], v11, v16
	v_cndmask_b32_e64 v16, v16, v11, s[2:3]
	v_cndmask_b32_e64 v18, v18, v3, s[2:3]
	;; [unrolled: 4-line block ×6, first 2 shown]
	v_or_b32_e32 v19, v26, v19
	ds_bpermute_b32 v20, v22, v16
	ds_bpermute_b32 v32, v22, v19
	v_cndmask_b32_e64 v18, v18, v7, s[2:3]
	ds_bpermute_b32 v34, v22, v18
	s_waitcnt lgkmcnt(0)
	v_cmp_eq_f32_e64 s[4:5], v16, v20
	v_cmp_lt_i32_e64 s[6:7], v32, v19
	v_cmp_lt_f32_e64 s[2:3], v16, v20
	s_and_b64 s[4:5], s[4:5], s[6:7]
	s_or_b64 s[2:3], s[2:3], s[4:5]
	v_cndmask_b32_e64 v33, v19, v32, s[2:3]
	v_cndmask_b32_e64 v32, v16, v20, s[2:3]
	;; [unrolled: 1-line block ×3, first 2 shown]
	ds_bpermute_b32 v35, v23, v32
	ds_bpermute_b32 v20, v23, v16
	;; [unrolled: 1-line block ×3, first 2 shown]
                                        ; implicit-def: $vgpr18_vgpr19
	s_waitcnt lgkmcnt(2)
	v_cmp_lt_f32_e64 s[6:7], v32, v35
	v_cmp_nlt_f32_e64 s[2:3], v32, v35
	s_and_saveexec_b64 s[22:23], s[2:3]
	s_cbranch_execz .LBB101_12
; %bb.11:                               ;   in Loop: Header=BB101_10 Depth=1
	v_cmp_eq_f32_e64 s[2:3], v32, v35
	s_waitcnt lgkmcnt(0)
	v_cmp_lt_i32_e64 s[4:5], v34, v33
	s_and_b64 s[2:3], s[2:3], s[4:5]
	s_andn2_b64 s[4:5], s[6:7], exec
	s_and_b64 s[2:3], s[2:3], exec
	s_or_b64 s[6:7], s[4:5], s[2:3]
	v_pk_mov_b32 v[18:19], v[16:17], v[16:17] op_sel:[0,1]
.LBB101_12:                             ;   in Loop: Header=BB101_10 Depth=1
	s_or_b64 exec, exec, s[22:23]
	s_and_saveexec_b64 s[2:3], s[6:7]
	s_cbranch_execz .LBB101_14
; %bb.13:                               ;   in Loop: Header=BB101_10 Depth=1
	v_mov_b32_e32 v32, v35
	s_waitcnt lgkmcnt(1)
	v_mov_b32_e32 v16, v20
	s_waitcnt lgkmcnt(0)
	v_mov_b32_e32 v33, v34
	v_pk_mov_b32 v[18:19], v[20:21], v[20:21] op_sel:[0,1]
.LBB101_14:                             ;   in Loop: Header=BB101_10 Depth=1
	s_or_b64 exec, exec, s[2:3]
	s_waitcnt lgkmcnt(0)
	ds_bpermute_b32 v34, v24, v32
	ds_bpermute_b32 v20, v24, v16
	;; [unrolled: 1-line block ×3, first 2 shown]
	s_waitcnt lgkmcnt(2)
	v_cmp_lt_f32_e64 s[6:7], v32, v34
	v_cmp_nlt_f32_e64 s[2:3], v32, v34
	s_and_saveexec_b64 s[22:23], s[2:3]
	s_cbranch_execz .LBB101_16
; %bb.15:                               ;   in Loop: Header=BB101_10 Depth=1
	v_cmp_eq_f32_e64 s[2:3], v32, v34
	s_waitcnt lgkmcnt(0)
	v_cmp_lt_i32_e64 s[4:5], v19, v33
	s_and_b64 s[2:3], s[2:3], s[4:5]
	s_andn2_b64 s[4:5], s[6:7], exec
	s_and_b64 s[2:3], s[2:3], exec
	s_or_b64 s[6:7], s[4:5], s[2:3]
.LBB101_16:                             ;   in Loop: Header=BB101_10 Depth=1
	s_or_b64 exec, exec, s[22:23]
	s_and_saveexec_b64 s[2:3], s[6:7]
	s_cbranch_execz .LBB101_18
; %bb.17:                               ;   in Loop: Header=BB101_10 Depth=1
	v_mov_b32_e32 v32, v34
	s_waitcnt lgkmcnt(1)
	v_mov_b32_e32 v16, v20
	s_waitcnt lgkmcnt(0)
	v_mov_b32_e32 v33, v19
	v_pk_mov_b32 v[18:19], v[20:21], v[20:21] op_sel:[0,1]
.LBB101_18:                             ;   in Loop: Header=BB101_10 Depth=1
	s_or_b64 exec, exec, s[2:3]
	s_waitcnt lgkmcnt(1)
	ds_bpermute_b32 v20, v25, v32
	ds_bpermute_b32 v34, v25, v33
	s_waitcnt lgkmcnt(2)
	ds_bpermute_b32 v19, v25, v16
	s_waitcnt lgkmcnt(2)
	v_cmp_eq_f32_e64 s[4:5], v32, v20
	s_waitcnt lgkmcnt(1)
	v_cmp_lt_i32_e64 s[6:7], v34, v33
	v_cmp_lt_f32_e64 s[2:3], v32, v20
	s_and_b64 s[4:5], s[4:5], s[6:7]
	s_or_b64 s[2:3], s[2:3], s[4:5]
	v_cndmask_b32_e64 v16, v33, v34, s[2:3]
	s_and_saveexec_b64 s[6:7], s[0:1]
	s_cbranch_execnz .LBB101_20
; %bb.19:                               ;   in Loop: Header=BB101_10 Depth=1
	s_or_b64 exec, exec, s[6:7]
	s_add_i32 s25, s25, 1
	s_cmp_ge_i32 s25, s8
	s_cbranch_scc1 .LBB101_9
	s_branch .LBB101_21
.LBB101_20:                             ;   in Loop: Header=BB101_10 Depth=1
	s_waitcnt lgkmcnt(0)
	v_cndmask_b32_e64 v20, v18, v19, s[2:3]
	v_add_u32_e32 v18, s25, v28
	v_ashrrev_i32_e32 v19, 31, v18
	v_cmp_le_i32_e64 s[2:3], s9, v16
	v_cmp_gt_i32_e64 s[4:5], s10, v16
	v_lshlrev_b64 v[18:19], 2, v[18:19]
	s_and_b64 s[4:5], s[2:3], s[4:5]
	v_mov_b32_e32 v33, s17
	v_add_co_u32_e64 v32, s[2:3], s16, v18
	v_addc_co_u32_e64 v33, s[2:3], v33, v19, s[2:3]
	global_store_dword v[32:33], v20, off
	v_subrev_u32_e32 v32, s9, v16
	s_and_b64 s[2:3], s[18:19], s[4:5]
	v_cndmask_b32_e64 v34, v29, v32, s[2:3]
	v_mov_b32_e32 v33, s13
	v_add_co_u32_e64 v32, s[2:3], s12, v18
	v_addc_co_u32_e64 v33, s[2:3], v33, v19, s[2:3]
	global_store_dword v[32:33], v34, off
	v_mov_b32_e32 v32, s15
	v_add_co_u32_e64 v18, s[2:3], s14, v18
	v_addc_co_u32_e64 v19, s[2:3], v32, v19, s[2:3]
	global_store_dword v[18:19], v31, off
	v_add_f32_e32 v18, v27, v20
	v_cndmask_b32_e32 v27, v27, v18, vcc
	s_or_b64 exec, exec, s[6:7]
	s_add_i32 s25, s25, 1
	s_cmp_ge_i32 s25, s8
	s_cbranch_scc1 .LBB101_9
.LBB101_21:                             ;   in Loop: Header=BB101_10 Depth=1
	s_waitcnt lgkmcnt(0)
	v_ashrrev_i32_e32 v19, 31, v16
	v_lshrrev_b32_e32 v18, 29, v19
	v_add_u32_e32 v18, v16, v18
	v_ashrrev_i32_e32 v18, 3, v18
	v_lshrrev_b32_e32 v20, 28, v18
	v_add_u32_e32 v20, v18, v20
	v_and_b32_e32 v20, -16, v20
	v_sub_u32_e32 v20, v18, v20
	v_cmp_eq_u32_e64 s[2:3], v21, v20
	s_and_saveexec_b64 s[4:5], s[2:3]
	s_cbranch_execz .LBB101_8
; %bb.22:                               ;   in Loop: Header=BB101_10 Depth=1
	v_lshrrev_b32_e32 v19, 25, v19
	v_add_u32_e32 v19, v16, v19
	v_lshlrev_b32_e32 v18, 3, v18
	v_ashrrev_i32_e32 v19, 7, v19
	v_sub_u32_e32 v16, v16, v18
	v_lshl_add_u32 v16, v19, 3, v16
	v_cmp_ne_u32_e64 s[2:3], 7, v16
	v_cndmask_b32_e64 v15, v30, v15, s[2:3]
	v_cmp_ne_u32_e64 s[2:3], 6, v16
	v_cndmask_b32_e64 v14, v30, v14, s[2:3]
	;; [unrolled: 2-line block ×8, first 2 shown]
	s_branch .LBB101_8
.LBB101_23:
                                        ; implicit-def: $vgpr8_vgpr9_vgpr10_vgpr11_vgpr12_vgpr13_vgpr14_vgpr15
	s_andn2_b64 vcc, exec, s[6:7]
	s_cbranch_vccz .LBB101_5
	s_branch .LBB101_6
.LBB101_24:
	v_mov_b32_e32 v27, 0
.LBB101_25:
	v_cmp_eq_u32_e64 s[0:1], 0, v21
	s_and_b64 s[0:1], s[0:1], vcc
	s_and_b64 exec, exec, s[0:1]
	s_cbranch_execz .LBB101_34
; %bb.26:
	s_andn2_b64 vcc, exec, s[20:21]
	s_cbranch_vccnz .LBB101_34
; %bb.27:
	v_cmp_lt_f32_e32 vcc, 0, v27
	s_mov_b32 s2, 0
	v_cndmask_b32_e32 v0, 1.0, v27, vcc
	v_mul_lo_u32 v4, v17, s8
	s_cmp_eq_u32 s8, 1
	s_mov_b64 s[0:1], -1
	s_cbranch_scc1 .LBB101_31
; %bb.28:
	s_and_b32 s2, s8, 0x7ffffffe
	v_mov_b32_e32 v1, v0
	v_mov_b32_e32 v5, s17
	s_mov_b32 s3, s2
	v_mov_b32_e32 v2, v4
.LBB101_29:                             ; =>This Inner Loop Header: Depth=1
	v_ashrrev_i32_e32 v3, 31, v2
	v_lshlrev_b64 v[6:7], 2, v[2:3]
	v_add_co_u32_e32 v6, vcc, s16, v6
	v_addc_co_u32_e32 v7, vcc, v5, v7, vcc
	global_load_dwordx2 v[8:9], v[6:7], off
	s_add_i32 s3, s3, -2
	s_cmp_lg_u32 s3, 0
	v_add_u32_e32 v2, 2, v2
	s_waitcnt vmcnt(0)
	v_div_scale_f32 v3, s[0:1], v1, v1, v9
	v_div_scale_f32 v11, s[0:1], v0, v0, v8
	v_rcp_f32_e32 v12, v3
	v_rcp_f32_e32 v13, v11
	v_div_scale_f32 v10, vcc, v9, v1, v9
	v_fma_f32 v15, -v3, v12, 1.0
	v_fma_f32 v16, -v11, v13, 1.0
	v_fmac_f32_e32 v12, v15, v12
	v_div_scale_f32 v14, s[0:1], v8, v0, v8
	v_fmac_f32_e32 v13, v16, v13
	v_mul_f32_e32 v15, v10, v12
	v_mul_f32_e32 v16, v14, v13
	v_fma_f32 v17, -v3, v15, v10
	v_fma_f32 v18, -v11, v16, v14
	v_fmac_f32_e32 v15, v17, v12
	v_fmac_f32_e32 v16, v18, v13
	v_fma_f32 v3, -v3, v15, v10
	v_fma_f32 v10, -v11, v16, v14
	v_div_fmas_f32 v3, v3, v12, v15
	s_mov_b64 vcc, s[0:1]
	v_div_fixup_f32 v9, v3, v1, v9
	v_div_fmas_f32 v3, v10, v13, v16
	v_div_fixup_f32 v8, v3, v0, v8
	global_store_dwordx2 v[6:7], v[8:9], off
	s_cbranch_scc1 .LBB101_29
; %bb.30:
	s_cmp_lg_u32 s2, s8
	s_cselect_b64 s[0:1], -1, 0
.LBB101_31:
	s_and_b64 vcc, exec, s[0:1]
	s_cbranch_vccz .LBB101_34
; %bb.32:
	v_ashrrev_i32_e32 v1, 31, v4
	v_add_co_u32_e32 v2, vcc, s2, v4
	v_addc_co_u32_e32 v3, vcc, 0, v1, vcc
	v_lshlrev_b64 v[2:3], 2, v[2:3]
	v_mov_b32_e32 v1, s17
	v_add_co_u32_e32 v2, vcc, s16, v2
	s_sub_i32 s0, s8, s2
	v_addc_co_u32_e32 v3, vcc, v1, v3, vcc
.LBB101_33:                             ; =>This Inner Loop Header: Depth=1
	global_load_dword v1, v[2:3], off
	s_add_i32 s0, s0, -1
	s_cmp_lg_u32 s0, 0
	s_waitcnt vmcnt(0)
	v_div_scale_f32 v4, s[2:3], v0, v0, v1
	v_rcp_f32_e32 v5, v4
	v_div_scale_f32 v6, vcc, v1, v0, v1
	v_fma_f32 v7, -v4, v5, 1.0
	v_fmac_f32_e32 v5, v7, v5
	v_mul_f32_e32 v7, v6, v5
	v_fma_f32 v8, -v4, v7, v6
	v_fmac_f32_e32 v7, v8, v5
	v_fma_f32 v4, -v4, v7, v6
	v_div_fmas_f32 v4, v4, v5, v7
	v_div_fixup_f32 v1, v4, v0, v1
	global_store_dword v[2:3], v1, off
	v_add_co_u32_e32 v2, vcc, 4, v2
	v_addc_co_u32_e32 v3, vcc, 0, v3, vcc
	s_cbranch_scc1 .LBB101_33
.LBB101_34:
	s_endpgm
	.section	.rodata,"a",@progbits
	.p2align	6, 0x0
	.amdhsa_kernel _ZN4vllm3moe10topkGatingILi8ELi128ELi4ELi16ELi64Ej6__halfLNS0_11ScoringFuncE0EEEvPKT5_PKbPfiPT4_PiiiibPKf
		.amdhsa_group_segment_fixed_size 0
		.amdhsa_private_segment_fixed_size 0
		.amdhsa_kernarg_size 72
		.amdhsa_user_sgpr_count 6
		.amdhsa_user_sgpr_private_segment_buffer 1
		.amdhsa_user_sgpr_dispatch_ptr 0
		.amdhsa_user_sgpr_queue_ptr 0
		.amdhsa_user_sgpr_kernarg_segment_ptr 1
		.amdhsa_user_sgpr_dispatch_id 0
		.amdhsa_user_sgpr_flat_scratch_init 0
		.amdhsa_user_sgpr_kernarg_preload_length 0
		.amdhsa_user_sgpr_kernarg_preload_offset 0
		.amdhsa_user_sgpr_private_segment_size 0
		.amdhsa_uses_dynamic_stack 0
		.amdhsa_system_sgpr_private_segment_wavefront_offset 0
		.amdhsa_system_sgpr_workgroup_id_x 1
		.amdhsa_system_sgpr_workgroup_id_y 0
		.amdhsa_system_sgpr_workgroup_id_z 0
		.amdhsa_system_sgpr_workgroup_info 0
		.amdhsa_system_vgpr_workitem_id 1
		.amdhsa_next_free_vgpr 36
		.amdhsa_next_free_sgpr 26
		.amdhsa_accum_offset 36
		.amdhsa_reserve_vcc 1
		.amdhsa_reserve_flat_scratch 0
		.amdhsa_float_round_mode_32 0
		.amdhsa_float_round_mode_16_64 0
		.amdhsa_float_denorm_mode_32 3
		.amdhsa_float_denorm_mode_16_64 3
		.amdhsa_dx10_clamp 1
		.amdhsa_ieee_mode 1
		.amdhsa_fp16_overflow 0
		.amdhsa_tg_split 0
		.amdhsa_exception_fp_ieee_invalid_op 0
		.amdhsa_exception_fp_denorm_src 0
		.amdhsa_exception_fp_ieee_div_zero 0
		.amdhsa_exception_fp_ieee_overflow 0
		.amdhsa_exception_fp_ieee_underflow 0
		.amdhsa_exception_fp_ieee_inexact 0
		.amdhsa_exception_int_div_zero 0
	.end_amdhsa_kernel
	.section	.text._ZN4vllm3moe10topkGatingILi8ELi128ELi4ELi16ELi64Ej6__halfLNS0_11ScoringFuncE0EEEvPKT5_PKbPfiPT4_PiiiibPKf,"axG",@progbits,_ZN4vllm3moe10topkGatingILi8ELi128ELi4ELi16ELi64Ej6__halfLNS0_11ScoringFuncE0EEEvPKT5_PKbPfiPT4_PiiiibPKf,comdat
.Lfunc_end101:
	.size	_ZN4vllm3moe10topkGatingILi8ELi128ELi4ELi16ELi64Ej6__halfLNS0_11ScoringFuncE0EEEvPKT5_PKbPfiPT4_PiiiibPKf, .Lfunc_end101-_ZN4vllm3moe10topkGatingILi8ELi128ELi4ELi16ELi64Ej6__halfLNS0_11ScoringFuncE0EEEvPKT5_PKbPfiPT4_PiiiibPKf
                                        ; -- End function
	.section	.AMDGPU.csdata,"",@progbits
; Kernel info:
; codeLenInByte = 3140
; NumSgprs: 30
; NumVgprs: 36
; NumAgprs: 0
; TotalNumVgprs: 36
; ScratchSize: 0
; MemoryBound: 0
; FloatMode: 240
; IeeeMode: 1
; LDSByteSize: 0 bytes/workgroup (compile time only)
; SGPRBlocks: 3
; VGPRBlocks: 4
; NumSGPRsForWavesPerEU: 30
; NumVGPRsForWavesPerEU: 36
; AccumOffset: 36
; Occupancy: 8
; WaveLimiterHint : 0
; COMPUTE_PGM_RSRC2:SCRATCH_EN: 0
; COMPUTE_PGM_RSRC2:USER_SGPR: 6
; COMPUTE_PGM_RSRC2:TRAP_HANDLER: 0
; COMPUTE_PGM_RSRC2:TGID_X_EN: 1
; COMPUTE_PGM_RSRC2:TGID_Y_EN: 0
; COMPUTE_PGM_RSRC2:TGID_Z_EN: 0
; COMPUTE_PGM_RSRC2:TIDIG_COMP_CNT: 1
; COMPUTE_PGM_RSRC3_GFX90A:ACCUM_OFFSET: 8
; COMPUTE_PGM_RSRC3_GFX90A:TG_SPLIT: 0
	.section	.text._ZN4vllm3moe10topkGatingILi8ELi128ELi4ELi16ELi32Ej6__halfLNS0_11ScoringFuncE0EEEvPKT5_PKbPfiPT4_PiiiibPKf,"axG",@progbits,_ZN4vllm3moe10topkGatingILi8ELi128ELi4ELi16ELi32Ej6__halfLNS0_11ScoringFuncE0EEEvPKT5_PKbPfiPT4_PiiiibPKf,comdat
	.protected	_ZN4vllm3moe10topkGatingILi8ELi128ELi4ELi16ELi32Ej6__halfLNS0_11ScoringFuncE0EEEvPKT5_PKbPfiPT4_PiiiibPKf ; -- Begin function _ZN4vllm3moe10topkGatingILi8ELi128ELi4ELi16ELi32Ej6__halfLNS0_11ScoringFuncE0EEEvPKT5_PKbPfiPT4_PiiiibPKf
	.globl	_ZN4vllm3moe10topkGatingILi8ELi128ELi4ELi16ELi32Ej6__halfLNS0_11ScoringFuncE0EEEvPKT5_PKbPfiPT4_PiiiibPKf
	.p2align	8
	.type	_ZN4vllm3moe10topkGatingILi8ELi128ELi4ELi16ELi32Ej6__halfLNS0_11ScoringFuncE0EEEvPKT5_PKbPfiPT4_PiiiibPKf,@function
_ZN4vllm3moe10topkGatingILi8ELi128ELi4ELi16ELi32Ej6__halfLNS0_11ScoringFuncE0EEEvPKT5_PKbPfiPT4_PiiiibPKf: ; @_ZN4vllm3moe10topkGatingILi8ELi128ELi4ELi16ELi32Ej6__halfLNS0_11ScoringFuncE0EEEvPKT5_PKbPfiPT4_PiiiibPKf
; %bb.0:
	s_load_dword s24, s[4:5], 0x18
	v_bfe_u32 v1, v0, 10, 10
	v_and_b32_e32 v0, 0x3ff, v0
	s_lshl_b32 s0, s6, 3
	v_lshlrev_b32_e32 v1, 1, v1
	v_lshrrev_b32_e32 v2, 4, v0
	v_add3_u32 v17, s0, v1, v2
	s_waitcnt lgkmcnt(0)
	v_cmp_gt_i32_e32 vcc, s24, v17
	s_and_saveexec_b64 s[0:1], vcc
	s_cbranch_execz .LBB102_34
; %bb.1:
	s_load_dwordx4 s[0:3], s[4:5], 0x0
	s_load_dwordx2 s[16:17], s[4:5], 0x10
	s_mov_b64 s[6:7], -1
	s_mov_b64 s[18:19], -1
	s_waitcnt lgkmcnt(0)
	s_cmp_eq_u64 s[2:3], 0
	s_cbranch_scc1 .LBB102_3
; %bb.2:
	v_ashrrev_i32_e32 v1, 31, v17
	v_mov_b32_e32 v3, s3
	v_add_co_u32_e32 v2, vcc, s2, v17
	v_addc_co_u32_e32 v3, vcc, v3, v1, vcc
	global_load_ubyte v1, v[2:3], off
	s_waitcnt vmcnt(0)
	v_and_b32_e32 v1, 1, v1
	v_cmp_eq_u32_e32 vcc, 1, v1
	s_xor_b64 s[2:3], vcc, -1
	s_orn2_b64 s[18:19], s[2:3], exec
.LBB102_3:
	v_lshlrev_b32_e32 v2, 7, v17
	v_ashrrev_i32_e32 v3, 31, v2
	v_lshlrev_b64 v[2:3], 1, v[2:3]
	v_mov_b32_e32 v1, s1
	v_add_co_u32_e32 v2, vcc, s0, v2
	v_and_b32_e32 v21, 15, v0
	v_addc_co_u32_e32 v1, vcc, v1, v3, vcc
	v_lshlrev_b32_e32 v0, 4, v21
	v_add_co_u32_e32 v0, vcc, v2, v0
	v_addc_co_u32_e32 v1, vcc, 0, v1, vcc
	global_load_dwordx4 v[0:3], v[0:1], off
	v_mbcnt_lo_u32_b32 v4, -1, 0
	v_mbcnt_hi_u32_b32 v6, -1, v4
	v_and_b32_e32 v4, 0x70, v6
	v_xor_b32_e32 v5, 8, v6
	v_add_u32_e32 v7, 16, v4
	v_cmp_lt_i32_e32 vcc, v5, v7
	v_cndmask_b32_e32 v4, v6, v5, vcc
	v_lshlrev_b32_e32 v22, 2, v4
	v_xor_b32_e32 v12, 4, v6
	v_cmp_lt_i32_e32 vcc, v12, v7
	v_cndmask_b32_e32 v12, v6, v12, vcc
	v_lshlrev_b32_e32 v23, 2, v12
	v_xor_b32_e32 v12, 2, v6
	;; [unrolled: 4-line block ×3, first 2 shown]
	v_cmp_lt_i32_e32 vcc, v12, v7
	v_cndmask_b32_e32 v6, v6, v12, vcc
	v_lshlrev_b32_e32 v25, 2, v6
	s_mov_b32 s2, 0x3fb8aa3b
	s_mov_b32 s0, 0xc2ce8ed0
	;; [unrolled: 1-line block ×3, first 2 shown]
	v_mov_b32_e32 v6, 0x7f800000
	s_waitcnt vmcnt(0)
	v_cvt_f32_f16_e32 v8, v0
	v_cvt_f32_f16_sdwa v9, v0 dst_sel:DWORD dst_unused:UNUSED_PAD src0_sel:WORD_1
	v_cvt_f32_f16_e32 v10, v1
	v_cvt_f32_f16_sdwa v4, v1 dst_sel:DWORD dst_unused:UNUSED_PAD src0_sel:WORD_1
	;; [unrolled: 2-line block ×3, first 2 shown]
	v_cvt_f32_f16_sdwa v11, v3 dst_sel:DWORD dst_unused:UNUSED_PAD src0_sel:WORD_1
	v_cvt_f32_f16_e32 v1, v3
	v_max_f32_e32 v2, v8, v9
	v_max3_f32 v2, v2, v10, v4
	v_max3_f32 v2, v2, v5, v0
	;; [unrolled: 1-line block ×3, first 2 shown]
	ds_bpermute_b32 v3, v22, v2
	s_waitcnt lgkmcnt(0)
	v_max_f32_e32 v3, v3, v3
	v_max_f32_e32 v2, v2, v3
	ds_bpermute_b32 v3, v23, v2
	s_waitcnt lgkmcnt(0)
	v_max_f32_e32 v3, v3, v3
	v_max_f32_e32 v2, v2, v3
	;; [unrolled: 4-line block ×4, first 2 shown]
	v_sub_f32_e32 v3, v8, v2
	v_sub_f32_e32 v7, v9, v2
	v_mul_f32_e32 v9, 0x3fb8aa3b, v3
	v_sub_f32_e32 v8, v10, v2
	v_mul_f32_e32 v10, 0x3fb8aa3b, v7
	v_fma_f32 v16, v3, s2, -v9
	v_rndne_f32_e32 v18, v9
	v_pk_add_f32 v[4:5], v[4:5], v[2:3] op_sel_hi:[1,0] neg_lo:[0,1] neg_hi:[0,1]
	v_mul_f32_e32 v12, 0x3fb8aa3b, v8
	v_fma_f32 v19, v7, s2, -v10
	v_rndne_f32_e32 v20, v10
	v_fmac_f32_e32 v16, 0x32a5705f, v3
	v_sub_f32_e32 v9, v9, v18
	v_mul_f32_e32 v13, 0x3fb8aa3b, v5
	v_fma_f32 v26, v8, s2, -v12
	v_rndne_f32_e32 v27, v12
	v_fmac_f32_e32 v19, 0x32a5705f, v7
	v_sub_f32_e32 v10, v10, v20
	v_add_f32_e32 v9, v9, v16
	v_mul_f32_e32 v14, 0x3fb8aa3b, v4
	v_fma_f32 v28, v5, s2, -v13
	v_rndne_f32_e32 v29, v13
	v_cvt_i32_f32_e32 v18, v18
	v_fmac_f32_e32 v26, 0x32a5705f, v8
	v_sub_f32_e32 v12, v12, v27
	v_add_f32_e32 v10, v10, v19
	v_exp_f32_e32 v9, v9
	v_fma_f32 v30, v4, s2, -v14
	v_rndne_f32_e32 v31, v14
	v_cvt_i32_f32_e32 v20, v20
	v_fmac_f32_e32 v28, 0x32a5705f, v5
	v_sub_f32_e32 v13, v13, v29
	v_add_f32_e32 v12, v12, v26
	v_exp_f32_e32 v10, v10
	v_cvt_i32_f32_e32 v27, v27
	v_fmac_f32_e32 v30, 0x32a5705f, v4
	v_sub_f32_e32 v14, v14, v31
	v_add_f32_e32 v13, v13, v28
	v_exp_f32_e32 v12, v12
	v_cvt_i32_f32_e32 v29, v29
	v_add_f32_e32 v14, v14, v30
	v_exp_f32_e32 v13, v13
	v_cvt_i32_f32_e32 v31, v31
	v_exp_f32_e32 v14, v14
	v_ldexp_f32 v9, v9, v18
	v_cmp_ngt_f32_e32 vcc, s0, v3
	v_ldexp_f32 v10, v10, v20
	v_cndmask_b32_e32 v9, 0, v9, vcc
	v_cmp_ngt_f32_e32 vcc, s0, v7
	v_ldexp_f32 v12, v12, v27
	v_cndmask_b32_e32 v10, 0, v10, vcc
	;; [unrolled: 3-line block ×4, first 2 shown]
	v_cmp_ngt_f32_e32 vcc, s0, v4
	v_pk_add_f32 v[0:1], v[0:1], v[2:3] op_sel_hi:[1,0] neg_lo:[0,1] neg_hi:[0,1]
	v_cndmask_b32_e32 v14, 0, v14, vcc
	v_cmp_nlt_f32_e32 vcc, s1, v3
	v_mul_f32_e32 v15, 0x3fb8aa3b, v1
	v_cndmask_b32_e32 v3, v6, v9, vcc
	v_cmp_nlt_f32_e32 vcc, s1, v7
	v_fma_f32 v32, v1, s2, -v15
	v_cndmask_b32_e32 v7, v6, v10, vcc
	v_cmp_nlt_f32_e32 vcc, s1, v8
	v_rndne_f32_e32 v10, v15
	v_cndmask_b32_e32 v8, v6, v12, vcc
	v_fmac_f32_e32 v32, 0x32a5705f, v1
	v_sub_f32_e32 v12, v15, v10
	v_add_f32_e32 v12, v12, v32
	v_exp_f32_e32 v12, v12
	v_cvt_i32_f32_e32 v10, v10
	v_cmp_nlt_f32_e32 vcc, s1, v5
	v_cndmask_b32_e32 v5, v6, v13, vcc
	v_cmp_nlt_f32_e32 vcc, s1, v4
	v_ldexp_f32 v10, v12, v10
	v_mul_f32_e32 v12, 0x3fb8aa3b, v0
	v_cndmask_b32_e32 v4, v6, v14, vcc
	v_fma_f32 v13, v0, s2, -v12
	v_rndne_f32_e32 v14, v12
	v_fmac_f32_e32 v13, 0x32a5705f, v0
	v_sub_f32_e32 v12, v12, v14
	v_add_f32_e32 v12, v12, v13
	v_exp_f32_e32 v12, v12
	v_cvt_i32_f32_e32 v13, v14
	v_cmp_ngt_f32_e32 vcc, s0, v1
	v_sub_f32_e32 v2, v11, v2
	v_cndmask_b32_e32 v10, 0, v10, vcc
	v_cmp_nlt_f32_e32 vcc, s1, v1
	v_mul_f32_e32 v11, 0x3fb8aa3b, v2
	v_cndmask_b32_e32 v1, v6, v10, vcc
	v_ldexp_f32 v10, v12, v13
	v_fma_f32 v12, v2, s2, -v11
	v_rndne_f32_e32 v13, v11
	v_fmac_f32_e32 v12, 0x32a5705f, v2
	v_sub_f32_e32 v11, v11, v13
	v_add_f32_e32 v11, v11, v12
	v_exp_f32_e32 v11, v11
	v_cvt_i32_f32_e32 v12, v13
	v_add_f32_e32 v9, v3, v7
	v_add_f32_e32 v9, v9, v8
	v_cmp_ngt_f32_e32 vcc, s0, v0
	v_add_f32_e32 v9, v9, v4
	v_cndmask_b32_e32 v10, 0, v10, vcc
	v_cmp_nlt_f32_e32 vcc, s1, v0
	v_add_f32_e32 v9, v9, v5
	v_cndmask_b32_e32 v0, v6, v10, vcc
	v_ldexp_f32 v10, v11, v12
	v_cmp_ngt_f32_e32 vcc, s0, v2
	v_add_f32_e32 v9, v9, v0
	v_cndmask_b32_e32 v10, 0, v10, vcc
	v_cmp_nlt_f32_e32 vcc, s1, v2
	v_add_f32_e32 v9, v9, v1
	v_cndmask_b32_e32 v10, v6, v10, vcc
	v_add_f32_e32 v2, v9, v10
	ds_bpermute_b32 v6, v22, v2
	s_movk_i32 s2, 0x1f8
	v_lshlrev_b32_e32 v26, 3, v21
	s_waitcnt lgkmcnt(0)
	v_add_f32_e32 v2, v2, v6
	ds_bpermute_b32 v6, v23, v2
	s_waitcnt lgkmcnt(0)
	v_add_f32_e32 v2, v2, v6
	ds_bpermute_b32 v6, v24, v2
	;; [unrolled: 3-line block ×3, first 2 shown]
	s_waitcnt lgkmcnt(0)
	v_add_f32_e32 v2, v2, v6
	v_div_scale_f32 v6, s[0:1], v2, v2, 1.0
	v_rcp_f32_e32 v9, v6
	s_load_dwordx2 s[0:1], s[4:5], 0x40
	v_fma_f32 v11, -v6, v9, 1.0
	v_fmac_f32_e32 v9, v11, v9
	v_div_scale_f32 v11, vcc, 1.0, v2, 1.0
	v_mul_f32_e32 v12, v11, v9
	v_fma_f32 v13, -v6, v12, v11
	v_fmac_f32_e32 v12, v13, v9
	v_fma_f32 v6, -v6, v12, v11
	v_div_fmas_f32 v6, v6, v9, v12
	v_div_fixup_f32 v2, v6, v2, 1.0
	v_mul_f32_e32 v3, v2, v3
	v_mul_f32_e32 v11, v2, v7
	v_cmp_class_f32_e64 vcc, v3, s2
	v_mul_f32_e32 v12, v2, v8
	v_pk_mul_f32 v[8:9], v[2:3], v[0:1] op_sel_hi:[0,1]
	v_cndmask_b32_e32 v0, 0, v3, vcc
	v_cmp_class_f32_e64 vcc, v11, s2
	v_pk_mul_f32 v[6:7], v[2:3], v[4:5] op_sel_hi:[0,1]
	v_cndmask_b32_e32 v1, 0, v11, vcc
	v_cmp_class_f32_e64 vcc, v12, s2
	v_mov_b32_e32 v5, 0x207
	v_mul_f32_e32 v10, v2, v10
	v_cndmask_b32_e32 v2, 0, v12, vcc
	v_cmp_class_f32_e32 vcc, v7, v5
	v_cndmask_b32_e64 v4, v7, 0, vcc
	v_cmp_class_f32_e32 vcc, v6, v5
	v_cndmask_b32_e64 v3, v6, 0, vcc
	;; [unrolled: 2-line block ×4, first 2 shown]
	v_cmp_class_f32_e64 vcc, v10, s2
	s_waitcnt lgkmcnt(0)
	s_cmp_eq_u64 s[0:1], 0
	v_cndmask_b32_e32 v7, 0, v10, vcc
	s_cbranch_scc1 .LBB102_23
; %bb.4:
	v_lshlrev_b32_e32 v16, 2, v26
	global_load_dwordx4 v[8:11], v16, s[0:1]
	global_load_dwordx4 v[12:15], v16, s[0:1] offset:16
	s_waitcnt vmcnt(1)
	v_pk_add_f32 v[8:9], v[8:9], v[0:1]
	v_pk_add_f32 v[10:11], v[10:11], v[2:3]
	s_waitcnt vmcnt(0)
	v_pk_add_f32 v[12:13], v[12:13], v[4:5]
	v_pk_add_f32 v[14:15], v[14:15], v[6:7]
	s_cbranch_execnz .LBB102_6
.LBB102_5:
	v_pk_mov_b32 v[14:15], v[6:7], v[6:7] op_sel:[0,1]
	v_pk_mov_b32 v[12:13], v[4:5], v[4:5] op_sel:[0,1]
	v_pk_mov_b32 v[10:11], v[2:3], v[2:3] op_sel:[0,1]
	v_pk_mov_b32 v[8:9], v[0:1], v[0:1] op_sel:[0,1]
.LBB102_6:
	s_load_dwordx4 s[8:11], s[4:5], 0x30
	s_mov_b32 s25, 0
	v_cmp_eq_u32_e64 s[0:1], 0, v21
	s_waitcnt lgkmcnt(0)
	s_bitcmp1_b32 s11, 0
	s_cselect_b64 vcc, -1, 0
	s_cmp_gt_i32 s8, 0
	s_cselect_b64 s[20:21], -1, 0
	s_cmp_lt_i32 s8, 1
	s_cbranch_scc1 .LBB102_24
; %bb.7:
	s_load_dwordx4 s[12:15], s[4:5], 0x20
	v_mul_lo_u32 v28, v17, s8
	v_mov_b32_e32 v27, 0
	v_mov_b32_e32 v29, 0x80
	;; [unrolled: 1-line block ×4, first 2 shown]
	s_branch .LBB102_10
.LBB102_8:                              ;   in Loop: Header=BB102_10 Depth=1
	s_or_b64 exec, exec, s[4:5]
.LBB102_9:                              ;   in Loop: Header=BB102_10 Depth=1
	s_cmp_eq_u32 s8, s25
	v_add_u32_e32 v31, s24, v31
	s_cbranch_scc1 .LBB102_25
.LBB102_10:                             ; =>This Inner Loop Header: Depth=1
	v_cmp_gt_f32_e64 s[2:3], v9, v8
	v_cndmask_b32_e64 v16, v8, v9, s[2:3]
	v_cndmask_b32_e64 v18, v0, v1, s[2:3]
	s_waitcnt lgkmcnt(0)
	v_cndmask_b32_e64 v19, 0, 1, s[2:3]
	v_cmp_gt_f32_e64 s[2:3], v10, v16
	v_cndmask_b32_e64 v16, v16, v10, s[2:3]
	v_cndmask_b32_e64 v18, v18, v2, s[2:3]
	v_cndmask_b32_e64 v19, v19, 2, s[2:3]
	v_cmp_gt_f32_e64 s[2:3], v11, v16
	v_cndmask_b32_e64 v16, v16, v11, s[2:3]
	v_cndmask_b32_e64 v18, v18, v3, s[2:3]
	;; [unrolled: 4-line block ×6, first 2 shown]
	v_or_b32_e32 v19, v26, v19
	ds_bpermute_b32 v20, v22, v16
	ds_bpermute_b32 v32, v22, v19
	v_cndmask_b32_e64 v18, v18, v7, s[2:3]
	ds_bpermute_b32 v34, v22, v18
	s_waitcnt lgkmcnt(0)
	v_cmp_eq_f32_e64 s[4:5], v16, v20
	v_cmp_lt_i32_e64 s[6:7], v32, v19
	v_cmp_lt_f32_e64 s[2:3], v16, v20
	s_and_b64 s[4:5], s[4:5], s[6:7]
	s_or_b64 s[2:3], s[2:3], s[4:5]
	v_cndmask_b32_e64 v33, v19, v32, s[2:3]
	v_cndmask_b32_e64 v32, v16, v20, s[2:3]
	;; [unrolled: 1-line block ×3, first 2 shown]
	ds_bpermute_b32 v35, v23, v32
	ds_bpermute_b32 v20, v23, v16
	ds_bpermute_b32 v34, v23, v33
                                        ; implicit-def: $vgpr18_vgpr19
	s_waitcnt lgkmcnt(2)
	v_cmp_lt_f32_e64 s[6:7], v32, v35
	v_cmp_nlt_f32_e64 s[2:3], v32, v35
	s_and_saveexec_b64 s[22:23], s[2:3]
	s_cbranch_execz .LBB102_12
; %bb.11:                               ;   in Loop: Header=BB102_10 Depth=1
	v_cmp_eq_f32_e64 s[2:3], v32, v35
	s_waitcnt lgkmcnt(0)
	v_cmp_lt_i32_e64 s[4:5], v34, v33
	s_and_b64 s[2:3], s[2:3], s[4:5]
	s_andn2_b64 s[4:5], s[6:7], exec
	s_and_b64 s[2:3], s[2:3], exec
	s_or_b64 s[6:7], s[4:5], s[2:3]
	v_pk_mov_b32 v[18:19], v[16:17], v[16:17] op_sel:[0,1]
.LBB102_12:                             ;   in Loop: Header=BB102_10 Depth=1
	s_or_b64 exec, exec, s[22:23]
	s_and_saveexec_b64 s[2:3], s[6:7]
	s_cbranch_execz .LBB102_14
; %bb.13:                               ;   in Loop: Header=BB102_10 Depth=1
	v_mov_b32_e32 v32, v35
	s_waitcnt lgkmcnt(1)
	v_mov_b32_e32 v16, v20
	s_waitcnt lgkmcnt(0)
	v_mov_b32_e32 v33, v34
	v_pk_mov_b32 v[18:19], v[20:21], v[20:21] op_sel:[0,1]
.LBB102_14:                             ;   in Loop: Header=BB102_10 Depth=1
	s_or_b64 exec, exec, s[2:3]
	s_waitcnt lgkmcnt(0)
	ds_bpermute_b32 v34, v24, v32
	ds_bpermute_b32 v20, v24, v16
	;; [unrolled: 1-line block ×3, first 2 shown]
	s_waitcnt lgkmcnt(2)
	v_cmp_lt_f32_e64 s[6:7], v32, v34
	v_cmp_nlt_f32_e64 s[2:3], v32, v34
	s_and_saveexec_b64 s[22:23], s[2:3]
	s_cbranch_execz .LBB102_16
; %bb.15:                               ;   in Loop: Header=BB102_10 Depth=1
	v_cmp_eq_f32_e64 s[2:3], v32, v34
	s_waitcnt lgkmcnt(0)
	v_cmp_lt_i32_e64 s[4:5], v19, v33
	s_and_b64 s[2:3], s[2:3], s[4:5]
	s_andn2_b64 s[4:5], s[6:7], exec
	s_and_b64 s[2:3], s[2:3], exec
	s_or_b64 s[6:7], s[4:5], s[2:3]
.LBB102_16:                             ;   in Loop: Header=BB102_10 Depth=1
	s_or_b64 exec, exec, s[22:23]
	s_and_saveexec_b64 s[2:3], s[6:7]
	s_cbranch_execz .LBB102_18
; %bb.17:                               ;   in Loop: Header=BB102_10 Depth=1
	v_mov_b32_e32 v32, v34
	s_waitcnt lgkmcnt(1)
	v_mov_b32_e32 v16, v20
	s_waitcnt lgkmcnt(0)
	v_mov_b32_e32 v33, v19
	v_pk_mov_b32 v[18:19], v[20:21], v[20:21] op_sel:[0,1]
.LBB102_18:                             ;   in Loop: Header=BB102_10 Depth=1
	s_or_b64 exec, exec, s[2:3]
	s_waitcnt lgkmcnt(1)
	ds_bpermute_b32 v20, v25, v32
	ds_bpermute_b32 v34, v25, v33
	s_waitcnt lgkmcnt(2)
	ds_bpermute_b32 v19, v25, v16
	s_waitcnt lgkmcnt(2)
	v_cmp_eq_f32_e64 s[4:5], v32, v20
	s_waitcnt lgkmcnt(1)
	v_cmp_lt_i32_e64 s[6:7], v34, v33
	v_cmp_lt_f32_e64 s[2:3], v32, v20
	s_and_b64 s[4:5], s[4:5], s[6:7]
	s_or_b64 s[2:3], s[2:3], s[4:5]
	v_cndmask_b32_e64 v16, v33, v34, s[2:3]
	s_and_saveexec_b64 s[6:7], s[0:1]
	s_cbranch_execnz .LBB102_20
; %bb.19:                               ;   in Loop: Header=BB102_10 Depth=1
	s_or_b64 exec, exec, s[6:7]
	s_add_i32 s25, s25, 1
	s_cmp_ge_i32 s25, s8
	s_cbranch_scc1 .LBB102_9
	s_branch .LBB102_21
.LBB102_20:                             ;   in Loop: Header=BB102_10 Depth=1
	s_waitcnt lgkmcnt(0)
	v_cndmask_b32_e64 v20, v18, v19, s[2:3]
	v_add_u32_e32 v18, s25, v28
	v_ashrrev_i32_e32 v19, 31, v18
	v_cmp_le_i32_e64 s[2:3], s9, v16
	v_cmp_gt_i32_e64 s[4:5], s10, v16
	v_lshlrev_b64 v[18:19], 2, v[18:19]
	s_and_b64 s[4:5], s[2:3], s[4:5]
	v_mov_b32_e32 v33, s17
	v_add_co_u32_e64 v32, s[2:3], s16, v18
	v_addc_co_u32_e64 v33, s[2:3], v33, v19, s[2:3]
	global_store_dword v[32:33], v20, off
	v_subrev_u32_e32 v32, s9, v16
	s_and_b64 s[2:3], s[18:19], s[4:5]
	v_cndmask_b32_e64 v34, v29, v32, s[2:3]
	v_mov_b32_e32 v33, s13
	v_add_co_u32_e64 v32, s[2:3], s12, v18
	v_addc_co_u32_e64 v33, s[2:3], v33, v19, s[2:3]
	global_store_dword v[32:33], v34, off
	v_mov_b32_e32 v32, s15
	v_add_co_u32_e64 v18, s[2:3], s14, v18
	v_addc_co_u32_e64 v19, s[2:3], v32, v19, s[2:3]
	global_store_dword v[18:19], v31, off
	v_add_f32_e32 v18, v27, v20
	v_cndmask_b32_e32 v27, v27, v18, vcc
	s_or_b64 exec, exec, s[6:7]
	s_add_i32 s25, s25, 1
	s_cmp_ge_i32 s25, s8
	s_cbranch_scc1 .LBB102_9
.LBB102_21:                             ;   in Loop: Header=BB102_10 Depth=1
	s_waitcnt lgkmcnt(0)
	v_ashrrev_i32_e32 v19, 31, v16
	v_lshrrev_b32_e32 v18, 29, v19
	v_add_u32_e32 v18, v16, v18
	v_ashrrev_i32_e32 v18, 3, v18
	v_lshrrev_b32_e32 v20, 28, v18
	v_add_u32_e32 v20, v18, v20
	v_and_b32_e32 v20, -16, v20
	v_sub_u32_e32 v20, v18, v20
	v_cmp_eq_u32_e64 s[2:3], v21, v20
	s_and_saveexec_b64 s[4:5], s[2:3]
	s_cbranch_execz .LBB102_8
; %bb.22:                               ;   in Loop: Header=BB102_10 Depth=1
	v_lshrrev_b32_e32 v19, 25, v19
	v_add_u32_e32 v19, v16, v19
	v_lshlrev_b32_e32 v18, 3, v18
	v_ashrrev_i32_e32 v19, 7, v19
	v_sub_u32_e32 v16, v16, v18
	v_lshl_add_u32 v16, v19, 3, v16
	v_cmp_ne_u32_e64 s[2:3], 7, v16
	v_cndmask_b32_e64 v15, v30, v15, s[2:3]
	v_cmp_ne_u32_e64 s[2:3], 6, v16
	v_cndmask_b32_e64 v14, v30, v14, s[2:3]
	;; [unrolled: 2-line block ×8, first 2 shown]
	s_branch .LBB102_8
.LBB102_23:
                                        ; implicit-def: $vgpr8_vgpr9_vgpr10_vgpr11_vgpr12_vgpr13_vgpr14_vgpr15
	s_andn2_b64 vcc, exec, s[6:7]
	s_cbranch_vccz .LBB102_5
	s_branch .LBB102_6
.LBB102_24:
	v_mov_b32_e32 v27, 0
.LBB102_25:
	v_cmp_eq_u32_e64 s[0:1], 0, v21
	s_and_b64 s[0:1], s[0:1], vcc
	s_and_b64 exec, exec, s[0:1]
	s_cbranch_execz .LBB102_34
; %bb.26:
	s_andn2_b64 vcc, exec, s[20:21]
	s_cbranch_vccnz .LBB102_34
; %bb.27:
	v_cmp_lt_f32_e32 vcc, 0, v27
	s_mov_b32 s2, 0
	v_cndmask_b32_e32 v0, 1.0, v27, vcc
	v_mul_lo_u32 v4, v17, s8
	s_cmp_eq_u32 s8, 1
	s_mov_b64 s[0:1], -1
	s_cbranch_scc1 .LBB102_31
; %bb.28:
	s_and_b32 s2, s8, 0x7ffffffe
	v_mov_b32_e32 v1, v0
	v_mov_b32_e32 v5, s17
	s_mov_b32 s3, s2
	v_mov_b32_e32 v2, v4
.LBB102_29:                             ; =>This Inner Loop Header: Depth=1
	v_ashrrev_i32_e32 v3, 31, v2
	v_lshlrev_b64 v[6:7], 2, v[2:3]
	v_add_co_u32_e32 v6, vcc, s16, v6
	v_addc_co_u32_e32 v7, vcc, v5, v7, vcc
	global_load_dwordx2 v[8:9], v[6:7], off
	s_add_i32 s3, s3, -2
	s_cmp_lg_u32 s3, 0
	v_add_u32_e32 v2, 2, v2
	s_waitcnt vmcnt(0)
	v_div_scale_f32 v3, s[0:1], v1, v1, v9
	v_div_scale_f32 v11, s[0:1], v0, v0, v8
	v_rcp_f32_e32 v12, v3
	v_rcp_f32_e32 v13, v11
	v_div_scale_f32 v10, vcc, v9, v1, v9
	v_fma_f32 v15, -v3, v12, 1.0
	v_fma_f32 v16, -v11, v13, 1.0
	v_fmac_f32_e32 v12, v15, v12
	v_div_scale_f32 v14, s[0:1], v8, v0, v8
	v_fmac_f32_e32 v13, v16, v13
	v_mul_f32_e32 v15, v10, v12
	v_mul_f32_e32 v16, v14, v13
	v_fma_f32 v17, -v3, v15, v10
	v_fma_f32 v18, -v11, v16, v14
	v_fmac_f32_e32 v15, v17, v12
	v_fmac_f32_e32 v16, v18, v13
	v_fma_f32 v3, -v3, v15, v10
	v_fma_f32 v10, -v11, v16, v14
	v_div_fmas_f32 v3, v3, v12, v15
	s_mov_b64 vcc, s[0:1]
	v_div_fixup_f32 v9, v3, v1, v9
	v_div_fmas_f32 v3, v10, v13, v16
	v_div_fixup_f32 v8, v3, v0, v8
	global_store_dwordx2 v[6:7], v[8:9], off
	s_cbranch_scc1 .LBB102_29
; %bb.30:
	s_cmp_lg_u32 s2, s8
	s_cselect_b64 s[0:1], -1, 0
.LBB102_31:
	s_and_b64 vcc, exec, s[0:1]
	s_cbranch_vccz .LBB102_34
; %bb.32:
	v_ashrrev_i32_e32 v1, 31, v4
	v_add_co_u32_e32 v2, vcc, s2, v4
	v_addc_co_u32_e32 v3, vcc, 0, v1, vcc
	v_lshlrev_b64 v[2:3], 2, v[2:3]
	v_mov_b32_e32 v1, s17
	v_add_co_u32_e32 v2, vcc, s16, v2
	s_sub_i32 s0, s8, s2
	v_addc_co_u32_e32 v3, vcc, v1, v3, vcc
.LBB102_33:                             ; =>This Inner Loop Header: Depth=1
	global_load_dword v1, v[2:3], off
	s_add_i32 s0, s0, -1
	s_cmp_lg_u32 s0, 0
	s_waitcnt vmcnt(0)
	v_div_scale_f32 v4, s[2:3], v0, v0, v1
	v_rcp_f32_e32 v5, v4
	v_div_scale_f32 v6, vcc, v1, v0, v1
	v_fma_f32 v7, -v4, v5, 1.0
	v_fmac_f32_e32 v5, v7, v5
	v_mul_f32_e32 v7, v6, v5
	v_fma_f32 v8, -v4, v7, v6
	v_fmac_f32_e32 v7, v8, v5
	v_fma_f32 v4, -v4, v7, v6
	v_div_fmas_f32 v4, v4, v5, v7
	v_div_fixup_f32 v1, v4, v0, v1
	global_store_dword v[2:3], v1, off
	v_add_co_u32_e32 v2, vcc, 4, v2
	v_addc_co_u32_e32 v3, vcc, 0, v3, vcc
	s_cbranch_scc1 .LBB102_33
.LBB102_34:
	s_endpgm
	.section	.rodata,"a",@progbits
	.p2align	6, 0x0
	.amdhsa_kernel _ZN4vllm3moe10topkGatingILi8ELi128ELi4ELi16ELi32Ej6__halfLNS0_11ScoringFuncE0EEEvPKT5_PKbPfiPT4_PiiiibPKf
		.amdhsa_group_segment_fixed_size 0
		.amdhsa_private_segment_fixed_size 0
		.amdhsa_kernarg_size 72
		.amdhsa_user_sgpr_count 6
		.amdhsa_user_sgpr_private_segment_buffer 1
		.amdhsa_user_sgpr_dispatch_ptr 0
		.amdhsa_user_sgpr_queue_ptr 0
		.amdhsa_user_sgpr_kernarg_segment_ptr 1
		.amdhsa_user_sgpr_dispatch_id 0
		.amdhsa_user_sgpr_flat_scratch_init 0
		.amdhsa_user_sgpr_kernarg_preload_length 0
		.amdhsa_user_sgpr_kernarg_preload_offset 0
		.amdhsa_user_sgpr_private_segment_size 0
		.amdhsa_uses_dynamic_stack 0
		.amdhsa_system_sgpr_private_segment_wavefront_offset 0
		.amdhsa_system_sgpr_workgroup_id_x 1
		.amdhsa_system_sgpr_workgroup_id_y 0
		.amdhsa_system_sgpr_workgroup_id_z 0
		.amdhsa_system_sgpr_workgroup_info 0
		.amdhsa_system_vgpr_workitem_id 1
		.amdhsa_next_free_vgpr 36
		.amdhsa_next_free_sgpr 26
		.amdhsa_accum_offset 36
		.amdhsa_reserve_vcc 1
		.amdhsa_reserve_flat_scratch 0
		.amdhsa_float_round_mode_32 0
		.amdhsa_float_round_mode_16_64 0
		.amdhsa_float_denorm_mode_32 3
		.amdhsa_float_denorm_mode_16_64 3
		.amdhsa_dx10_clamp 1
		.amdhsa_ieee_mode 1
		.amdhsa_fp16_overflow 0
		.amdhsa_tg_split 0
		.amdhsa_exception_fp_ieee_invalid_op 0
		.amdhsa_exception_fp_denorm_src 0
		.amdhsa_exception_fp_ieee_div_zero 0
		.amdhsa_exception_fp_ieee_overflow 0
		.amdhsa_exception_fp_ieee_underflow 0
		.amdhsa_exception_fp_ieee_inexact 0
		.amdhsa_exception_int_div_zero 0
	.end_amdhsa_kernel
	.section	.text._ZN4vllm3moe10topkGatingILi8ELi128ELi4ELi16ELi32Ej6__halfLNS0_11ScoringFuncE0EEEvPKT5_PKbPfiPT4_PiiiibPKf,"axG",@progbits,_ZN4vllm3moe10topkGatingILi8ELi128ELi4ELi16ELi32Ej6__halfLNS0_11ScoringFuncE0EEEvPKT5_PKbPfiPT4_PiiiibPKf,comdat
.Lfunc_end102:
	.size	_ZN4vllm3moe10topkGatingILi8ELi128ELi4ELi16ELi32Ej6__halfLNS0_11ScoringFuncE0EEEvPKT5_PKbPfiPT4_PiiiibPKf, .Lfunc_end102-_ZN4vllm3moe10topkGatingILi8ELi128ELi4ELi16ELi32Ej6__halfLNS0_11ScoringFuncE0EEEvPKT5_PKbPfiPT4_PiiiibPKf
                                        ; -- End function
	.section	.AMDGPU.csdata,"",@progbits
; Kernel info:
; codeLenInByte = 3140
; NumSgprs: 30
; NumVgprs: 36
; NumAgprs: 0
; TotalNumVgprs: 36
; ScratchSize: 0
; MemoryBound: 0
; FloatMode: 240
; IeeeMode: 1
; LDSByteSize: 0 bytes/workgroup (compile time only)
; SGPRBlocks: 3
; VGPRBlocks: 4
; NumSGPRsForWavesPerEU: 30
; NumVGPRsForWavesPerEU: 36
; AccumOffset: 36
; Occupancy: 8
; WaveLimiterHint : 0
; COMPUTE_PGM_RSRC2:SCRATCH_EN: 0
; COMPUTE_PGM_RSRC2:USER_SGPR: 6
; COMPUTE_PGM_RSRC2:TRAP_HANDLER: 0
; COMPUTE_PGM_RSRC2:TGID_X_EN: 1
; COMPUTE_PGM_RSRC2:TGID_Y_EN: 0
; COMPUTE_PGM_RSRC2:TGID_Z_EN: 0
; COMPUTE_PGM_RSRC2:TIDIG_COMP_CNT: 1
; COMPUTE_PGM_RSRC3_GFX90A:ACCUM_OFFSET: 8
; COMPUTE_PGM_RSRC3_GFX90A:TG_SPLIT: 0
	.section	.text._ZN4vllm3moe10topkGatingILi8ELi256ELi4ELi16ELi64Ej6__halfLNS0_11ScoringFuncE0EEEvPKT5_PKbPfiPT4_PiiiibPKf,"axG",@progbits,_ZN4vllm3moe10topkGatingILi8ELi256ELi4ELi16ELi64Ej6__halfLNS0_11ScoringFuncE0EEEvPKT5_PKbPfiPT4_PiiiibPKf,comdat
	.protected	_ZN4vllm3moe10topkGatingILi8ELi256ELi4ELi16ELi64Ej6__halfLNS0_11ScoringFuncE0EEEvPKT5_PKbPfiPT4_PiiiibPKf ; -- Begin function _ZN4vllm3moe10topkGatingILi8ELi256ELi4ELi16ELi64Ej6__halfLNS0_11ScoringFuncE0EEEvPKT5_PKbPfiPT4_PiiiibPKf
	.globl	_ZN4vllm3moe10topkGatingILi8ELi256ELi4ELi16ELi64Ej6__halfLNS0_11ScoringFuncE0EEEvPKT5_PKbPfiPT4_PiiiibPKf
	.p2align	8
	.type	_ZN4vllm3moe10topkGatingILi8ELi256ELi4ELi16ELi64Ej6__halfLNS0_11ScoringFuncE0EEEvPKT5_PKbPfiPT4_PiiiibPKf,@function
_ZN4vllm3moe10topkGatingILi8ELi256ELi4ELi16ELi64Ej6__halfLNS0_11ScoringFuncE0EEEvPKT5_PKbPfiPT4_PiiiibPKf: ; @_ZN4vllm3moe10topkGatingILi8ELi256ELi4ELi16ELi64Ej6__halfLNS0_11ScoringFuncE0EEEvPKT5_PKbPfiPT4_PiiiibPKf
; %bb.0:
	s_load_dword s24, s[4:5], 0x18
	v_bfe_u32 v1, v0, 10, 10
	v_and_b32_e32 v0, 0x3ff, v0
	s_lshl_b32 s0, s6, 3
	v_lshlrev_b32_e32 v1, 1, v1
	v_lshrrev_b32_e32 v2, 5, v0
	v_add3_u32 v17, s0, v1, v2
	s_waitcnt lgkmcnt(0)
	v_cmp_gt_i32_e32 vcc, s24, v17
	s_and_saveexec_b64 s[0:1], vcc
	s_cbranch_execz .LBB103_38
; %bb.1:
	s_load_dwordx4 s[0:3], s[4:5], 0x0
	s_load_dwordx2 s[16:17], s[4:5], 0x10
	s_mov_b64 s[6:7], -1
	s_mov_b64 s[18:19], -1
	s_waitcnt lgkmcnt(0)
	s_cmp_eq_u64 s[2:3], 0
	s_cbranch_scc1 .LBB103_3
; %bb.2:
	v_ashrrev_i32_e32 v1, 31, v17
	v_mov_b32_e32 v3, s3
	v_add_co_u32_e32 v2, vcc, s2, v17
	v_addc_co_u32_e32 v3, vcc, v3, v1, vcc
	global_load_ubyte v1, v[2:3], off
	s_waitcnt vmcnt(0)
	v_and_b32_e32 v1, 1, v1
	v_cmp_eq_u32_e32 vcc, 1, v1
	s_xor_b64 s[2:3], vcc, -1
	s_orn2_b64 s[18:19], s[2:3], exec
.LBB103_3:
	v_lshlrev_b32_e32 v2, 8, v17
	v_ashrrev_i32_e32 v3, 31, v2
	v_lshlrev_b64 v[2:3], 1, v[2:3]
	v_mov_b32_e32 v1, s1
	v_add_co_u32_e32 v2, vcc, s0, v2
	v_and_b32_e32 v21, 31, v0
	v_addc_co_u32_e32 v1, vcc, v1, v3, vcc
	v_lshlrev_b32_e32 v0, 4, v21
	v_add_co_u32_e32 v0, vcc, v2, v0
	v_addc_co_u32_e32 v1, vcc, 0, v1, vcc
	global_load_dwordx4 v[0:3], v[0:1], off
	v_mbcnt_lo_u32_b32 v4, -1, 0
	v_mbcnt_hi_u32_b32 v6, -1, v4
	v_and_b32_e32 v4, 0x60, v6
	v_xor_b32_e32 v5, 16, v6
	v_add_u32_e32 v7, 32, v4
	v_cmp_lt_i32_e32 vcc, v5, v7
	v_cndmask_b32_e32 v4, v6, v5, vcc
	v_lshlrev_b32_e32 v22, 2, v4
	v_xor_b32_e32 v12, 8, v6
	v_cmp_lt_i32_e32 vcc, v12, v7
	v_cndmask_b32_e32 v12, v6, v12, vcc
	v_lshlrev_b32_e32 v23, 2, v12
	v_xor_b32_e32 v12, 4, v6
	v_cmp_lt_i32_e32 vcc, v12, v7
	v_cndmask_b32_e32 v12, v6, v12, vcc
	v_lshlrev_b32_e32 v24, 2, v12
	v_xor_b32_e32 v12, 2, v6
	v_cmp_lt_i32_e32 vcc, v12, v7
	v_cndmask_b32_e32 v12, v6, v12, vcc
	v_lshlrev_b32_e32 v25, 2, v12
	v_xor_b32_e32 v12, 1, v6
	v_cmp_lt_i32_e32 vcc, v12, v7
	v_cndmask_b32_e32 v6, v6, v12, vcc
	v_lshlrev_b32_e32 v26, 2, v6
	s_mov_b32 s2, 0x3fb8aa3b
	s_mov_b32 s0, 0xc2ce8ed0
	;; [unrolled: 1-line block ×3, first 2 shown]
	v_mov_b32_e32 v6, 0x7f800000
	s_waitcnt vmcnt(0)
	v_cvt_f32_f16_e32 v8, v0
	v_cvt_f32_f16_sdwa v9, v0 dst_sel:DWORD dst_unused:UNUSED_PAD src0_sel:WORD_1
	v_cvt_f32_f16_e32 v10, v1
	v_cvt_f32_f16_sdwa v4, v1 dst_sel:DWORD dst_unused:UNUSED_PAD src0_sel:WORD_1
	;; [unrolled: 2-line block ×3, first 2 shown]
	v_cvt_f32_f16_sdwa v11, v3 dst_sel:DWORD dst_unused:UNUSED_PAD src0_sel:WORD_1
	v_cvt_f32_f16_e32 v1, v3
	v_max_f32_e32 v2, v8, v9
	v_max3_f32 v2, v2, v10, v4
	v_max3_f32 v2, v2, v5, v0
	;; [unrolled: 1-line block ×3, first 2 shown]
	ds_bpermute_b32 v3, v22, v2
	s_waitcnt lgkmcnt(0)
	v_max_f32_e32 v3, v3, v3
	v_max_f32_e32 v2, v2, v3
	ds_bpermute_b32 v3, v23, v2
	s_waitcnt lgkmcnt(0)
	v_max_f32_e32 v3, v3, v3
	v_max_f32_e32 v2, v2, v3
	;; [unrolled: 4-line block ×5, first 2 shown]
	v_sub_f32_e32 v3, v8, v2
	v_sub_f32_e32 v7, v9, v2
	v_mul_f32_e32 v9, 0x3fb8aa3b, v3
	v_sub_f32_e32 v8, v10, v2
	v_mul_f32_e32 v10, 0x3fb8aa3b, v7
	v_fma_f32 v16, v3, s2, -v9
	v_rndne_f32_e32 v18, v9
	v_pk_add_f32 v[4:5], v[4:5], v[2:3] op_sel_hi:[1,0] neg_lo:[0,1] neg_hi:[0,1]
	v_mul_f32_e32 v12, 0x3fb8aa3b, v8
	v_fma_f32 v19, v7, s2, -v10
	v_rndne_f32_e32 v20, v10
	v_fmac_f32_e32 v16, 0x32a5705f, v3
	v_sub_f32_e32 v9, v9, v18
	v_mul_f32_e32 v13, 0x3fb8aa3b, v5
	v_fma_f32 v27, v8, s2, -v12
	v_rndne_f32_e32 v28, v12
	v_fmac_f32_e32 v19, 0x32a5705f, v7
	v_sub_f32_e32 v10, v10, v20
	v_add_f32_e32 v9, v9, v16
	v_mul_f32_e32 v14, 0x3fb8aa3b, v4
	v_fma_f32 v29, v5, s2, -v13
	v_rndne_f32_e32 v30, v13
	v_cvt_i32_f32_e32 v18, v18
	v_fmac_f32_e32 v27, 0x32a5705f, v8
	v_sub_f32_e32 v12, v12, v28
	v_add_f32_e32 v10, v10, v19
	v_exp_f32_e32 v9, v9
	v_fma_f32 v31, v4, s2, -v14
	v_rndne_f32_e32 v32, v14
	v_cvt_i32_f32_e32 v20, v20
	v_fmac_f32_e32 v29, 0x32a5705f, v5
	v_sub_f32_e32 v13, v13, v30
	v_add_f32_e32 v12, v12, v27
	v_exp_f32_e32 v10, v10
	v_cvt_i32_f32_e32 v28, v28
	v_fmac_f32_e32 v31, 0x32a5705f, v4
	v_sub_f32_e32 v14, v14, v32
	v_add_f32_e32 v13, v13, v29
	v_exp_f32_e32 v12, v12
	v_cvt_i32_f32_e32 v30, v30
	v_add_f32_e32 v14, v14, v31
	v_exp_f32_e32 v13, v13
	v_cvt_i32_f32_e32 v32, v32
	v_exp_f32_e32 v14, v14
	v_ldexp_f32 v9, v9, v18
	v_cmp_ngt_f32_e32 vcc, s0, v3
	v_ldexp_f32 v10, v10, v20
	v_cndmask_b32_e32 v9, 0, v9, vcc
	v_cmp_ngt_f32_e32 vcc, s0, v7
	v_ldexp_f32 v12, v12, v28
	v_cndmask_b32_e32 v10, 0, v10, vcc
	;; [unrolled: 3-line block ×4, first 2 shown]
	v_cmp_ngt_f32_e32 vcc, s0, v4
	v_pk_add_f32 v[0:1], v[0:1], v[2:3] op_sel_hi:[1,0] neg_lo:[0,1] neg_hi:[0,1]
	v_cndmask_b32_e32 v14, 0, v14, vcc
	v_cmp_nlt_f32_e32 vcc, s1, v3
	v_mul_f32_e32 v15, 0x3fb8aa3b, v1
	v_cndmask_b32_e32 v3, v6, v9, vcc
	v_cmp_nlt_f32_e32 vcc, s1, v7
	v_fma_f32 v33, v1, s2, -v15
	v_cndmask_b32_e32 v7, v6, v10, vcc
	v_cmp_nlt_f32_e32 vcc, s1, v8
	v_rndne_f32_e32 v10, v15
	v_cndmask_b32_e32 v8, v6, v12, vcc
	v_fmac_f32_e32 v33, 0x32a5705f, v1
	v_sub_f32_e32 v12, v15, v10
	v_add_f32_e32 v12, v12, v33
	v_exp_f32_e32 v12, v12
	v_cvt_i32_f32_e32 v10, v10
	v_cmp_nlt_f32_e32 vcc, s1, v5
	v_cndmask_b32_e32 v5, v6, v13, vcc
	v_cmp_nlt_f32_e32 vcc, s1, v4
	v_ldexp_f32 v10, v12, v10
	v_mul_f32_e32 v12, 0x3fb8aa3b, v0
	v_cndmask_b32_e32 v4, v6, v14, vcc
	v_fma_f32 v13, v0, s2, -v12
	v_rndne_f32_e32 v14, v12
	v_fmac_f32_e32 v13, 0x32a5705f, v0
	v_sub_f32_e32 v12, v12, v14
	v_add_f32_e32 v12, v12, v13
	v_exp_f32_e32 v12, v12
	v_cvt_i32_f32_e32 v13, v14
	v_cmp_ngt_f32_e32 vcc, s0, v1
	v_sub_f32_e32 v2, v11, v2
	v_cndmask_b32_e32 v10, 0, v10, vcc
	v_cmp_nlt_f32_e32 vcc, s1, v1
	v_mul_f32_e32 v11, 0x3fb8aa3b, v2
	v_cndmask_b32_e32 v1, v6, v10, vcc
	v_ldexp_f32 v10, v12, v13
	v_fma_f32 v12, v2, s2, -v11
	v_rndne_f32_e32 v13, v11
	v_fmac_f32_e32 v12, 0x32a5705f, v2
	v_sub_f32_e32 v11, v11, v13
	v_add_f32_e32 v11, v11, v12
	v_exp_f32_e32 v11, v11
	v_cvt_i32_f32_e32 v12, v13
	v_add_f32_e32 v9, v3, v7
	v_add_f32_e32 v9, v9, v8
	v_cmp_ngt_f32_e32 vcc, s0, v0
	v_add_f32_e32 v9, v9, v4
	v_cndmask_b32_e32 v10, 0, v10, vcc
	v_cmp_nlt_f32_e32 vcc, s1, v0
	v_add_f32_e32 v9, v9, v5
	v_cndmask_b32_e32 v0, v6, v10, vcc
	v_ldexp_f32 v10, v11, v12
	v_cmp_ngt_f32_e32 vcc, s0, v2
	v_add_f32_e32 v9, v9, v0
	v_cndmask_b32_e32 v10, 0, v10, vcc
	v_cmp_nlt_f32_e32 vcc, s1, v2
	v_add_f32_e32 v9, v9, v1
	v_cndmask_b32_e32 v10, v6, v10, vcc
	v_add_f32_e32 v2, v9, v10
	ds_bpermute_b32 v6, v22, v2
	s_movk_i32 s2, 0x1f8
	v_lshlrev_b32_e32 v27, 3, v21
	s_waitcnt lgkmcnt(0)
	v_add_f32_e32 v2, v2, v6
	ds_bpermute_b32 v6, v23, v2
	s_waitcnt lgkmcnt(0)
	v_add_f32_e32 v2, v2, v6
	ds_bpermute_b32 v6, v24, v2
	;; [unrolled: 3-line block ×4, first 2 shown]
	s_waitcnt lgkmcnt(0)
	v_add_f32_e32 v2, v2, v6
	v_div_scale_f32 v6, s[0:1], v2, v2, 1.0
	v_rcp_f32_e32 v9, v6
	s_load_dwordx2 s[0:1], s[4:5], 0x40
	v_fma_f32 v11, -v6, v9, 1.0
	v_fmac_f32_e32 v9, v11, v9
	v_div_scale_f32 v11, vcc, 1.0, v2, 1.0
	v_mul_f32_e32 v12, v11, v9
	v_fma_f32 v13, -v6, v12, v11
	v_fmac_f32_e32 v12, v13, v9
	v_fma_f32 v6, -v6, v12, v11
	v_div_fmas_f32 v6, v6, v9, v12
	v_div_fixup_f32 v2, v6, v2, 1.0
	v_mul_f32_e32 v3, v2, v3
	v_mul_f32_e32 v11, v2, v7
	v_cmp_class_f32_e64 vcc, v3, s2
	v_mul_f32_e32 v12, v2, v8
	v_pk_mul_f32 v[8:9], v[2:3], v[0:1] op_sel_hi:[0,1]
	v_cndmask_b32_e32 v0, 0, v3, vcc
	v_cmp_class_f32_e64 vcc, v11, s2
	v_pk_mul_f32 v[6:7], v[2:3], v[4:5] op_sel_hi:[0,1]
	v_cndmask_b32_e32 v1, 0, v11, vcc
	v_cmp_class_f32_e64 vcc, v12, s2
	v_mov_b32_e32 v5, 0x207
	v_mul_f32_e32 v10, v2, v10
	v_cndmask_b32_e32 v2, 0, v12, vcc
	v_cmp_class_f32_e32 vcc, v7, v5
	v_cndmask_b32_e64 v4, v7, 0, vcc
	v_cmp_class_f32_e32 vcc, v6, v5
	v_cndmask_b32_e64 v3, v6, 0, vcc
	;; [unrolled: 2-line block ×4, first 2 shown]
	v_cmp_class_f32_e64 vcc, v10, s2
	s_waitcnt lgkmcnt(0)
	s_cmp_eq_u64 s[0:1], 0
	v_cndmask_b32_e32 v7, 0, v10, vcc
	s_cbranch_scc1 .LBB103_27
; %bb.4:
	v_lshlrev_b32_e32 v16, 2, v27
	global_load_dwordx4 v[8:11], v16, s[0:1]
	global_load_dwordx4 v[12:15], v16, s[0:1] offset:16
	s_waitcnt vmcnt(1)
	v_pk_add_f32 v[8:9], v[8:9], v[0:1]
	v_pk_add_f32 v[10:11], v[10:11], v[2:3]
	s_waitcnt vmcnt(0)
	v_pk_add_f32 v[12:13], v[12:13], v[4:5]
	v_pk_add_f32 v[14:15], v[14:15], v[6:7]
	s_cbranch_execnz .LBB103_6
.LBB103_5:
	v_pk_mov_b32 v[14:15], v[6:7], v[6:7] op_sel:[0,1]
	v_pk_mov_b32 v[12:13], v[4:5], v[4:5] op_sel:[0,1]
	;; [unrolled: 1-line block ×4, first 2 shown]
.LBB103_6:
	s_load_dwordx4 s[8:11], s[4:5], 0x30
	s_mov_b32 s25, 0
	v_cmp_eq_u32_e64 s[0:1], 0, v21
	s_waitcnt lgkmcnt(0)
	s_bitcmp1_b32 s11, 0
	s_cselect_b64 vcc, -1, 0
	s_cmp_gt_i32 s8, 0
	s_cselect_b64 s[20:21], -1, 0
	s_cmp_lt_i32 s8, 1
	s_cbranch_scc1 .LBB103_28
; %bb.7:
	s_load_dwordx4 s[12:15], s[4:5], 0x20
	v_mul_lo_u32 v29, v17, s8
	v_mov_b32_e32 v28, 0
	v_mov_b32_e32 v30, 0x100
	;; [unrolled: 1-line block ×4, first 2 shown]
	s_branch .LBB103_10
.LBB103_8:                              ;   in Loop: Header=BB103_10 Depth=1
	s_or_b64 exec, exec, s[4:5]
.LBB103_9:                              ;   in Loop: Header=BB103_10 Depth=1
	s_cmp_eq_u32 s8, s25
	v_add_u32_e32 v32, s24, v32
	s_cbranch_scc1 .LBB103_29
.LBB103_10:                             ; =>This Inner Loop Header: Depth=1
	v_cmp_gt_f32_e64 s[2:3], v9, v8
	v_cndmask_b32_e64 v16, v8, v9, s[2:3]
	v_cndmask_b32_e64 v18, v0, v1, s[2:3]
	s_waitcnt lgkmcnt(0)
	v_cndmask_b32_e64 v19, 0, 1, s[2:3]
	v_cmp_gt_f32_e64 s[2:3], v10, v16
	v_cndmask_b32_e64 v16, v16, v10, s[2:3]
	v_cndmask_b32_e64 v18, v18, v2, s[2:3]
	v_cndmask_b32_e64 v19, v19, 2, s[2:3]
	v_cmp_gt_f32_e64 s[2:3], v11, v16
	v_cndmask_b32_e64 v16, v16, v11, s[2:3]
	v_cndmask_b32_e64 v18, v18, v3, s[2:3]
	;; [unrolled: 4-line block ×6, first 2 shown]
	v_or_b32_e32 v19, v27, v19
	ds_bpermute_b32 v20, v22, v16
	ds_bpermute_b32 v33, v22, v19
	v_cndmask_b32_e64 v18, v18, v7, s[2:3]
	ds_bpermute_b32 v35, v22, v18
	s_waitcnt lgkmcnt(0)
	v_cmp_eq_f32_e64 s[4:5], v16, v20
	v_cmp_lt_i32_e64 s[6:7], v33, v19
	v_cmp_lt_f32_e64 s[2:3], v16, v20
	s_and_b64 s[4:5], s[4:5], s[6:7]
	s_or_b64 s[2:3], s[2:3], s[4:5]
	v_cndmask_b32_e64 v34, v19, v33, s[2:3]
	v_cndmask_b32_e64 v33, v16, v20, s[2:3]
	;; [unrolled: 1-line block ×3, first 2 shown]
	ds_bpermute_b32 v36, v23, v33
	ds_bpermute_b32 v20, v23, v16
	;; [unrolled: 1-line block ×3, first 2 shown]
                                        ; implicit-def: $vgpr18_vgpr19
	s_waitcnt lgkmcnt(2)
	v_cmp_lt_f32_e64 s[6:7], v33, v36
	v_cmp_nlt_f32_e64 s[2:3], v33, v36
	s_and_saveexec_b64 s[22:23], s[2:3]
	s_cbranch_execz .LBB103_12
; %bb.11:                               ;   in Loop: Header=BB103_10 Depth=1
	v_cmp_eq_f32_e64 s[2:3], v33, v36
	s_waitcnt lgkmcnt(0)
	v_cmp_lt_i32_e64 s[4:5], v35, v34
	s_and_b64 s[2:3], s[2:3], s[4:5]
	s_andn2_b64 s[4:5], s[6:7], exec
	s_and_b64 s[2:3], s[2:3], exec
	s_or_b64 s[6:7], s[4:5], s[2:3]
	v_pk_mov_b32 v[18:19], v[16:17], v[16:17] op_sel:[0,1]
.LBB103_12:                             ;   in Loop: Header=BB103_10 Depth=1
	s_or_b64 exec, exec, s[22:23]
	s_and_saveexec_b64 s[2:3], s[6:7]
	s_cbranch_execz .LBB103_14
; %bb.13:                               ;   in Loop: Header=BB103_10 Depth=1
	v_mov_b32_e32 v33, v36
	s_waitcnt lgkmcnt(1)
	v_mov_b32_e32 v16, v20
	s_waitcnt lgkmcnt(0)
	v_mov_b32_e32 v34, v35
	v_pk_mov_b32 v[18:19], v[20:21], v[20:21] op_sel:[0,1]
.LBB103_14:                             ;   in Loop: Header=BB103_10 Depth=1
	s_or_b64 exec, exec, s[2:3]
	s_waitcnt lgkmcnt(0)
	ds_bpermute_b32 v35, v24, v33
	ds_bpermute_b32 v20, v24, v16
	;; [unrolled: 1-line block ×3, first 2 shown]
	s_waitcnt lgkmcnt(2)
	v_cmp_lt_f32_e64 s[6:7], v33, v35
	v_cmp_nlt_f32_e64 s[2:3], v33, v35
	s_and_saveexec_b64 s[22:23], s[2:3]
	s_cbranch_execz .LBB103_16
; %bb.15:                               ;   in Loop: Header=BB103_10 Depth=1
	v_cmp_eq_f32_e64 s[2:3], v33, v35
	s_waitcnt lgkmcnt(0)
	v_cmp_lt_i32_e64 s[4:5], v19, v34
	s_and_b64 s[2:3], s[2:3], s[4:5]
	s_andn2_b64 s[4:5], s[6:7], exec
	s_and_b64 s[2:3], s[2:3], exec
	s_or_b64 s[6:7], s[4:5], s[2:3]
.LBB103_16:                             ;   in Loop: Header=BB103_10 Depth=1
	s_or_b64 exec, exec, s[22:23]
	s_and_saveexec_b64 s[2:3], s[6:7]
	s_cbranch_execz .LBB103_18
; %bb.17:                               ;   in Loop: Header=BB103_10 Depth=1
	v_mov_b32_e32 v33, v35
	s_waitcnt lgkmcnt(1)
	v_mov_b32_e32 v16, v20
	s_waitcnt lgkmcnt(0)
	v_mov_b32_e32 v34, v19
	v_pk_mov_b32 v[18:19], v[20:21], v[20:21] op_sel:[0,1]
.LBB103_18:                             ;   in Loop: Header=BB103_10 Depth=1
	s_or_b64 exec, exec, s[2:3]
	ds_bpermute_b32 v35, v25, v33
	s_waitcnt lgkmcnt(2)
	ds_bpermute_b32 v20, v25, v16
	s_waitcnt lgkmcnt(2)
	;; [unrolled: 2-line block ×3, first 2 shown]
	v_cmp_lt_f32_e64 s[6:7], v33, v35
	v_cmp_nlt_f32_e64 s[2:3], v33, v35
	s_and_saveexec_b64 s[22:23], s[2:3]
	s_cbranch_execz .LBB103_20
; %bb.19:                               ;   in Loop: Header=BB103_10 Depth=1
	v_cmp_eq_f32_e64 s[2:3], v33, v35
	s_waitcnt lgkmcnt(0)
	v_cmp_lt_i32_e64 s[4:5], v19, v34
	s_and_b64 s[2:3], s[2:3], s[4:5]
	s_andn2_b64 s[4:5], s[6:7], exec
	s_and_b64 s[2:3], s[2:3], exec
	s_or_b64 s[6:7], s[4:5], s[2:3]
.LBB103_20:                             ;   in Loop: Header=BB103_10 Depth=1
	s_or_b64 exec, exec, s[22:23]
	s_and_saveexec_b64 s[2:3], s[6:7]
	s_cbranch_execz .LBB103_22
; %bb.21:                               ;   in Loop: Header=BB103_10 Depth=1
	v_mov_b32_e32 v33, v35
	s_waitcnt lgkmcnt(1)
	v_mov_b32_e32 v16, v20
	s_waitcnt lgkmcnt(0)
	v_mov_b32_e32 v34, v19
	v_pk_mov_b32 v[18:19], v[20:21], v[20:21] op_sel:[0,1]
.LBB103_22:                             ;   in Loop: Header=BB103_10 Depth=1
	s_or_b64 exec, exec, s[2:3]
	s_waitcnt lgkmcnt(1)
	ds_bpermute_b32 v20, v26, v33
	ds_bpermute_b32 v35, v26, v34
	s_waitcnt lgkmcnt(2)
	ds_bpermute_b32 v19, v26, v16
	s_waitcnt lgkmcnt(2)
	v_cmp_eq_f32_e64 s[4:5], v33, v20
	s_waitcnt lgkmcnt(1)
	v_cmp_lt_i32_e64 s[6:7], v35, v34
	v_cmp_lt_f32_e64 s[2:3], v33, v20
	s_and_b64 s[4:5], s[4:5], s[6:7]
	s_or_b64 s[2:3], s[2:3], s[4:5]
	v_cndmask_b32_e64 v16, v34, v35, s[2:3]
	s_and_saveexec_b64 s[6:7], s[0:1]
	s_cbranch_execnz .LBB103_24
; %bb.23:                               ;   in Loop: Header=BB103_10 Depth=1
	s_or_b64 exec, exec, s[6:7]
	s_add_i32 s25, s25, 1
	s_cmp_ge_i32 s25, s8
	s_cbranch_scc1 .LBB103_9
	s_branch .LBB103_25
.LBB103_24:                             ;   in Loop: Header=BB103_10 Depth=1
	s_waitcnt lgkmcnt(0)
	v_cndmask_b32_e64 v20, v18, v19, s[2:3]
	v_add_u32_e32 v18, s25, v29
	v_ashrrev_i32_e32 v19, 31, v18
	v_cmp_le_i32_e64 s[2:3], s9, v16
	v_cmp_gt_i32_e64 s[4:5], s10, v16
	v_lshlrev_b64 v[18:19], 2, v[18:19]
	s_and_b64 s[4:5], s[2:3], s[4:5]
	v_mov_b32_e32 v33, s17
	v_add_co_u32_e64 v34, s[2:3], s16, v18
	v_addc_co_u32_e64 v35, s[2:3], v33, v19, s[2:3]
	v_subrev_u32_e32 v33, s9, v16
	s_and_b64 s[2:3], s[18:19], s[4:5]
	global_store_dword v[34:35], v20, off
	v_cndmask_b32_e64 v33, v30, v33, s[2:3]
	v_mov_b32_e32 v35, s13
	v_add_co_u32_e64 v34, s[2:3], s12, v18
	v_addc_co_u32_e64 v35, s[2:3], v35, v19, s[2:3]
	global_store_dword v[34:35], v33, off
	v_mov_b32_e32 v33, s15
	v_add_co_u32_e64 v18, s[2:3], s14, v18
	v_addc_co_u32_e64 v19, s[2:3], v33, v19, s[2:3]
	global_store_dword v[18:19], v32, off
	v_add_f32_e32 v18, v28, v20
	v_cndmask_b32_e32 v28, v28, v18, vcc
	s_or_b64 exec, exec, s[6:7]
	s_add_i32 s25, s25, 1
	s_cmp_ge_i32 s25, s8
	s_cbranch_scc1 .LBB103_9
.LBB103_25:                             ;   in Loop: Header=BB103_10 Depth=1
	v_ashrrev_i32_e32 v18, 31, v16
	s_waitcnt lgkmcnt(0)
	v_lshrrev_b32_e32 v19, 29, v18
	v_add_u32_e32 v20, v16, v19
	v_ashrrev_i32_e32 v19, 3, v20
	v_ashrrev_i32_e32 v20, 31, v20
	v_lshrrev_b32_e32 v20, 27, v20
	v_add_u32_e32 v20, v19, v20
	v_and_b32_e32 v20, 0xffffffe0, v20
	v_sub_u32_e32 v20, v19, v20
	v_cmp_eq_u32_e64 s[2:3], v21, v20
	s_and_saveexec_b64 s[4:5], s[2:3]
	s_cbranch_execz .LBB103_8
; %bb.26:                               ;   in Loop: Header=BB103_10 Depth=1
	v_add_u32_sdwa v18, v16, v18 dst_sel:DWORD dst_unused:UNUSED_PAD src0_sel:DWORD src1_sel:BYTE_3
	v_lshlrev_b32_e32 v19, 3, v19
	v_ashrrev_i32_e32 v18, 8, v18
	v_sub_u32_e32 v16, v16, v19
	v_lshl_add_u32 v16, v18, 3, v16
	v_cmp_ne_u32_e64 s[2:3], 7, v16
	v_cndmask_b32_e64 v15, v31, v15, s[2:3]
	v_cmp_ne_u32_e64 s[2:3], 6, v16
	v_cndmask_b32_e64 v14, v31, v14, s[2:3]
	;; [unrolled: 2-line block ×8, first 2 shown]
	s_branch .LBB103_8
.LBB103_27:
                                        ; implicit-def: $vgpr8_vgpr9_vgpr10_vgpr11_vgpr12_vgpr13_vgpr14_vgpr15
	s_andn2_b64 vcc, exec, s[6:7]
	s_cbranch_vccz .LBB103_5
	s_branch .LBB103_6
.LBB103_28:
	v_mov_b32_e32 v28, 0
.LBB103_29:
	v_cmp_eq_u32_e64 s[0:1], 0, v21
	s_and_b64 s[0:1], s[0:1], vcc
	s_and_b64 exec, exec, s[0:1]
	s_cbranch_execz .LBB103_38
; %bb.30:
	s_andn2_b64 vcc, exec, s[20:21]
	s_cbranch_vccnz .LBB103_38
; %bb.31:
	v_cmp_lt_f32_e32 vcc, 0, v28
	s_mov_b32 s2, 0
	v_cndmask_b32_e32 v0, 1.0, v28, vcc
	v_mul_lo_u32 v4, v17, s8
	s_cmp_eq_u32 s8, 1
	s_mov_b64 s[0:1], -1
	s_cbranch_scc1 .LBB103_35
; %bb.32:
	s_and_b32 s2, s8, 0x7ffffffe
	v_mov_b32_e32 v1, v0
	v_mov_b32_e32 v5, s17
	s_mov_b32 s3, s2
	v_mov_b32_e32 v2, v4
.LBB103_33:                             ; =>This Inner Loop Header: Depth=1
	v_ashrrev_i32_e32 v3, 31, v2
	v_lshlrev_b64 v[6:7], 2, v[2:3]
	v_add_co_u32_e32 v6, vcc, s16, v6
	v_addc_co_u32_e32 v7, vcc, v5, v7, vcc
	global_load_dwordx2 v[8:9], v[6:7], off
	s_add_i32 s3, s3, -2
	s_cmp_lg_u32 s3, 0
	v_add_u32_e32 v2, 2, v2
	s_waitcnt vmcnt(0)
	v_div_scale_f32 v3, s[0:1], v1, v1, v9
	v_div_scale_f32 v11, s[0:1], v0, v0, v8
	v_rcp_f32_e32 v12, v3
	v_rcp_f32_e32 v13, v11
	v_div_scale_f32 v10, vcc, v9, v1, v9
	v_fma_f32 v15, -v3, v12, 1.0
	v_fma_f32 v16, -v11, v13, 1.0
	v_fmac_f32_e32 v12, v15, v12
	v_div_scale_f32 v14, s[0:1], v8, v0, v8
	v_fmac_f32_e32 v13, v16, v13
	v_mul_f32_e32 v15, v10, v12
	v_mul_f32_e32 v16, v14, v13
	v_fma_f32 v17, -v3, v15, v10
	v_fma_f32 v18, -v11, v16, v14
	v_fmac_f32_e32 v15, v17, v12
	v_fmac_f32_e32 v16, v18, v13
	v_fma_f32 v3, -v3, v15, v10
	v_fma_f32 v10, -v11, v16, v14
	v_div_fmas_f32 v3, v3, v12, v15
	s_mov_b64 vcc, s[0:1]
	v_div_fixup_f32 v9, v3, v1, v9
	v_div_fmas_f32 v3, v10, v13, v16
	v_div_fixup_f32 v8, v3, v0, v8
	global_store_dwordx2 v[6:7], v[8:9], off
	s_cbranch_scc1 .LBB103_33
; %bb.34:
	s_cmp_lg_u32 s2, s8
	s_cselect_b64 s[0:1], -1, 0
.LBB103_35:
	s_and_b64 vcc, exec, s[0:1]
	s_cbranch_vccz .LBB103_38
; %bb.36:
	v_ashrrev_i32_e32 v1, 31, v4
	v_add_co_u32_e32 v2, vcc, s2, v4
	v_addc_co_u32_e32 v3, vcc, 0, v1, vcc
	v_lshlrev_b64 v[2:3], 2, v[2:3]
	v_mov_b32_e32 v1, s17
	v_add_co_u32_e32 v2, vcc, s16, v2
	s_sub_i32 s0, s8, s2
	v_addc_co_u32_e32 v3, vcc, v1, v3, vcc
.LBB103_37:                             ; =>This Inner Loop Header: Depth=1
	global_load_dword v1, v[2:3], off
	s_add_i32 s0, s0, -1
	s_cmp_lg_u32 s0, 0
	s_waitcnt vmcnt(0)
	v_div_scale_f32 v4, s[2:3], v0, v0, v1
	v_rcp_f32_e32 v5, v4
	v_div_scale_f32 v6, vcc, v1, v0, v1
	v_fma_f32 v7, -v4, v5, 1.0
	v_fmac_f32_e32 v5, v7, v5
	v_mul_f32_e32 v7, v6, v5
	v_fma_f32 v8, -v4, v7, v6
	v_fmac_f32_e32 v7, v8, v5
	v_fma_f32 v4, -v4, v7, v6
	v_div_fmas_f32 v4, v4, v5, v7
	v_div_fixup_f32 v1, v4, v0, v1
	global_store_dword v[2:3], v1, off
	v_add_co_u32_e32 v2, vcc, 4, v2
	v_addc_co_u32_e32 v3, vcc, 0, v3, vcc
	s_cbranch_scc1 .LBB103_37
.LBB103_38:
	s_endpgm
	.section	.rodata,"a",@progbits
	.p2align	6, 0x0
	.amdhsa_kernel _ZN4vllm3moe10topkGatingILi8ELi256ELi4ELi16ELi64Ej6__halfLNS0_11ScoringFuncE0EEEvPKT5_PKbPfiPT4_PiiiibPKf
		.amdhsa_group_segment_fixed_size 0
		.amdhsa_private_segment_fixed_size 0
		.amdhsa_kernarg_size 72
		.amdhsa_user_sgpr_count 6
		.amdhsa_user_sgpr_private_segment_buffer 1
		.amdhsa_user_sgpr_dispatch_ptr 0
		.amdhsa_user_sgpr_queue_ptr 0
		.amdhsa_user_sgpr_kernarg_segment_ptr 1
		.amdhsa_user_sgpr_dispatch_id 0
		.amdhsa_user_sgpr_flat_scratch_init 0
		.amdhsa_user_sgpr_kernarg_preload_length 0
		.amdhsa_user_sgpr_kernarg_preload_offset 0
		.amdhsa_user_sgpr_private_segment_size 0
		.amdhsa_uses_dynamic_stack 0
		.amdhsa_system_sgpr_private_segment_wavefront_offset 0
		.amdhsa_system_sgpr_workgroup_id_x 1
		.amdhsa_system_sgpr_workgroup_id_y 0
		.amdhsa_system_sgpr_workgroup_id_z 0
		.amdhsa_system_sgpr_workgroup_info 0
		.amdhsa_system_vgpr_workitem_id 1
		.amdhsa_next_free_vgpr 37
		.amdhsa_next_free_sgpr 26
		.amdhsa_accum_offset 40
		.amdhsa_reserve_vcc 1
		.amdhsa_reserve_flat_scratch 0
		.amdhsa_float_round_mode_32 0
		.amdhsa_float_round_mode_16_64 0
		.amdhsa_float_denorm_mode_32 3
		.amdhsa_float_denorm_mode_16_64 3
		.amdhsa_dx10_clamp 1
		.amdhsa_ieee_mode 1
		.amdhsa_fp16_overflow 0
		.amdhsa_tg_split 0
		.amdhsa_exception_fp_ieee_invalid_op 0
		.amdhsa_exception_fp_denorm_src 0
		.amdhsa_exception_fp_ieee_div_zero 0
		.amdhsa_exception_fp_ieee_overflow 0
		.amdhsa_exception_fp_ieee_underflow 0
		.amdhsa_exception_fp_ieee_inexact 0
		.amdhsa_exception_int_div_zero 0
	.end_amdhsa_kernel
	.section	.text._ZN4vllm3moe10topkGatingILi8ELi256ELi4ELi16ELi64Ej6__halfLNS0_11ScoringFuncE0EEEvPKT5_PKbPfiPT4_PiiiibPKf,"axG",@progbits,_ZN4vllm3moe10topkGatingILi8ELi256ELi4ELi16ELi64Ej6__halfLNS0_11ScoringFuncE0EEEvPKT5_PKbPfiPT4_PiiiibPKf,comdat
.Lfunc_end103:
	.size	_ZN4vllm3moe10topkGatingILi8ELi256ELi4ELi16ELi64Ej6__halfLNS0_11ScoringFuncE0EEEvPKT5_PKbPfiPT4_PiiiibPKf, .Lfunc_end103-_ZN4vllm3moe10topkGatingILi8ELi256ELi4ELi16ELi64Ej6__halfLNS0_11ScoringFuncE0EEEvPKT5_PKbPfiPT4_PiiiibPKf
                                        ; -- End function
	.section	.AMDGPU.csdata,"",@progbits
; Kernel info:
; codeLenInByte = 3340
; NumSgprs: 30
; NumVgprs: 37
; NumAgprs: 0
; TotalNumVgprs: 37
; ScratchSize: 0
; MemoryBound: 0
; FloatMode: 240
; IeeeMode: 1
; LDSByteSize: 0 bytes/workgroup (compile time only)
; SGPRBlocks: 3
; VGPRBlocks: 4
; NumSGPRsForWavesPerEU: 30
; NumVGPRsForWavesPerEU: 37
; AccumOffset: 40
; Occupancy: 8
; WaveLimiterHint : 0
; COMPUTE_PGM_RSRC2:SCRATCH_EN: 0
; COMPUTE_PGM_RSRC2:USER_SGPR: 6
; COMPUTE_PGM_RSRC2:TRAP_HANDLER: 0
; COMPUTE_PGM_RSRC2:TGID_X_EN: 1
; COMPUTE_PGM_RSRC2:TGID_Y_EN: 0
; COMPUTE_PGM_RSRC2:TGID_Z_EN: 0
; COMPUTE_PGM_RSRC2:TIDIG_COMP_CNT: 1
; COMPUTE_PGM_RSRC3_GFX90A:ACCUM_OFFSET: 9
; COMPUTE_PGM_RSRC3_GFX90A:TG_SPLIT: 0
	.section	.text._ZN4vllm3moe10topkGatingILi8ELi256ELi4ELi16ELi32Ej6__halfLNS0_11ScoringFuncE0EEEvPKT5_PKbPfiPT4_PiiiibPKf,"axG",@progbits,_ZN4vllm3moe10topkGatingILi8ELi256ELi4ELi16ELi32Ej6__halfLNS0_11ScoringFuncE0EEEvPKT5_PKbPfiPT4_PiiiibPKf,comdat
	.protected	_ZN4vllm3moe10topkGatingILi8ELi256ELi4ELi16ELi32Ej6__halfLNS0_11ScoringFuncE0EEEvPKT5_PKbPfiPT4_PiiiibPKf ; -- Begin function _ZN4vllm3moe10topkGatingILi8ELi256ELi4ELi16ELi32Ej6__halfLNS0_11ScoringFuncE0EEEvPKT5_PKbPfiPT4_PiiiibPKf
	.globl	_ZN4vllm3moe10topkGatingILi8ELi256ELi4ELi16ELi32Ej6__halfLNS0_11ScoringFuncE0EEEvPKT5_PKbPfiPT4_PiiiibPKf
	.p2align	8
	.type	_ZN4vllm3moe10topkGatingILi8ELi256ELi4ELi16ELi32Ej6__halfLNS0_11ScoringFuncE0EEEvPKT5_PKbPfiPT4_PiiiibPKf,@function
_ZN4vllm3moe10topkGatingILi8ELi256ELi4ELi16ELi32Ej6__halfLNS0_11ScoringFuncE0EEEvPKT5_PKbPfiPT4_PiiiibPKf: ; @_ZN4vllm3moe10topkGatingILi8ELi256ELi4ELi16ELi32Ej6__halfLNS0_11ScoringFuncE0EEEvPKT5_PKbPfiPT4_PiiiibPKf
; %bb.0:
	s_load_dword s24, s[4:5], 0x18
	v_and_b32_e32 v1, 0x3ff, v0
	s_lshl_b32 s0, s6, 2
	v_lshrrev_b32_e32 v2, 5, v1
	v_bfe_u32 v0, v0, 10, 10
	v_add3_u32 v17, s0, v0, v2
	s_waitcnt lgkmcnt(0)
	v_cmp_gt_i32_e32 vcc, s24, v17
	s_and_saveexec_b64 s[0:1], vcc
	s_cbranch_execz .LBB104_38
; %bb.1:
	s_load_dwordx4 s[0:3], s[4:5], 0x0
	s_load_dwordx2 s[16:17], s[4:5], 0x10
	s_mov_b64 s[6:7], -1
	s_mov_b64 s[18:19], -1
	s_waitcnt lgkmcnt(0)
	s_cmp_eq_u64 s[2:3], 0
	s_cbranch_scc1 .LBB104_3
; %bb.2:
	v_ashrrev_i32_e32 v0, 31, v17
	v_mov_b32_e32 v3, s3
	v_add_co_u32_e32 v2, vcc, s2, v17
	v_addc_co_u32_e32 v3, vcc, v3, v0, vcc
	global_load_ubyte v0, v[2:3], off
	s_waitcnt vmcnt(0)
	v_and_b32_e32 v0, 1, v0
	v_cmp_eq_u32_e32 vcc, 1, v0
	s_xor_b64 s[2:3], vcc, -1
	s_orn2_b64 s[18:19], s[2:3], exec
.LBB104_3:
	v_lshlrev_b32_e32 v2, 8, v17
	v_ashrrev_i32_e32 v3, 31, v2
	v_lshlrev_b64 v[2:3], 1, v[2:3]
	v_mov_b32_e32 v0, s1
	v_add_co_u32_e32 v2, vcc, s0, v2
	v_and_b32_e32 v21, 31, v1
	v_addc_co_u32_e32 v3, vcc, v0, v3, vcc
	v_lshlrev_b32_e32 v0, 4, v21
	v_add_co_u32_e32 v0, vcc, v2, v0
	v_addc_co_u32_e32 v1, vcc, 0, v3, vcc
	global_load_dwordx4 v[0:3], v[0:1], off
	v_mbcnt_lo_u32_b32 v4, -1, 0
	v_mbcnt_hi_u32_b32 v6, -1, v4
	v_and_b32_e32 v4, 0x60, v6
	v_xor_b32_e32 v5, 16, v6
	v_add_u32_e32 v7, 32, v4
	v_cmp_lt_i32_e32 vcc, v5, v7
	v_cndmask_b32_e32 v4, v6, v5, vcc
	v_lshlrev_b32_e32 v22, 2, v4
	v_xor_b32_e32 v12, 8, v6
	v_cmp_lt_i32_e32 vcc, v12, v7
	v_cndmask_b32_e32 v12, v6, v12, vcc
	v_lshlrev_b32_e32 v23, 2, v12
	v_xor_b32_e32 v12, 4, v6
	;; [unrolled: 4-line block ×4, first 2 shown]
	v_cmp_lt_i32_e32 vcc, v12, v7
	v_cndmask_b32_e32 v6, v6, v12, vcc
	v_lshlrev_b32_e32 v26, 2, v6
	s_mov_b32 s2, 0x3fb8aa3b
	s_mov_b32 s0, 0xc2ce8ed0
	;; [unrolled: 1-line block ×3, first 2 shown]
	v_mov_b32_e32 v6, 0x7f800000
	s_waitcnt vmcnt(0)
	v_cvt_f32_f16_e32 v8, v0
	v_cvt_f32_f16_sdwa v9, v0 dst_sel:DWORD dst_unused:UNUSED_PAD src0_sel:WORD_1
	v_cvt_f32_f16_e32 v10, v1
	v_cvt_f32_f16_sdwa v4, v1 dst_sel:DWORD dst_unused:UNUSED_PAD src0_sel:WORD_1
	;; [unrolled: 2-line block ×3, first 2 shown]
	v_cvt_f32_f16_sdwa v11, v3 dst_sel:DWORD dst_unused:UNUSED_PAD src0_sel:WORD_1
	v_cvt_f32_f16_e32 v1, v3
	v_max_f32_e32 v2, v8, v9
	v_max3_f32 v2, v2, v10, v4
	v_max3_f32 v2, v2, v5, v0
	;; [unrolled: 1-line block ×3, first 2 shown]
	ds_bpermute_b32 v3, v22, v2
	s_waitcnt lgkmcnt(0)
	v_max_f32_e32 v3, v3, v3
	v_max_f32_e32 v2, v2, v3
	ds_bpermute_b32 v3, v23, v2
	s_waitcnt lgkmcnt(0)
	v_max_f32_e32 v3, v3, v3
	v_max_f32_e32 v2, v2, v3
	;; [unrolled: 4-line block ×5, first 2 shown]
	v_sub_f32_e32 v3, v8, v2
	v_sub_f32_e32 v7, v9, v2
	v_mul_f32_e32 v9, 0x3fb8aa3b, v3
	v_sub_f32_e32 v8, v10, v2
	v_mul_f32_e32 v10, 0x3fb8aa3b, v7
	v_fma_f32 v16, v3, s2, -v9
	v_rndne_f32_e32 v18, v9
	v_pk_add_f32 v[4:5], v[4:5], v[2:3] op_sel_hi:[1,0] neg_lo:[0,1] neg_hi:[0,1]
	v_mul_f32_e32 v12, 0x3fb8aa3b, v8
	v_fma_f32 v19, v7, s2, -v10
	v_rndne_f32_e32 v20, v10
	v_fmac_f32_e32 v16, 0x32a5705f, v3
	v_sub_f32_e32 v9, v9, v18
	v_mul_f32_e32 v13, 0x3fb8aa3b, v5
	v_fma_f32 v27, v8, s2, -v12
	v_rndne_f32_e32 v28, v12
	v_fmac_f32_e32 v19, 0x32a5705f, v7
	v_sub_f32_e32 v10, v10, v20
	v_add_f32_e32 v9, v9, v16
	v_mul_f32_e32 v14, 0x3fb8aa3b, v4
	v_fma_f32 v29, v5, s2, -v13
	v_rndne_f32_e32 v30, v13
	v_cvt_i32_f32_e32 v18, v18
	v_fmac_f32_e32 v27, 0x32a5705f, v8
	v_sub_f32_e32 v12, v12, v28
	v_add_f32_e32 v10, v10, v19
	v_exp_f32_e32 v9, v9
	v_fma_f32 v31, v4, s2, -v14
	v_rndne_f32_e32 v32, v14
	v_cvt_i32_f32_e32 v20, v20
	v_fmac_f32_e32 v29, 0x32a5705f, v5
	v_sub_f32_e32 v13, v13, v30
	v_add_f32_e32 v12, v12, v27
	v_exp_f32_e32 v10, v10
	v_cvt_i32_f32_e32 v28, v28
	v_fmac_f32_e32 v31, 0x32a5705f, v4
	v_sub_f32_e32 v14, v14, v32
	v_add_f32_e32 v13, v13, v29
	v_exp_f32_e32 v12, v12
	v_cvt_i32_f32_e32 v30, v30
	v_add_f32_e32 v14, v14, v31
	v_exp_f32_e32 v13, v13
	v_cvt_i32_f32_e32 v32, v32
	v_exp_f32_e32 v14, v14
	v_ldexp_f32 v9, v9, v18
	v_cmp_ngt_f32_e32 vcc, s0, v3
	v_ldexp_f32 v10, v10, v20
	v_cndmask_b32_e32 v9, 0, v9, vcc
	v_cmp_ngt_f32_e32 vcc, s0, v7
	v_ldexp_f32 v12, v12, v28
	v_cndmask_b32_e32 v10, 0, v10, vcc
	;; [unrolled: 3-line block ×4, first 2 shown]
	v_cmp_ngt_f32_e32 vcc, s0, v4
	v_pk_add_f32 v[0:1], v[0:1], v[2:3] op_sel_hi:[1,0] neg_lo:[0,1] neg_hi:[0,1]
	v_cndmask_b32_e32 v14, 0, v14, vcc
	v_cmp_nlt_f32_e32 vcc, s1, v3
	v_mul_f32_e32 v15, 0x3fb8aa3b, v1
	v_cndmask_b32_e32 v3, v6, v9, vcc
	v_cmp_nlt_f32_e32 vcc, s1, v7
	v_fma_f32 v33, v1, s2, -v15
	v_cndmask_b32_e32 v7, v6, v10, vcc
	v_cmp_nlt_f32_e32 vcc, s1, v8
	v_rndne_f32_e32 v10, v15
	v_cndmask_b32_e32 v8, v6, v12, vcc
	v_fmac_f32_e32 v33, 0x32a5705f, v1
	v_sub_f32_e32 v12, v15, v10
	v_add_f32_e32 v12, v12, v33
	v_exp_f32_e32 v12, v12
	v_cvt_i32_f32_e32 v10, v10
	v_cmp_nlt_f32_e32 vcc, s1, v5
	v_cndmask_b32_e32 v5, v6, v13, vcc
	v_cmp_nlt_f32_e32 vcc, s1, v4
	v_ldexp_f32 v10, v12, v10
	v_mul_f32_e32 v12, 0x3fb8aa3b, v0
	v_cndmask_b32_e32 v4, v6, v14, vcc
	v_fma_f32 v13, v0, s2, -v12
	v_rndne_f32_e32 v14, v12
	v_fmac_f32_e32 v13, 0x32a5705f, v0
	v_sub_f32_e32 v12, v12, v14
	v_add_f32_e32 v12, v12, v13
	v_exp_f32_e32 v12, v12
	v_cvt_i32_f32_e32 v13, v14
	v_cmp_ngt_f32_e32 vcc, s0, v1
	v_sub_f32_e32 v2, v11, v2
	v_cndmask_b32_e32 v10, 0, v10, vcc
	v_cmp_nlt_f32_e32 vcc, s1, v1
	v_mul_f32_e32 v11, 0x3fb8aa3b, v2
	v_cndmask_b32_e32 v1, v6, v10, vcc
	v_ldexp_f32 v10, v12, v13
	v_fma_f32 v12, v2, s2, -v11
	v_rndne_f32_e32 v13, v11
	v_fmac_f32_e32 v12, 0x32a5705f, v2
	v_sub_f32_e32 v11, v11, v13
	v_add_f32_e32 v11, v11, v12
	v_exp_f32_e32 v11, v11
	v_cvt_i32_f32_e32 v12, v13
	v_add_f32_e32 v9, v3, v7
	v_add_f32_e32 v9, v9, v8
	v_cmp_ngt_f32_e32 vcc, s0, v0
	v_add_f32_e32 v9, v9, v4
	v_cndmask_b32_e32 v10, 0, v10, vcc
	v_cmp_nlt_f32_e32 vcc, s1, v0
	v_add_f32_e32 v9, v9, v5
	v_cndmask_b32_e32 v0, v6, v10, vcc
	v_ldexp_f32 v10, v11, v12
	v_cmp_ngt_f32_e32 vcc, s0, v2
	v_add_f32_e32 v9, v9, v0
	v_cndmask_b32_e32 v10, 0, v10, vcc
	v_cmp_nlt_f32_e32 vcc, s1, v2
	v_add_f32_e32 v9, v9, v1
	v_cndmask_b32_e32 v10, v6, v10, vcc
	v_add_f32_e32 v2, v9, v10
	ds_bpermute_b32 v6, v22, v2
	s_movk_i32 s2, 0x1f8
	v_lshlrev_b32_e32 v27, 3, v21
	s_waitcnt lgkmcnt(0)
	v_add_f32_e32 v2, v2, v6
	ds_bpermute_b32 v6, v23, v2
	s_waitcnt lgkmcnt(0)
	v_add_f32_e32 v2, v2, v6
	ds_bpermute_b32 v6, v24, v2
	;; [unrolled: 3-line block ×4, first 2 shown]
	s_waitcnt lgkmcnt(0)
	v_add_f32_e32 v2, v2, v6
	v_div_scale_f32 v6, s[0:1], v2, v2, 1.0
	v_rcp_f32_e32 v9, v6
	s_load_dwordx2 s[0:1], s[4:5], 0x40
	v_fma_f32 v11, -v6, v9, 1.0
	v_fmac_f32_e32 v9, v11, v9
	v_div_scale_f32 v11, vcc, 1.0, v2, 1.0
	v_mul_f32_e32 v12, v11, v9
	v_fma_f32 v13, -v6, v12, v11
	v_fmac_f32_e32 v12, v13, v9
	v_fma_f32 v6, -v6, v12, v11
	v_div_fmas_f32 v6, v6, v9, v12
	v_div_fixup_f32 v2, v6, v2, 1.0
	v_mul_f32_e32 v3, v2, v3
	v_mul_f32_e32 v11, v2, v7
	v_cmp_class_f32_e64 vcc, v3, s2
	v_mul_f32_e32 v12, v2, v8
	v_pk_mul_f32 v[8:9], v[2:3], v[0:1] op_sel_hi:[0,1]
	v_cndmask_b32_e32 v0, 0, v3, vcc
	v_cmp_class_f32_e64 vcc, v11, s2
	v_pk_mul_f32 v[6:7], v[2:3], v[4:5] op_sel_hi:[0,1]
	v_cndmask_b32_e32 v1, 0, v11, vcc
	v_cmp_class_f32_e64 vcc, v12, s2
	v_mov_b32_e32 v5, 0x207
	v_mul_f32_e32 v10, v2, v10
	v_cndmask_b32_e32 v2, 0, v12, vcc
	v_cmp_class_f32_e32 vcc, v7, v5
	v_cndmask_b32_e64 v4, v7, 0, vcc
	v_cmp_class_f32_e32 vcc, v6, v5
	v_cndmask_b32_e64 v3, v6, 0, vcc
	v_cmp_class_f32_e32 vcc, v9, v5
	v_cndmask_b32_e64 v6, v9, 0, vcc
	v_cmp_class_f32_e32 vcc, v8, v5
	v_cndmask_b32_e64 v5, v8, 0, vcc
	v_cmp_class_f32_e64 vcc, v10, s2
	s_waitcnt lgkmcnt(0)
	s_cmp_eq_u64 s[0:1], 0
	v_cndmask_b32_e32 v7, 0, v10, vcc
	s_cbranch_scc1 .LBB104_27
; %bb.4:
	v_lshlrev_b32_e32 v16, 2, v27
	global_load_dwordx4 v[8:11], v16, s[0:1]
	global_load_dwordx4 v[12:15], v16, s[0:1] offset:16
	s_waitcnt vmcnt(1)
	v_pk_add_f32 v[8:9], v[8:9], v[0:1]
	v_pk_add_f32 v[10:11], v[10:11], v[2:3]
	s_waitcnt vmcnt(0)
	v_pk_add_f32 v[12:13], v[12:13], v[4:5]
	v_pk_add_f32 v[14:15], v[14:15], v[6:7]
	s_cbranch_execnz .LBB104_6
.LBB104_5:
	v_pk_mov_b32 v[14:15], v[6:7], v[6:7] op_sel:[0,1]
	v_pk_mov_b32 v[12:13], v[4:5], v[4:5] op_sel:[0,1]
	;; [unrolled: 1-line block ×4, first 2 shown]
.LBB104_6:
	s_load_dwordx4 s[8:11], s[4:5], 0x30
	s_mov_b32 s25, 0
	v_cmp_eq_u32_e64 s[0:1], 0, v21
	s_waitcnt lgkmcnt(0)
	s_bitcmp1_b32 s11, 0
	s_cselect_b64 vcc, -1, 0
	s_cmp_gt_i32 s8, 0
	s_cselect_b64 s[20:21], -1, 0
	s_cmp_lt_i32 s8, 1
	s_cbranch_scc1 .LBB104_28
; %bb.7:
	s_load_dwordx4 s[12:15], s[4:5], 0x20
	v_mul_lo_u32 v29, v17, s8
	v_mov_b32_e32 v28, 0
	v_mov_b32_e32 v30, 0x100
	;; [unrolled: 1-line block ×4, first 2 shown]
	s_branch .LBB104_10
.LBB104_8:                              ;   in Loop: Header=BB104_10 Depth=1
	s_or_b64 exec, exec, s[4:5]
.LBB104_9:                              ;   in Loop: Header=BB104_10 Depth=1
	s_cmp_eq_u32 s8, s25
	v_add_u32_e32 v32, s24, v32
	s_cbranch_scc1 .LBB104_29
.LBB104_10:                             ; =>This Inner Loop Header: Depth=1
	v_cmp_gt_f32_e64 s[2:3], v9, v8
	v_cndmask_b32_e64 v16, v8, v9, s[2:3]
	v_cndmask_b32_e64 v18, v0, v1, s[2:3]
	s_waitcnt lgkmcnt(0)
	v_cndmask_b32_e64 v19, 0, 1, s[2:3]
	v_cmp_gt_f32_e64 s[2:3], v10, v16
	v_cndmask_b32_e64 v16, v16, v10, s[2:3]
	v_cndmask_b32_e64 v18, v18, v2, s[2:3]
	v_cndmask_b32_e64 v19, v19, 2, s[2:3]
	v_cmp_gt_f32_e64 s[2:3], v11, v16
	v_cndmask_b32_e64 v16, v16, v11, s[2:3]
	v_cndmask_b32_e64 v18, v18, v3, s[2:3]
	;; [unrolled: 4-line block ×6, first 2 shown]
	v_or_b32_e32 v19, v27, v19
	ds_bpermute_b32 v20, v22, v16
	ds_bpermute_b32 v33, v22, v19
	v_cndmask_b32_e64 v18, v18, v7, s[2:3]
	ds_bpermute_b32 v35, v22, v18
	s_waitcnt lgkmcnt(0)
	v_cmp_eq_f32_e64 s[4:5], v16, v20
	v_cmp_lt_i32_e64 s[6:7], v33, v19
	v_cmp_lt_f32_e64 s[2:3], v16, v20
	s_and_b64 s[4:5], s[4:5], s[6:7]
	s_or_b64 s[2:3], s[2:3], s[4:5]
	v_cndmask_b32_e64 v34, v19, v33, s[2:3]
	v_cndmask_b32_e64 v33, v16, v20, s[2:3]
	;; [unrolled: 1-line block ×3, first 2 shown]
	ds_bpermute_b32 v36, v23, v33
	ds_bpermute_b32 v20, v23, v16
	;; [unrolled: 1-line block ×3, first 2 shown]
                                        ; implicit-def: $vgpr18_vgpr19
	s_waitcnt lgkmcnt(2)
	v_cmp_lt_f32_e64 s[6:7], v33, v36
	v_cmp_nlt_f32_e64 s[2:3], v33, v36
	s_and_saveexec_b64 s[22:23], s[2:3]
	s_cbranch_execz .LBB104_12
; %bb.11:                               ;   in Loop: Header=BB104_10 Depth=1
	v_cmp_eq_f32_e64 s[2:3], v33, v36
	s_waitcnt lgkmcnt(0)
	v_cmp_lt_i32_e64 s[4:5], v35, v34
	s_and_b64 s[2:3], s[2:3], s[4:5]
	s_andn2_b64 s[4:5], s[6:7], exec
	s_and_b64 s[2:3], s[2:3], exec
	s_or_b64 s[6:7], s[4:5], s[2:3]
	v_pk_mov_b32 v[18:19], v[16:17], v[16:17] op_sel:[0,1]
.LBB104_12:                             ;   in Loop: Header=BB104_10 Depth=1
	s_or_b64 exec, exec, s[22:23]
	s_and_saveexec_b64 s[2:3], s[6:7]
	s_cbranch_execz .LBB104_14
; %bb.13:                               ;   in Loop: Header=BB104_10 Depth=1
	v_mov_b32_e32 v33, v36
	s_waitcnt lgkmcnt(1)
	v_mov_b32_e32 v16, v20
	s_waitcnt lgkmcnt(0)
	v_mov_b32_e32 v34, v35
	v_pk_mov_b32 v[18:19], v[20:21], v[20:21] op_sel:[0,1]
.LBB104_14:                             ;   in Loop: Header=BB104_10 Depth=1
	s_or_b64 exec, exec, s[2:3]
	s_waitcnt lgkmcnt(0)
	ds_bpermute_b32 v35, v24, v33
	ds_bpermute_b32 v20, v24, v16
	;; [unrolled: 1-line block ×3, first 2 shown]
	s_waitcnt lgkmcnt(2)
	v_cmp_lt_f32_e64 s[6:7], v33, v35
	v_cmp_nlt_f32_e64 s[2:3], v33, v35
	s_and_saveexec_b64 s[22:23], s[2:3]
	s_cbranch_execz .LBB104_16
; %bb.15:                               ;   in Loop: Header=BB104_10 Depth=1
	v_cmp_eq_f32_e64 s[2:3], v33, v35
	s_waitcnt lgkmcnt(0)
	v_cmp_lt_i32_e64 s[4:5], v19, v34
	s_and_b64 s[2:3], s[2:3], s[4:5]
	s_andn2_b64 s[4:5], s[6:7], exec
	s_and_b64 s[2:3], s[2:3], exec
	s_or_b64 s[6:7], s[4:5], s[2:3]
.LBB104_16:                             ;   in Loop: Header=BB104_10 Depth=1
	s_or_b64 exec, exec, s[22:23]
	s_and_saveexec_b64 s[2:3], s[6:7]
	s_cbranch_execz .LBB104_18
; %bb.17:                               ;   in Loop: Header=BB104_10 Depth=1
	v_mov_b32_e32 v33, v35
	s_waitcnt lgkmcnt(1)
	v_mov_b32_e32 v16, v20
	s_waitcnt lgkmcnt(0)
	v_mov_b32_e32 v34, v19
	v_pk_mov_b32 v[18:19], v[20:21], v[20:21] op_sel:[0,1]
.LBB104_18:                             ;   in Loop: Header=BB104_10 Depth=1
	s_or_b64 exec, exec, s[2:3]
	ds_bpermute_b32 v35, v25, v33
	s_waitcnt lgkmcnt(2)
	ds_bpermute_b32 v20, v25, v16
	s_waitcnt lgkmcnt(2)
	;; [unrolled: 2-line block ×3, first 2 shown]
	v_cmp_lt_f32_e64 s[6:7], v33, v35
	v_cmp_nlt_f32_e64 s[2:3], v33, v35
	s_and_saveexec_b64 s[22:23], s[2:3]
	s_cbranch_execz .LBB104_20
; %bb.19:                               ;   in Loop: Header=BB104_10 Depth=1
	v_cmp_eq_f32_e64 s[2:3], v33, v35
	s_waitcnt lgkmcnt(0)
	v_cmp_lt_i32_e64 s[4:5], v19, v34
	s_and_b64 s[2:3], s[2:3], s[4:5]
	s_andn2_b64 s[4:5], s[6:7], exec
	s_and_b64 s[2:3], s[2:3], exec
	s_or_b64 s[6:7], s[4:5], s[2:3]
.LBB104_20:                             ;   in Loop: Header=BB104_10 Depth=1
	s_or_b64 exec, exec, s[22:23]
	s_and_saveexec_b64 s[2:3], s[6:7]
	s_cbranch_execz .LBB104_22
; %bb.21:                               ;   in Loop: Header=BB104_10 Depth=1
	v_mov_b32_e32 v33, v35
	s_waitcnt lgkmcnt(1)
	v_mov_b32_e32 v16, v20
	s_waitcnt lgkmcnt(0)
	v_mov_b32_e32 v34, v19
	v_pk_mov_b32 v[18:19], v[20:21], v[20:21] op_sel:[0,1]
.LBB104_22:                             ;   in Loop: Header=BB104_10 Depth=1
	s_or_b64 exec, exec, s[2:3]
	s_waitcnt lgkmcnt(1)
	ds_bpermute_b32 v20, v26, v33
	ds_bpermute_b32 v35, v26, v34
	s_waitcnt lgkmcnt(2)
	ds_bpermute_b32 v19, v26, v16
	s_waitcnt lgkmcnt(2)
	v_cmp_eq_f32_e64 s[4:5], v33, v20
	s_waitcnt lgkmcnt(1)
	v_cmp_lt_i32_e64 s[6:7], v35, v34
	v_cmp_lt_f32_e64 s[2:3], v33, v20
	s_and_b64 s[4:5], s[4:5], s[6:7]
	s_or_b64 s[2:3], s[2:3], s[4:5]
	v_cndmask_b32_e64 v16, v34, v35, s[2:3]
	s_and_saveexec_b64 s[6:7], s[0:1]
	s_cbranch_execnz .LBB104_24
; %bb.23:                               ;   in Loop: Header=BB104_10 Depth=1
	s_or_b64 exec, exec, s[6:7]
	s_add_i32 s25, s25, 1
	s_cmp_ge_i32 s25, s8
	s_cbranch_scc1 .LBB104_9
	s_branch .LBB104_25
.LBB104_24:                             ;   in Loop: Header=BB104_10 Depth=1
	s_waitcnt lgkmcnt(0)
	v_cndmask_b32_e64 v20, v18, v19, s[2:3]
	v_add_u32_e32 v18, s25, v29
	v_ashrrev_i32_e32 v19, 31, v18
	v_cmp_le_i32_e64 s[2:3], s9, v16
	v_cmp_gt_i32_e64 s[4:5], s10, v16
	v_lshlrev_b64 v[18:19], 2, v[18:19]
	s_and_b64 s[4:5], s[2:3], s[4:5]
	v_mov_b32_e32 v33, s17
	v_add_co_u32_e64 v34, s[2:3], s16, v18
	v_addc_co_u32_e64 v35, s[2:3], v33, v19, s[2:3]
	v_subrev_u32_e32 v33, s9, v16
	s_and_b64 s[2:3], s[18:19], s[4:5]
	global_store_dword v[34:35], v20, off
	v_cndmask_b32_e64 v33, v30, v33, s[2:3]
	v_mov_b32_e32 v35, s13
	v_add_co_u32_e64 v34, s[2:3], s12, v18
	v_addc_co_u32_e64 v35, s[2:3], v35, v19, s[2:3]
	global_store_dword v[34:35], v33, off
	v_mov_b32_e32 v33, s15
	v_add_co_u32_e64 v18, s[2:3], s14, v18
	v_addc_co_u32_e64 v19, s[2:3], v33, v19, s[2:3]
	global_store_dword v[18:19], v32, off
	v_add_f32_e32 v18, v28, v20
	v_cndmask_b32_e32 v28, v28, v18, vcc
	s_or_b64 exec, exec, s[6:7]
	s_add_i32 s25, s25, 1
	s_cmp_ge_i32 s25, s8
	s_cbranch_scc1 .LBB104_9
.LBB104_25:                             ;   in Loop: Header=BB104_10 Depth=1
	v_ashrrev_i32_e32 v18, 31, v16
	s_waitcnt lgkmcnt(0)
	v_lshrrev_b32_e32 v19, 29, v18
	v_add_u32_e32 v20, v16, v19
	v_ashrrev_i32_e32 v19, 3, v20
	v_ashrrev_i32_e32 v20, 31, v20
	v_lshrrev_b32_e32 v20, 27, v20
	v_add_u32_e32 v20, v19, v20
	v_and_b32_e32 v20, 0xffffffe0, v20
	v_sub_u32_e32 v20, v19, v20
	v_cmp_eq_u32_e64 s[2:3], v21, v20
	s_and_saveexec_b64 s[4:5], s[2:3]
	s_cbranch_execz .LBB104_8
; %bb.26:                               ;   in Loop: Header=BB104_10 Depth=1
	v_add_u32_sdwa v18, v16, v18 dst_sel:DWORD dst_unused:UNUSED_PAD src0_sel:DWORD src1_sel:BYTE_3
	v_lshlrev_b32_e32 v19, 3, v19
	v_ashrrev_i32_e32 v18, 8, v18
	v_sub_u32_e32 v16, v16, v19
	v_lshl_add_u32 v16, v18, 3, v16
	v_cmp_ne_u32_e64 s[2:3], 7, v16
	v_cndmask_b32_e64 v15, v31, v15, s[2:3]
	v_cmp_ne_u32_e64 s[2:3], 6, v16
	v_cndmask_b32_e64 v14, v31, v14, s[2:3]
	;; [unrolled: 2-line block ×8, first 2 shown]
	s_branch .LBB104_8
.LBB104_27:
                                        ; implicit-def: $vgpr8_vgpr9_vgpr10_vgpr11_vgpr12_vgpr13_vgpr14_vgpr15
	s_andn2_b64 vcc, exec, s[6:7]
	s_cbranch_vccz .LBB104_5
	s_branch .LBB104_6
.LBB104_28:
	v_mov_b32_e32 v28, 0
.LBB104_29:
	v_cmp_eq_u32_e64 s[0:1], 0, v21
	s_and_b64 s[0:1], s[0:1], vcc
	s_and_b64 exec, exec, s[0:1]
	s_cbranch_execz .LBB104_38
; %bb.30:
	s_andn2_b64 vcc, exec, s[20:21]
	s_cbranch_vccnz .LBB104_38
; %bb.31:
	v_cmp_lt_f32_e32 vcc, 0, v28
	s_mov_b32 s2, 0
	v_cndmask_b32_e32 v0, 1.0, v28, vcc
	v_mul_lo_u32 v4, v17, s8
	s_cmp_eq_u32 s8, 1
	s_mov_b64 s[0:1], -1
	s_cbranch_scc1 .LBB104_35
; %bb.32:
	s_and_b32 s2, s8, 0x7ffffffe
	v_mov_b32_e32 v1, v0
	v_mov_b32_e32 v5, s17
	s_mov_b32 s3, s2
	v_mov_b32_e32 v2, v4
.LBB104_33:                             ; =>This Inner Loop Header: Depth=1
	v_ashrrev_i32_e32 v3, 31, v2
	v_lshlrev_b64 v[6:7], 2, v[2:3]
	v_add_co_u32_e32 v6, vcc, s16, v6
	v_addc_co_u32_e32 v7, vcc, v5, v7, vcc
	global_load_dwordx2 v[8:9], v[6:7], off
	s_add_i32 s3, s3, -2
	s_cmp_lg_u32 s3, 0
	v_add_u32_e32 v2, 2, v2
	s_waitcnt vmcnt(0)
	v_div_scale_f32 v3, s[0:1], v1, v1, v9
	v_div_scale_f32 v11, s[0:1], v0, v0, v8
	v_rcp_f32_e32 v12, v3
	v_rcp_f32_e32 v13, v11
	v_div_scale_f32 v10, vcc, v9, v1, v9
	v_fma_f32 v15, -v3, v12, 1.0
	v_fma_f32 v16, -v11, v13, 1.0
	v_fmac_f32_e32 v12, v15, v12
	v_div_scale_f32 v14, s[0:1], v8, v0, v8
	v_fmac_f32_e32 v13, v16, v13
	v_mul_f32_e32 v15, v10, v12
	v_mul_f32_e32 v16, v14, v13
	v_fma_f32 v17, -v3, v15, v10
	v_fma_f32 v18, -v11, v16, v14
	v_fmac_f32_e32 v15, v17, v12
	v_fmac_f32_e32 v16, v18, v13
	v_fma_f32 v3, -v3, v15, v10
	v_fma_f32 v10, -v11, v16, v14
	v_div_fmas_f32 v3, v3, v12, v15
	s_mov_b64 vcc, s[0:1]
	v_div_fixup_f32 v9, v3, v1, v9
	v_div_fmas_f32 v3, v10, v13, v16
	v_div_fixup_f32 v8, v3, v0, v8
	global_store_dwordx2 v[6:7], v[8:9], off
	s_cbranch_scc1 .LBB104_33
; %bb.34:
	s_cmp_lg_u32 s2, s8
	s_cselect_b64 s[0:1], -1, 0
.LBB104_35:
	s_and_b64 vcc, exec, s[0:1]
	s_cbranch_vccz .LBB104_38
; %bb.36:
	v_ashrrev_i32_e32 v1, 31, v4
	v_add_co_u32_e32 v2, vcc, s2, v4
	v_addc_co_u32_e32 v3, vcc, 0, v1, vcc
	v_lshlrev_b64 v[2:3], 2, v[2:3]
	v_mov_b32_e32 v1, s17
	v_add_co_u32_e32 v2, vcc, s16, v2
	s_sub_i32 s0, s8, s2
	v_addc_co_u32_e32 v3, vcc, v1, v3, vcc
.LBB104_37:                             ; =>This Inner Loop Header: Depth=1
	global_load_dword v1, v[2:3], off
	s_add_i32 s0, s0, -1
	s_cmp_lg_u32 s0, 0
	s_waitcnt vmcnt(0)
	v_div_scale_f32 v4, s[2:3], v0, v0, v1
	v_rcp_f32_e32 v5, v4
	v_div_scale_f32 v6, vcc, v1, v0, v1
	v_fma_f32 v7, -v4, v5, 1.0
	v_fmac_f32_e32 v5, v7, v5
	v_mul_f32_e32 v7, v6, v5
	v_fma_f32 v8, -v4, v7, v6
	v_fmac_f32_e32 v7, v8, v5
	v_fma_f32 v4, -v4, v7, v6
	v_div_fmas_f32 v4, v4, v5, v7
	v_div_fixup_f32 v1, v4, v0, v1
	global_store_dword v[2:3], v1, off
	v_add_co_u32_e32 v2, vcc, 4, v2
	v_addc_co_u32_e32 v3, vcc, 0, v3, vcc
	s_cbranch_scc1 .LBB104_37
.LBB104_38:
	s_endpgm
	.section	.rodata,"a",@progbits
	.p2align	6, 0x0
	.amdhsa_kernel _ZN4vllm3moe10topkGatingILi8ELi256ELi4ELi16ELi32Ej6__halfLNS0_11ScoringFuncE0EEEvPKT5_PKbPfiPT4_PiiiibPKf
		.amdhsa_group_segment_fixed_size 0
		.amdhsa_private_segment_fixed_size 0
		.amdhsa_kernarg_size 72
		.amdhsa_user_sgpr_count 6
		.amdhsa_user_sgpr_private_segment_buffer 1
		.amdhsa_user_sgpr_dispatch_ptr 0
		.amdhsa_user_sgpr_queue_ptr 0
		.amdhsa_user_sgpr_kernarg_segment_ptr 1
		.amdhsa_user_sgpr_dispatch_id 0
		.amdhsa_user_sgpr_flat_scratch_init 0
		.amdhsa_user_sgpr_kernarg_preload_length 0
		.amdhsa_user_sgpr_kernarg_preload_offset 0
		.amdhsa_user_sgpr_private_segment_size 0
		.amdhsa_uses_dynamic_stack 0
		.amdhsa_system_sgpr_private_segment_wavefront_offset 0
		.amdhsa_system_sgpr_workgroup_id_x 1
		.amdhsa_system_sgpr_workgroup_id_y 0
		.amdhsa_system_sgpr_workgroup_id_z 0
		.amdhsa_system_sgpr_workgroup_info 0
		.amdhsa_system_vgpr_workitem_id 1
		.amdhsa_next_free_vgpr 37
		.amdhsa_next_free_sgpr 26
		.amdhsa_accum_offset 40
		.amdhsa_reserve_vcc 1
		.amdhsa_reserve_flat_scratch 0
		.amdhsa_float_round_mode_32 0
		.amdhsa_float_round_mode_16_64 0
		.amdhsa_float_denorm_mode_32 3
		.amdhsa_float_denorm_mode_16_64 3
		.amdhsa_dx10_clamp 1
		.amdhsa_ieee_mode 1
		.amdhsa_fp16_overflow 0
		.amdhsa_tg_split 0
		.amdhsa_exception_fp_ieee_invalid_op 0
		.amdhsa_exception_fp_denorm_src 0
		.amdhsa_exception_fp_ieee_div_zero 0
		.amdhsa_exception_fp_ieee_overflow 0
		.amdhsa_exception_fp_ieee_underflow 0
		.amdhsa_exception_fp_ieee_inexact 0
		.amdhsa_exception_int_div_zero 0
	.end_amdhsa_kernel
	.section	.text._ZN4vllm3moe10topkGatingILi8ELi256ELi4ELi16ELi32Ej6__halfLNS0_11ScoringFuncE0EEEvPKT5_PKbPfiPT4_PiiiibPKf,"axG",@progbits,_ZN4vllm3moe10topkGatingILi8ELi256ELi4ELi16ELi32Ej6__halfLNS0_11ScoringFuncE0EEEvPKT5_PKbPfiPT4_PiiiibPKf,comdat
.Lfunc_end104:
	.size	_ZN4vllm3moe10topkGatingILi8ELi256ELi4ELi16ELi32Ej6__halfLNS0_11ScoringFuncE0EEEvPKT5_PKbPfiPT4_PiiiibPKf, .Lfunc_end104-_ZN4vllm3moe10topkGatingILi8ELi256ELi4ELi16ELi32Ej6__halfLNS0_11ScoringFuncE0EEEvPKT5_PKbPfiPT4_PiiiibPKf
                                        ; -- End function
	.section	.AMDGPU.csdata,"",@progbits
; Kernel info:
; codeLenInByte = 3336
; NumSgprs: 30
; NumVgprs: 37
; NumAgprs: 0
; TotalNumVgprs: 37
; ScratchSize: 0
; MemoryBound: 0
; FloatMode: 240
; IeeeMode: 1
; LDSByteSize: 0 bytes/workgroup (compile time only)
; SGPRBlocks: 3
; VGPRBlocks: 4
; NumSGPRsForWavesPerEU: 30
; NumVGPRsForWavesPerEU: 37
; AccumOffset: 40
; Occupancy: 8
; WaveLimiterHint : 0
; COMPUTE_PGM_RSRC2:SCRATCH_EN: 0
; COMPUTE_PGM_RSRC2:USER_SGPR: 6
; COMPUTE_PGM_RSRC2:TRAP_HANDLER: 0
; COMPUTE_PGM_RSRC2:TGID_X_EN: 1
; COMPUTE_PGM_RSRC2:TGID_Y_EN: 0
; COMPUTE_PGM_RSRC2:TGID_Z_EN: 0
; COMPUTE_PGM_RSRC2:TIDIG_COMP_CNT: 1
; COMPUTE_PGM_RSRC3_GFX90A:ACCUM_OFFSET: 9
; COMPUTE_PGM_RSRC3_GFX90A:TG_SPLIT: 0
	.section	.text._ZN4vllm3moe10topkGatingILi8ELi512ELi4ELi16ELi64Ej6__halfLNS0_11ScoringFuncE0EEEvPKT5_PKbPfiPT4_PiiiibPKf,"axG",@progbits,_ZN4vllm3moe10topkGatingILi8ELi512ELi4ELi16ELi64Ej6__halfLNS0_11ScoringFuncE0EEEvPKT5_PKbPfiPT4_PiiiibPKf,comdat
	.protected	_ZN4vllm3moe10topkGatingILi8ELi512ELi4ELi16ELi64Ej6__halfLNS0_11ScoringFuncE0EEEvPKT5_PKbPfiPT4_PiiiibPKf ; -- Begin function _ZN4vllm3moe10topkGatingILi8ELi512ELi4ELi16ELi64Ej6__halfLNS0_11ScoringFuncE0EEEvPKT5_PKbPfiPT4_PiiiibPKf
	.globl	_ZN4vllm3moe10topkGatingILi8ELi512ELi4ELi16ELi64Ej6__halfLNS0_11ScoringFuncE0EEEvPKT5_PKbPfiPT4_PiiiibPKf
	.p2align	8
	.type	_ZN4vllm3moe10topkGatingILi8ELi512ELi4ELi16ELi64Ej6__halfLNS0_11ScoringFuncE0EEEvPKT5_PKbPfiPT4_PiiiibPKf,@function
_ZN4vllm3moe10topkGatingILi8ELi512ELi4ELi16ELi64Ej6__halfLNS0_11ScoringFuncE0EEEvPKT5_PKbPfiPT4_PiiiibPKf: ; @_ZN4vllm3moe10topkGatingILi8ELi512ELi4ELi16ELi64Ej6__halfLNS0_11ScoringFuncE0EEEvPKT5_PKbPfiPT4_PiiiibPKf
; %bb.0:
	s_load_dword s24, s[4:5], 0x18
	v_and_b32_e32 v1, 0x3ff, v0
	s_lshl_b32 s0, s6, 2
	v_lshrrev_b32_e32 v2, 6, v1
	v_bfe_u32 v0, v0, 10, 10
	v_add3_u32 v17, s0, v0, v2
	s_waitcnt lgkmcnt(0)
	v_cmp_gt_i32_e32 vcc, s24, v17
	s_and_saveexec_b64 s[0:1], vcc
	s_cbranch_execz .LBB105_42
; %bb.1:
	s_load_dwordx4 s[0:3], s[4:5], 0x0
	s_load_dwordx2 s[16:17], s[4:5], 0x10
	s_mov_b64 s[6:7], -1
	s_mov_b64 s[18:19], -1
	s_waitcnt lgkmcnt(0)
	s_cmp_eq_u64 s[2:3], 0
	s_cbranch_scc1 .LBB105_3
; %bb.2:
	v_ashrrev_i32_e32 v0, 31, v17
	v_mov_b32_e32 v3, s3
	v_add_co_u32_e32 v2, vcc, s2, v17
	v_addc_co_u32_e32 v3, vcc, v3, v0, vcc
	global_load_ubyte v0, v[2:3], off
	s_waitcnt vmcnt(0)
	v_and_b32_e32 v0, 1, v0
	v_cmp_eq_u32_e32 vcc, 1, v0
	s_xor_b64 s[2:3], vcc, -1
	s_orn2_b64 s[18:19], s[2:3], exec
.LBB105_3:
	v_lshlrev_b32_e32 v2, 9, v17
	v_ashrrev_i32_e32 v3, 31, v2
	v_lshlrev_b64 v[2:3], 1, v[2:3]
	v_mov_b32_e32 v0, s1
	v_add_co_u32_e32 v2, vcc, s0, v2
	v_and_b32_e32 v21, 63, v1
	v_addc_co_u32_e32 v3, vcc, v0, v3, vcc
	v_lshlrev_b32_e32 v0, 4, v21
	v_add_co_u32_e32 v0, vcc, v2, v0
	v_addc_co_u32_e32 v1, vcc, 0, v3, vcc
	global_load_dwordx4 v[0:3], v[0:1], off
	v_mbcnt_lo_u32_b32 v4, -1, 0
	v_mbcnt_hi_u32_b32 v6, -1, v4
	v_and_b32_e32 v4, 64, v6
	v_xor_b32_e32 v5, 32, v6
	v_add_u32_e32 v7, 64, v4
	v_cmp_lt_i32_e32 vcc, v5, v7
	v_cndmask_b32_e32 v4, v6, v5, vcc
	v_lshlrev_b32_e32 v22, 2, v4
	v_xor_b32_e32 v12, 16, v6
	v_cmp_lt_i32_e32 vcc, v12, v7
	v_cndmask_b32_e32 v12, v6, v12, vcc
	v_lshlrev_b32_e32 v23, 2, v12
	v_xor_b32_e32 v12, 8, v6
	;; [unrolled: 4-line block ×5, first 2 shown]
	v_cmp_lt_i32_e32 vcc, v12, v7
	v_cndmask_b32_e32 v6, v6, v12, vcc
	v_lshlrev_b32_e32 v27, 2, v6
	s_mov_b32 s2, 0x3fb8aa3b
	s_mov_b32 s0, 0xc2ce8ed0
	;; [unrolled: 1-line block ×3, first 2 shown]
	v_mov_b32_e32 v6, 0x7f800000
	s_waitcnt vmcnt(0)
	v_cvt_f32_f16_e32 v8, v0
	v_cvt_f32_f16_sdwa v9, v0 dst_sel:DWORD dst_unused:UNUSED_PAD src0_sel:WORD_1
	v_cvt_f32_f16_e32 v10, v1
	v_cvt_f32_f16_sdwa v4, v1 dst_sel:DWORD dst_unused:UNUSED_PAD src0_sel:WORD_1
	v_cvt_f32_f16_e32 v5, v2
	v_cvt_f32_f16_sdwa v0, v2 dst_sel:DWORD dst_unused:UNUSED_PAD src0_sel:WORD_1
	v_cvt_f32_f16_sdwa v11, v3 dst_sel:DWORD dst_unused:UNUSED_PAD src0_sel:WORD_1
	v_cvt_f32_f16_e32 v1, v3
	v_max_f32_e32 v2, v8, v9
	v_max3_f32 v2, v2, v10, v4
	v_max3_f32 v2, v2, v5, v0
	;; [unrolled: 1-line block ×3, first 2 shown]
	ds_bpermute_b32 v3, v22, v2
	s_waitcnt lgkmcnt(0)
	v_max_f32_e32 v3, v3, v3
	v_max_f32_e32 v2, v2, v3
	ds_bpermute_b32 v3, v23, v2
	s_waitcnt lgkmcnt(0)
	v_max_f32_e32 v3, v3, v3
	v_max_f32_e32 v2, v2, v3
	;; [unrolled: 4-line block ×6, first 2 shown]
	v_sub_f32_e32 v3, v8, v2
	v_sub_f32_e32 v7, v9, v2
	v_mul_f32_e32 v9, 0x3fb8aa3b, v3
	v_sub_f32_e32 v8, v10, v2
	v_mul_f32_e32 v10, 0x3fb8aa3b, v7
	v_fma_f32 v16, v3, s2, -v9
	v_rndne_f32_e32 v18, v9
	v_pk_add_f32 v[4:5], v[4:5], v[2:3] op_sel_hi:[1,0] neg_lo:[0,1] neg_hi:[0,1]
	v_mul_f32_e32 v12, 0x3fb8aa3b, v8
	v_fma_f32 v19, v7, s2, -v10
	v_rndne_f32_e32 v20, v10
	v_fmac_f32_e32 v16, 0x32a5705f, v3
	v_sub_f32_e32 v9, v9, v18
	v_mul_f32_e32 v13, 0x3fb8aa3b, v5
	v_fma_f32 v28, v8, s2, -v12
	v_rndne_f32_e32 v29, v12
	v_fmac_f32_e32 v19, 0x32a5705f, v7
	v_sub_f32_e32 v10, v10, v20
	v_add_f32_e32 v9, v9, v16
	v_mul_f32_e32 v14, 0x3fb8aa3b, v4
	v_fma_f32 v30, v5, s2, -v13
	v_rndne_f32_e32 v31, v13
	v_cvt_i32_f32_e32 v18, v18
	v_fmac_f32_e32 v28, 0x32a5705f, v8
	v_sub_f32_e32 v12, v12, v29
	v_add_f32_e32 v10, v10, v19
	v_exp_f32_e32 v9, v9
	v_fma_f32 v32, v4, s2, -v14
	v_rndne_f32_e32 v33, v14
	v_cvt_i32_f32_e32 v20, v20
	v_fmac_f32_e32 v30, 0x32a5705f, v5
	v_sub_f32_e32 v13, v13, v31
	v_add_f32_e32 v12, v12, v28
	v_exp_f32_e32 v10, v10
	v_cvt_i32_f32_e32 v29, v29
	v_fmac_f32_e32 v32, 0x32a5705f, v4
	v_sub_f32_e32 v14, v14, v33
	v_add_f32_e32 v13, v13, v30
	v_exp_f32_e32 v12, v12
	v_cvt_i32_f32_e32 v31, v31
	v_add_f32_e32 v14, v14, v32
	v_exp_f32_e32 v13, v13
	v_cvt_i32_f32_e32 v33, v33
	v_exp_f32_e32 v14, v14
	v_ldexp_f32 v9, v9, v18
	v_cmp_ngt_f32_e32 vcc, s0, v3
	v_ldexp_f32 v10, v10, v20
	v_cndmask_b32_e32 v9, 0, v9, vcc
	v_cmp_ngt_f32_e32 vcc, s0, v7
	v_ldexp_f32 v12, v12, v29
	v_cndmask_b32_e32 v10, 0, v10, vcc
	;; [unrolled: 3-line block ×4, first 2 shown]
	v_cmp_ngt_f32_e32 vcc, s0, v4
	v_pk_add_f32 v[0:1], v[0:1], v[2:3] op_sel_hi:[1,0] neg_lo:[0,1] neg_hi:[0,1]
	v_cndmask_b32_e32 v14, 0, v14, vcc
	v_cmp_nlt_f32_e32 vcc, s1, v3
	v_mul_f32_e32 v15, 0x3fb8aa3b, v1
	v_cndmask_b32_e32 v3, v6, v9, vcc
	v_cmp_nlt_f32_e32 vcc, s1, v7
	v_fma_f32 v34, v1, s2, -v15
	v_cndmask_b32_e32 v7, v6, v10, vcc
	v_cmp_nlt_f32_e32 vcc, s1, v8
	v_rndne_f32_e32 v10, v15
	v_cndmask_b32_e32 v8, v6, v12, vcc
	v_fmac_f32_e32 v34, 0x32a5705f, v1
	v_sub_f32_e32 v12, v15, v10
	v_add_f32_e32 v12, v12, v34
	v_exp_f32_e32 v12, v12
	v_cvt_i32_f32_e32 v10, v10
	v_cmp_nlt_f32_e32 vcc, s1, v5
	v_cndmask_b32_e32 v5, v6, v13, vcc
	v_cmp_nlt_f32_e32 vcc, s1, v4
	v_ldexp_f32 v10, v12, v10
	v_mul_f32_e32 v12, 0x3fb8aa3b, v0
	v_cndmask_b32_e32 v4, v6, v14, vcc
	v_fma_f32 v13, v0, s2, -v12
	v_rndne_f32_e32 v14, v12
	v_fmac_f32_e32 v13, 0x32a5705f, v0
	v_sub_f32_e32 v12, v12, v14
	v_add_f32_e32 v12, v12, v13
	v_exp_f32_e32 v12, v12
	v_cvt_i32_f32_e32 v13, v14
	v_cmp_ngt_f32_e32 vcc, s0, v1
	v_sub_f32_e32 v2, v11, v2
	v_cndmask_b32_e32 v10, 0, v10, vcc
	v_cmp_nlt_f32_e32 vcc, s1, v1
	v_mul_f32_e32 v11, 0x3fb8aa3b, v2
	v_cndmask_b32_e32 v1, v6, v10, vcc
	v_ldexp_f32 v10, v12, v13
	v_fma_f32 v12, v2, s2, -v11
	v_rndne_f32_e32 v13, v11
	v_fmac_f32_e32 v12, 0x32a5705f, v2
	v_sub_f32_e32 v11, v11, v13
	v_add_f32_e32 v11, v11, v12
	v_exp_f32_e32 v11, v11
	v_cvt_i32_f32_e32 v12, v13
	v_add_f32_e32 v9, v3, v7
	v_add_f32_e32 v9, v9, v8
	v_cmp_ngt_f32_e32 vcc, s0, v0
	v_add_f32_e32 v9, v9, v4
	v_cndmask_b32_e32 v10, 0, v10, vcc
	v_cmp_nlt_f32_e32 vcc, s1, v0
	v_add_f32_e32 v9, v9, v5
	v_cndmask_b32_e32 v0, v6, v10, vcc
	v_ldexp_f32 v10, v11, v12
	v_cmp_ngt_f32_e32 vcc, s0, v2
	v_add_f32_e32 v9, v9, v0
	v_cndmask_b32_e32 v10, 0, v10, vcc
	v_cmp_nlt_f32_e32 vcc, s1, v2
	v_add_f32_e32 v9, v9, v1
	v_cndmask_b32_e32 v10, v6, v10, vcc
	v_add_f32_e32 v2, v9, v10
	ds_bpermute_b32 v6, v22, v2
	s_movk_i32 s2, 0x1f8
	v_lshlrev_b32_e32 v28, 3, v21
	s_waitcnt lgkmcnt(0)
	v_add_f32_e32 v2, v2, v6
	ds_bpermute_b32 v6, v23, v2
	s_waitcnt lgkmcnt(0)
	v_add_f32_e32 v2, v2, v6
	ds_bpermute_b32 v6, v24, v2
	;; [unrolled: 3-line block ×5, first 2 shown]
	s_waitcnt lgkmcnt(0)
	v_add_f32_e32 v2, v2, v6
	v_div_scale_f32 v6, s[0:1], v2, v2, 1.0
	v_rcp_f32_e32 v9, v6
	s_load_dwordx2 s[0:1], s[4:5], 0x40
	v_fma_f32 v11, -v6, v9, 1.0
	v_fmac_f32_e32 v9, v11, v9
	v_div_scale_f32 v11, vcc, 1.0, v2, 1.0
	v_mul_f32_e32 v12, v11, v9
	v_fma_f32 v13, -v6, v12, v11
	v_fmac_f32_e32 v12, v13, v9
	v_fma_f32 v6, -v6, v12, v11
	v_div_fmas_f32 v6, v6, v9, v12
	v_div_fixup_f32 v2, v6, v2, 1.0
	v_mul_f32_e32 v3, v2, v3
	v_mul_f32_e32 v11, v2, v7
	v_cmp_class_f32_e64 vcc, v3, s2
	v_mul_f32_e32 v12, v2, v8
	v_pk_mul_f32 v[8:9], v[2:3], v[0:1] op_sel_hi:[0,1]
	v_cndmask_b32_e32 v0, 0, v3, vcc
	v_cmp_class_f32_e64 vcc, v11, s2
	v_pk_mul_f32 v[6:7], v[2:3], v[4:5] op_sel_hi:[0,1]
	v_cndmask_b32_e32 v1, 0, v11, vcc
	v_cmp_class_f32_e64 vcc, v12, s2
	v_mov_b32_e32 v5, 0x207
	v_mul_f32_e32 v10, v2, v10
	v_cndmask_b32_e32 v2, 0, v12, vcc
	v_cmp_class_f32_e32 vcc, v7, v5
	v_cndmask_b32_e64 v4, v7, 0, vcc
	v_cmp_class_f32_e32 vcc, v6, v5
	v_cndmask_b32_e64 v3, v6, 0, vcc
	;; [unrolled: 2-line block ×4, first 2 shown]
	v_cmp_class_f32_e64 vcc, v10, s2
	s_waitcnt lgkmcnt(0)
	s_cmp_eq_u64 s[0:1], 0
	v_cndmask_b32_e32 v7, 0, v10, vcc
	s_cbranch_scc1 .LBB105_31
; %bb.4:
	v_lshlrev_b32_e32 v16, 2, v28
	global_load_dwordx4 v[8:11], v16, s[0:1]
	global_load_dwordx4 v[12:15], v16, s[0:1] offset:16
	s_waitcnt vmcnt(1)
	v_pk_add_f32 v[8:9], v[8:9], v[0:1]
	v_pk_add_f32 v[10:11], v[10:11], v[2:3]
	s_waitcnt vmcnt(0)
	v_pk_add_f32 v[12:13], v[12:13], v[4:5]
	v_pk_add_f32 v[14:15], v[14:15], v[6:7]
	s_cbranch_execnz .LBB105_6
.LBB105_5:
	v_pk_mov_b32 v[14:15], v[6:7], v[6:7] op_sel:[0,1]
	v_pk_mov_b32 v[12:13], v[4:5], v[4:5] op_sel:[0,1]
	;; [unrolled: 1-line block ×4, first 2 shown]
.LBB105_6:
	s_load_dwordx4 s[8:11], s[4:5], 0x30
	s_mov_b32 s25, 0
	v_cmp_eq_u32_e64 s[0:1], 0, v21
	s_waitcnt lgkmcnt(0)
	s_bitcmp1_b32 s11, 0
	s_cselect_b64 vcc, -1, 0
	s_cmp_gt_i32 s8, 0
	s_cselect_b64 s[20:21], -1, 0
	s_cmp_lt_i32 s8, 1
	s_cbranch_scc1 .LBB105_32
; %bb.7:
	s_load_dwordx4 s[12:15], s[4:5], 0x20
	v_mul_lo_u32 v30, v17, s8
	v_mov_b32_e32 v29, 0
	v_mov_b32_e32 v31, 0x200
	v_mov_b32_e32 v32, 0xc61c4000
	v_mov_b32_e32 v33, v17
	s_branch .LBB105_10
.LBB105_8:                              ;   in Loop: Header=BB105_10 Depth=1
	s_or_b64 exec, exec, s[4:5]
.LBB105_9:                              ;   in Loop: Header=BB105_10 Depth=1
	s_cmp_eq_u32 s8, s25
	v_add_u32_e32 v33, s24, v33
	s_cbranch_scc1 .LBB105_33
.LBB105_10:                             ; =>This Inner Loop Header: Depth=1
	v_cmp_gt_f32_e64 s[2:3], v9, v8
	v_cndmask_b32_e64 v16, v8, v9, s[2:3]
	v_cndmask_b32_e64 v18, v0, v1, s[2:3]
	s_waitcnt lgkmcnt(0)
	v_cndmask_b32_e64 v19, 0, 1, s[2:3]
	v_cmp_gt_f32_e64 s[2:3], v10, v16
	v_cndmask_b32_e64 v16, v16, v10, s[2:3]
	v_cndmask_b32_e64 v18, v18, v2, s[2:3]
	v_cndmask_b32_e64 v19, v19, 2, s[2:3]
	v_cmp_gt_f32_e64 s[2:3], v11, v16
	v_cndmask_b32_e64 v16, v16, v11, s[2:3]
	v_cndmask_b32_e64 v18, v18, v3, s[2:3]
	;; [unrolled: 4-line block ×6, first 2 shown]
	v_or_b32_e32 v19, v28, v19
	ds_bpermute_b32 v20, v22, v16
	ds_bpermute_b32 v34, v22, v19
	v_cndmask_b32_e64 v18, v18, v7, s[2:3]
	ds_bpermute_b32 v36, v22, v18
	s_waitcnt lgkmcnt(0)
	v_cmp_eq_f32_e64 s[4:5], v16, v20
	v_cmp_lt_i32_e64 s[6:7], v34, v19
	v_cmp_lt_f32_e64 s[2:3], v16, v20
	s_and_b64 s[4:5], s[4:5], s[6:7]
	s_or_b64 s[2:3], s[2:3], s[4:5]
	v_cndmask_b32_e64 v35, v19, v34, s[2:3]
	v_cndmask_b32_e64 v34, v16, v20, s[2:3]
	;; [unrolled: 1-line block ×3, first 2 shown]
	ds_bpermute_b32 v37, v23, v34
	ds_bpermute_b32 v20, v23, v16
	;; [unrolled: 1-line block ×3, first 2 shown]
                                        ; implicit-def: $vgpr18_vgpr19
	s_waitcnt lgkmcnt(2)
	v_cmp_lt_f32_e64 s[6:7], v34, v37
	v_cmp_nlt_f32_e64 s[2:3], v34, v37
	s_and_saveexec_b64 s[22:23], s[2:3]
	s_cbranch_execz .LBB105_12
; %bb.11:                               ;   in Loop: Header=BB105_10 Depth=1
	v_cmp_eq_f32_e64 s[2:3], v34, v37
	s_waitcnt lgkmcnt(0)
	v_cmp_lt_i32_e64 s[4:5], v36, v35
	s_and_b64 s[2:3], s[2:3], s[4:5]
	s_andn2_b64 s[4:5], s[6:7], exec
	s_and_b64 s[2:3], s[2:3], exec
	s_or_b64 s[6:7], s[4:5], s[2:3]
	v_pk_mov_b32 v[18:19], v[16:17], v[16:17] op_sel:[0,1]
.LBB105_12:                             ;   in Loop: Header=BB105_10 Depth=1
	s_or_b64 exec, exec, s[22:23]
	s_and_saveexec_b64 s[2:3], s[6:7]
	s_cbranch_execz .LBB105_14
; %bb.13:                               ;   in Loop: Header=BB105_10 Depth=1
	v_mov_b32_e32 v34, v37
	s_waitcnt lgkmcnt(1)
	v_mov_b32_e32 v16, v20
	s_waitcnt lgkmcnt(0)
	v_mov_b32_e32 v35, v36
	v_pk_mov_b32 v[18:19], v[20:21], v[20:21] op_sel:[0,1]
.LBB105_14:                             ;   in Loop: Header=BB105_10 Depth=1
	s_or_b64 exec, exec, s[2:3]
	s_waitcnt lgkmcnt(0)
	ds_bpermute_b32 v36, v24, v34
	ds_bpermute_b32 v20, v24, v16
	;; [unrolled: 1-line block ×3, first 2 shown]
	s_waitcnt lgkmcnt(2)
	v_cmp_lt_f32_e64 s[6:7], v34, v36
	v_cmp_nlt_f32_e64 s[2:3], v34, v36
	s_and_saveexec_b64 s[22:23], s[2:3]
	s_cbranch_execz .LBB105_16
; %bb.15:                               ;   in Loop: Header=BB105_10 Depth=1
	v_cmp_eq_f32_e64 s[2:3], v34, v36
	s_waitcnt lgkmcnt(0)
	v_cmp_lt_i32_e64 s[4:5], v19, v35
	s_and_b64 s[2:3], s[2:3], s[4:5]
	s_andn2_b64 s[4:5], s[6:7], exec
	s_and_b64 s[2:3], s[2:3], exec
	s_or_b64 s[6:7], s[4:5], s[2:3]
.LBB105_16:                             ;   in Loop: Header=BB105_10 Depth=1
	s_or_b64 exec, exec, s[22:23]
	s_and_saveexec_b64 s[2:3], s[6:7]
	s_cbranch_execz .LBB105_18
; %bb.17:                               ;   in Loop: Header=BB105_10 Depth=1
	v_mov_b32_e32 v34, v36
	s_waitcnt lgkmcnt(1)
	v_mov_b32_e32 v16, v20
	s_waitcnt lgkmcnt(0)
	v_mov_b32_e32 v35, v19
	v_pk_mov_b32 v[18:19], v[20:21], v[20:21] op_sel:[0,1]
.LBB105_18:                             ;   in Loop: Header=BB105_10 Depth=1
	s_or_b64 exec, exec, s[2:3]
	ds_bpermute_b32 v36, v25, v34
	s_waitcnt lgkmcnt(2)
	ds_bpermute_b32 v20, v25, v16
	s_waitcnt lgkmcnt(2)
	;; [unrolled: 2-line block ×3, first 2 shown]
	v_cmp_lt_f32_e64 s[6:7], v34, v36
	v_cmp_nlt_f32_e64 s[2:3], v34, v36
	s_and_saveexec_b64 s[22:23], s[2:3]
	s_cbranch_execz .LBB105_20
; %bb.19:                               ;   in Loop: Header=BB105_10 Depth=1
	v_cmp_eq_f32_e64 s[2:3], v34, v36
	s_waitcnt lgkmcnt(0)
	v_cmp_lt_i32_e64 s[4:5], v19, v35
	s_and_b64 s[2:3], s[2:3], s[4:5]
	s_andn2_b64 s[4:5], s[6:7], exec
	s_and_b64 s[2:3], s[2:3], exec
	s_or_b64 s[6:7], s[4:5], s[2:3]
.LBB105_20:                             ;   in Loop: Header=BB105_10 Depth=1
	s_or_b64 exec, exec, s[22:23]
	s_and_saveexec_b64 s[2:3], s[6:7]
	s_cbranch_execz .LBB105_22
; %bb.21:                               ;   in Loop: Header=BB105_10 Depth=1
	v_mov_b32_e32 v34, v36
	s_waitcnt lgkmcnt(1)
	v_mov_b32_e32 v16, v20
	s_waitcnt lgkmcnt(0)
	v_mov_b32_e32 v35, v19
	v_pk_mov_b32 v[18:19], v[20:21], v[20:21] op_sel:[0,1]
.LBB105_22:                             ;   in Loop: Header=BB105_10 Depth=1
	s_or_b64 exec, exec, s[2:3]
	ds_bpermute_b32 v36, v26, v34
	s_waitcnt lgkmcnt(2)
	ds_bpermute_b32 v20, v26, v16
	s_waitcnt lgkmcnt(2)
	;; [unrolled: 2-line block ×3, first 2 shown]
	v_cmp_lt_f32_e64 s[6:7], v34, v36
	v_cmp_nlt_f32_e64 s[2:3], v34, v36
	s_and_saveexec_b64 s[22:23], s[2:3]
	s_cbranch_execz .LBB105_24
; %bb.23:                               ;   in Loop: Header=BB105_10 Depth=1
	v_cmp_eq_f32_e64 s[2:3], v34, v36
	s_waitcnt lgkmcnt(0)
	v_cmp_lt_i32_e64 s[4:5], v19, v35
	s_and_b64 s[2:3], s[2:3], s[4:5]
	s_andn2_b64 s[4:5], s[6:7], exec
	s_and_b64 s[2:3], s[2:3], exec
	s_or_b64 s[6:7], s[4:5], s[2:3]
.LBB105_24:                             ;   in Loop: Header=BB105_10 Depth=1
	s_or_b64 exec, exec, s[22:23]
	s_and_saveexec_b64 s[2:3], s[6:7]
	s_cbranch_execz .LBB105_26
; %bb.25:                               ;   in Loop: Header=BB105_10 Depth=1
	v_mov_b32_e32 v34, v36
	s_waitcnt lgkmcnt(1)
	v_mov_b32_e32 v16, v20
	s_waitcnt lgkmcnt(0)
	v_mov_b32_e32 v35, v19
	v_pk_mov_b32 v[18:19], v[20:21], v[20:21] op_sel:[0,1]
.LBB105_26:                             ;   in Loop: Header=BB105_10 Depth=1
	s_or_b64 exec, exec, s[2:3]
	s_waitcnt lgkmcnt(1)
	ds_bpermute_b32 v20, v27, v34
	ds_bpermute_b32 v36, v27, v35
	s_waitcnt lgkmcnt(2)
	ds_bpermute_b32 v19, v27, v16
	s_waitcnt lgkmcnt(2)
	v_cmp_eq_f32_e64 s[4:5], v34, v20
	s_waitcnt lgkmcnt(1)
	v_cmp_lt_i32_e64 s[6:7], v36, v35
	v_cmp_lt_f32_e64 s[2:3], v34, v20
	s_and_b64 s[4:5], s[4:5], s[6:7]
	s_or_b64 s[2:3], s[2:3], s[4:5]
	v_cndmask_b32_e64 v16, v35, v36, s[2:3]
	s_and_saveexec_b64 s[6:7], s[0:1]
	s_cbranch_execnz .LBB105_28
; %bb.27:                               ;   in Loop: Header=BB105_10 Depth=1
	s_or_b64 exec, exec, s[6:7]
	s_add_i32 s25, s25, 1
	s_cmp_ge_i32 s25, s8
	s_cbranch_scc1 .LBB105_9
	s_branch .LBB105_29
.LBB105_28:                             ;   in Loop: Header=BB105_10 Depth=1
	s_waitcnt lgkmcnt(0)
	v_cndmask_b32_e64 v20, v18, v19, s[2:3]
	v_add_u32_e32 v18, s25, v30
	v_ashrrev_i32_e32 v19, 31, v18
	v_cmp_le_i32_e64 s[2:3], s9, v16
	v_cmp_gt_i32_e64 s[4:5], s10, v16
	v_lshlrev_b64 v[18:19], 2, v[18:19]
	s_and_b64 s[4:5], s[2:3], s[4:5]
	v_mov_b32_e32 v35, s17
	v_add_co_u32_e64 v34, s[2:3], s16, v18
	v_addc_co_u32_e64 v35, s[2:3], v35, v19, s[2:3]
	global_store_dword v[34:35], v20, off
	v_subrev_u32_e32 v34, s9, v16
	s_and_b64 s[2:3], s[18:19], s[4:5]
	v_cndmask_b32_e64 v36, v31, v34, s[2:3]
	v_mov_b32_e32 v35, s13
	v_add_co_u32_e64 v34, s[2:3], s12, v18
	v_addc_co_u32_e64 v35, s[2:3], v35, v19, s[2:3]
	global_store_dword v[34:35], v36, off
	v_mov_b32_e32 v34, s15
	v_add_co_u32_e64 v18, s[2:3], s14, v18
	v_addc_co_u32_e64 v19, s[2:3], v34, v19, s[2:3]
	global_store_dword v[18:19], v33, off
	v_add_f32_e32 v18, v29, v20
	v_cndmask_b32_e32 v29, v29, v18, vcc
	s_or_b64 exec, exec, s[6:7]
	s_add_i32 s25, s25, 1
	s_cmp_ge_i32 s25, s8
	s_cbranch_scc1 .LBB105_9
.LBB105_29:                             ;   in Loop: Header=BB105_10 Depth=1
	s_waitcnt lgkmcnt(0)
	v_ashrrev_i32_e32 v19, 31, v16
	v_lshrrev_b32_e32 v18, 29, v19
	v_add_u32_e32 v20, v16, v18
	v_ashrrev_i32_e32 v18, 3, v20
	v_ashrrev_i32_e32 v20, 31, v20
	v_lshrrev_b32_e32 v20, 26, v20
	v_add_u32_e32 v20, v18, v20
	v_and_b32_e32 v20, 0xffffffc0, v20
	v_sub_u32_e32 v20, v18, v20
	v_cmp_eq_u32_e64 s[2:3], v21, v20
	s_and_saveexec_b64 s[4:5], s[2:3]
	s_cbranch_execz .LBB105_8
; %bb.30:                               ;   in Loop: Header=BB105_10 Depth=1
	v_lshrrev_b32_e32 v19, 23, v19
	v_add_u32_e32 v19, v16, v19
	v_lshlrev_b32_e32 v18, 3, v18
	v_ashrrev_i32_e32 v19, 9, v19
	v_sub_u32_e32 v16, v16, v18
	v_lshl_add_u32 v16, v19, 3, v16
	v_cmp_ne_u32_e64 s[2:3], 7, v16
	v_cndmask_b32_e64 v15, v32, v15, s[2:3]
	v_cmp_ne_u32_e64 s[2:3], 6, v16
	v_cndmask_b32_e64 v14, v32, v14, s[2:3]
	;; [unrolled: 2-line block ×8, first 2 shown]
	s_branch .LBB105_8
.LBB105_31:
                                        ; implicit-def: $vgpr8_vgpr9_vgpr10_vgpr11_vgpr12_vgpr13_vgpr14_vgpr15
	s_andn2_b64 vcc, exec, s[6:7]
	s_cbranch_vccz .LBB105_5
	s_branch .LBB105_6
.LBB105_32:
	v_mov_b32_e32 v29, 0
.LBB105_33:
	v_cmp_eq_u32_e64 s[0:1], 0, v21
	s_and_b64 s[0:1], s[0:1], vcc
	s_and_b64 exec, exec, s[0:1]
	s_cbranch_execz .LBB105_42
; %bb.34:
	s_andn2_b64 vcc, exec, s[20:21]
	s_cbranch_vccnz .LBB105_42
; %bb.35:
	v_cmp_lt_f32_e32 vcc, 0, v29
	s_mov_b32 s2, 0
	v_cndmask_b32_e32 v0, 1.0, v29, vcc
	v_mul_lo_u32 v4, v17, s8
	s_cmp_eq_u32 s8, 1
	s_mov_b64 s[0:1], -1
	s_cbranch_scc1 .LBB105_39
; %bb.36:
	s_and_b32 s2, s8, 0x7ffffffe
	v_mov_b32_e32 v1, v0
	v_mov_b32_e32 v5, s17
	s_mov_b32 s3, s2
	v_mov_b32_e32 v2, v4
.LBB105_37:                             ; =>This Inner Loop Header: Depth=1
	v_ashrrev_i32_e32 v3, 31, v2
	v_lshlrev_b64 v[6:7], 2, v[2:3]
	v_add_co_u32_e32 v6, vcc, s16, v6
	v_addc_co_u32_e32 v7, vcc, v5, v7, vcc
	global_load_dwordx2 v[8:9], v[6:7], off
	s_add_i32 s3, s3, -2
	s_cmp_lg_u32 s3, 0
	v_add_u32_e32 v2, 2, v2
	s_waitcnt vmcnt(0)
	v_div_scale_f32 v3, s[0:1], v1, v1, v9
	v_div_scale_f32 v11, s[0:1], v0, v0, v8
	v_rcp_f32_e32 v12, v3
	v_rcp_f32_e32 v13, v11
	v_div_scale_f32 v10, vcc, v9, v1, v9
	v_fma_f32 v15, -v3, v12, 1.0
	v_fma_f32 v16, -v11, v13, 1.0
	v_fmac_f32_e32 v12, v15, v12
	v_div_scale_f32 v14, s[0:1], v8, v0, v8
	v_fmac_f32_e32 v13, v16, v13
	v_mul_f32_e32 v15, v10, v12
	v_mul_f32_e32 v16, v14, v13
	v_fma_f32 v17, -v3, v15, v10
	v_fma_f32 v18, -v11, v16, v14
	v_fmac_f32_e32 v15, v17, v12
	v_fmac_f32_e32 v16, v18, v13
	v_fma_f32 v3, -v3, v15, v10
	v_fma_f32 v10, -v11, v16, v14
	v_div_fmas_f32 v3, v3, v12, v15
	s_mov_b64 vcc, s[0:1]
	v_div_fixup_f32 v9, v3, v1, v9
	v_div_fmas_f32 v3, v10, v13, v16
	v_div_fixup_f32 v8, v3, v0, v8
	global_store_dwordx2 v[6:7], v[8:9], off
	s_cbranch_scc1 .LBB105_37
; %bb.38:
	s_cmp_lg_u32 s2, s8
	s_cselect_b64 s[0:1], -1, 0
.LBB105_39:
	s_and_b64 vcc, exec, s[0:1]
	s_cbranch_vccz .LBB105_42
; %bb.40:
	v_ashrrev_i32_e32 v1, 31, v4
	v_add_co_u32_e32 v2, vcc, s2, v4
	v_addc_co_u32_e32 v3, vcc, 0, v1, vcc
	v_lshlrev_b64 v[2:3], 2, v[2:3]
	v_mov_b32_e32 v1, s17
	v_add_co_u32_e32 v2, vcc, s16, v2
	s_sub_i32 s0, s8, s2
	v_addc_co_u32_e32 v3, vcc, v1, v3, vcc
.LBB105_41:                             ; =>This Inner Loop Header: Depth=1
	global_load_dword v1, v[2:3], off
	s_add_i32 s0, s0, -1
	s_cmp_lg_u32 s0, 0
	s_waitcnt vmcnt(0)
	v_div_scale_f32 v4, s[2:3], v0, v0, v1
	v_rcp_f32_e32 v5, v4
	v_div_scale_f32 v6, vcc, v1, v0, v1
	v_fma_f32 v7, -v4, v5, 1.0
	v_fmac_f32_e32 v5, v7, v5
	v_mul_f32_e32 v7, v6, v5
	v_fma_f32 v8, -v4, v7, v6
	v_fmac_f32_e32 v7, v8, v5
	v_fma_f32 v4, -v4, v7, v6
	v_div_fmas_f32 v4, v4, v5, v7
	v_div_fixup_f32 v1, v4, v0, v1
	global_store_dword v[2:3], v1, off
	v_add_co_u32_e32 v2, vcc, 4, v2
	v_addc_co_u32_e32 v3, vcc, 0, v3, vcc
	s_cbranch_scc1 .LBB105_41
.LBB105_42:
	s_endpgm
	.section	.rodata,"a",@progbits
	.p2align	6, 0x0
	.amdhsa_kernel _ZN4vllm3moe10topkGatingILi8ELi512ELi4ELi16ELi64Ej6__halfLNS0_11ScoringFuncE0EEEvPKT5_PKbPfiPT4_PiiiibPKf
		.amdhsa_group_segment_fixed_size 0
		.amdhsa_private_segment_fixed_size 0
		.amdhsa_kernarg_size 72
		.amdhsa_user_sgpr_count 6
		.amdhsa_user_sgpr_private_segment_buffer 1
		.amdhsa_user_sgpr_dispatch_ptr 0
		.amdhsa_user_sgpr_queue_ptr 0
		.amdhsa_user_sgpr_kernarg_segment_ptr 1
		.amdhsa_user_sgpr_dispatch_id 0
		.amdhsa_user_sgpr_flat_scratch_init 0
		.amdhsa_user_sgpr_kernarg_preload_length 0
		.amdhsa_user_sgpr_kernarg_preload_offset 0
		.amdhsa_user_sgpr_private_segment_size 0
		.amdhsa_uses_dynamic_stack 0
		.amdhsa_system_sgpr_private_segment_wavefront_offset 0
		.amdhsa_system_sgpr_workgroup_id_x 1
		.amdhsa_system_sgpr_workgroup_id_y 0
		.amdhsa_system_sgpr_workgroup_id_z 0
		.amdhsa_system_sgpr_workgroup_info 0
		.amdhsa_system_vgpr_workitem_id 1
		.amdhsa_next_free_vgpr 38
		.amdhsa_next_free_sgpr 26
		.amdhsa_accum_offset 40
		.amdhsa_reserve_vcc 1
		.amdhsa_reserve_flat_scratch 0
		.amdhsa_float_round_mode_32 0
		.amdhsa_float_round_mode_16_64 0
		.amdhsa_float_denorm_mode_32 3
		.amdhsa_float_denorm_mode_16_64 3
		.amdhsa_dx10_clamp 1
		.amdhsa_ieee_mode 1
		.amdhsa_fp16_overflow 0
		.amdhsa_tg_split 0
		.amdhsa_exception_fp_ieee_invalid_op 0
		.amdhsa_exception_fp_denorm_src 0
		.amdhsa_exception_fp_ieee_div_zero 0
		.amdhsa_exception_fp_ieee_overflow 0
		.amdhsa_exception_fp_ieee_underflow 0
		.amdhsa_exception_fp_ieee_inexact 0
		.amdhsa_exception_int_div_zero 0
	.end_amdhsa_kernel
	.section	.text._ZN4vllm3moe10topkGatingILi8ELi512ELi4ELi16ELi64Ej6__halfLNS0_11ScoringFuncE0EEEvPKT5_PKbPfiPT4_PiiiibPKf,"axG",@progbits,_ZN4vllm3moe10topkGatingILi8ELi512ELi4ELi16ELi64Ej6__halfLNS0_11ScoringFuncE0EEEvPKT5_PKbPfiPT4_PiiiibPKf,comdat
.Lfunc_end105:
	.size	_ZN4vllm3moe10topkGatingILi8ELi512ELi4ELi16ELi64Ej6__halfLNS0_11ScoringFuncE0EEEvPKT5_PKbPfiPT4_PiiiibPKf, .Lfunc_end105-_ZN4vllm3moe10topkGatingILi8ELi512ELi4ELi16ELi64Ej6__halfLNS0_11ScoringFuncE0EEEvPKT5_PKbPfiPT4_PiiiibPKf
                                        ; -- End function
	.section	.AMDGPU.csdata,"",@progbits
; Kernel info:
; codeLenInByte = 3524
; NumSgprs: 30
; NumVgprs: 38
; NumAgprs: 0
; TotalNumVgprs: 38
; ScratchSize: 0
; MemoryBound: 0
; FloatMode: 240
; IeeeMode: 1
; LDSByteSize: 0 bytes/workgroup (compile time only)
; SGPRBlocks: 3
; VGPRBlocks: 4
; NumSGPRsForWavesPerEU: 30
; NumVGPRsForWavesPerEU: 38
; AccumOffset: 40
; Occupancy: 8
; WaveLimiterHint : 0
; COMPUTE_PGM_RSRC2:SCRATCH_EN: 0
; COMPUTE_PGM_RSRC2:USER_SGPR: 6
; COMPUTE_PGM_RSRC2:TRAP_HANDLER: 0
; COMPUTE_PGM_RSRC2:TGID_X_EN: 1
; COMPUTE_PGM_RSRC2:TGID_Y_EN: 0
; COMPUTE_PGM_RSRC2:TGID_Z_EN: 0
; COMPUTE_PGM_RSRC2:TIDIG_COMP_CNT: 1
; COMPUTE_PGM_RSRC3_GFX90A:ACCUM_OFFSET: 9
; COMPUTE_PGM_RSRC3_GFX90A:TG_SPLIT: 0
	.section	.text._ZN4vllm3moe10topkGatingILi16ELi512ELi4ELi16ELi32Ej6__halfLNS0_11ScoringFuncE0EEEvPKT5_PKbPfiPT4_PiiiibPKf,"axG",@progbits,_ZN4vllm3moe10topkGatingILi16ELi512ELi4ELi16ELi32Ej6__halfLNS0_11ScoringFuncE0EEEvPKT5_PKbPfiPT4_PiiiibPKf,comdat
	.protected	_ZN4vllm3moe10topkGatingILi16ELi512ELi4ELi16ELi32Ej6__halfLNS0_11ScoringFuncE0EEEvPKT5_PKbPfiPT4_PiiiibPKf ; -- Begin function _ZN4vllm3moe10topkGatingILi16ELi512ELi4ELi16ELi32Ej6__halfLNS0_11ScoringFuncE0EEEvPKT5_PKbPfiPT4_PiiiibPKf
	.globl	_ZN4vllm3moe10topkGatingILi16ELi512ELi4ELi16ELi32Ej6__halfLNS0_11ScoringFuncE0EEEvPKT5_PKbPfiPT4_PiiiibPKf
	.p2align	8
	.type	_ZN4vllm3moe10topkGatingILi16ELi512ELi4ELi16ELi32Ej6__halfLNS0_11ScoringFuncE0EEEvPKT5_PKbPfiPT4_PiiiibPKf,@function
_ZN4vllm3moe10topkGatingILi16ELi512ELi4ELi16ELi32Ej6__halfLNS0_11ScoringFuncE0EEEvPKT5_PKbPfiPT4_PiiiibPKf: ; @_ZN4vllm3moe10topkGatingILi16ELi512ELi4ELi16ELi32Ej6__halfLNS0_11ScoringFuncE0EEEvPKT5_PKbPfiPT4_PiiiibPKf
; %bb.0:
	s_load_dword s24, s[4:5], 0x18
	v_and_b32_e32 v1, 0x3ff, v0
	s_lshl_b32 s0, s6, 2
	v_lshrrev_b32_e32 v2, 5, v1
	v_bfe_u32 v0, v0, 10, 10
	v_add3_u32 v33, s0, v0, v2
	s_waitcnt lgkmcnt(0)
	v_cmp_gt_i32_e32 vcc, s24, v33
	s_and_saveexec_b64 s[0:1], vcc
	s_cbranch_execz .LBB106_38
; %bb.1:
	s_load_dwordx4 s[0:3], s[4:5], 0x0
	s_load_dwordx2 s[16:17], s[4:5], 0x10
	s_mov_b64 s[6:7], -1
	s_mov_b64 s[18:19], -1
	s_waitcnt lgkmcnt(0)
	s_cmp_eq_u64 s[2:3], 0
	s_cbranch_scc1 .LBB106_3
; %bb.2:
	v_ashrrev_i32_e32 v0, 31, v33
	v_mov_b32_e32 v3, s3
	v_add_co_u32_e32 v2, vcc, s2, v33
	v_addc_co_u32_e32 v3, vcc, v3, v0, vcc
	global_load_ubyte v0, v[2:3], off
	s_waitcnt vmcnt(0)
	v_and_b32_e32 v0, 1, v0
	v_cmp_eq_u32_e32 vcc, 1, v0
	s_xor_b64 s[2:3], vcc, -1
	s_orn2_b64 s[18:19], s[2:3], exec
.LBB106_3:
	v_lshlrev_b32_e32 v2, 9, v33
	v_ashrrev_i32_e32 v3, 31, v2
	v_lshlrev_b64 v[2:3], 1, v[2:3]
	v_mov_b32_e32 v0, s1
	v_add_co_u32_e32 v2, vcc, s0, v2
	v_and_b32_e32 v37, 31, v1
	v_addc_co_u32_e32 v0, vcc, v0, v3, vcc
	v_lshlrev_b32_e32 v1, 4, v37
	v_add_co_u32_e32 v8, vcc, v2, v1
	v_addc_co_u32_e32 v9, vcc, 0, v0, vcc
	global_load_dwordx4 v[0:3], v[8:9], off
	global_load_dwordx4 v[4:7], v[8:9], off offset:512
	v_mbcnt_lo_u32_b32 v8, -1, 0
	v_mbcnt_hi_u32_b32 v14, -1, v8
	v_and_b32_e32 v8, 0x60, v14
	v_xor_b32_e32 v9, 16, v14
	v_add_u32_e32 v15, 32, v8
	v_cmp_lt_i32_e32 vcc, v9, v15
	v_cndmask_b32_e32 v8, v14, v9, vcc
	v_lshlrev_b32_e32 v38, 2, v8
	s_mov_b32 s2, 0x3fb8aa3b
	s_mov_b32 s0, 0xc2ce8ed0
	;; [unrolled: 1-line block ×3, first 2 shown]
	v_lshlrev_b32_e32 v43, 3, v37
	s_waitcnt vmcnt(1)
	v_cvt_f32_f16_e32 v16, v0
	v_cvt_f32_f16_sdwa v17, v0 dst_sel:DWORD dst_unused:UNUSED_PAD src0_sel:WORD_1
	v_cvt_f32_f16_e32 v18, v1
	v_cvt_f32_f16_sdwa v8, v1 dst_sel:DWORD dst_unused:UNUSED_PAD src0_sel:WORD_1
	;; [unrolled: 2-line block ×4, first 2 shown]
	s_waitcnt vmcnt(0)
	v_cvt_f32_f16_sdwa v19, v4 dst_sel:DWORD dst_unused:UNUSED_PAD src0_sel:WORD_1
	v_cvt_f32_f16_e32 v13, v4
	v_max_f32_e32 v4, v16, v17
	v_cvt_f32_f16_e32 v20, v5
	v_cvt_f32_f16_sdwa v5, v5 dst_sel:DWORD dst_unused:UNUSED_PAD src0_sel:WORD_1
	v_max3_f32 v4, v4, v18, v8
	v_cvt_f32_f16_e32 v2, v6
	v_cvt_f32_f16_sdwa v3, v6 dst_sel:DWORD dst_unused:UNUSED_PAD src0_sel:WORD_1
	v_max3_f32 v4, v4, v9, v10
	;; [unrolled: 3-line block ×3, first 2 shown]
	v_max3_f32 v4, v4, v13, v19
	v_max3_f32 v4, v4, v20, v5
	v_max3_f32 v4, v4, v2, v3
	v_max3_f32 v4, v4, v0, v1
	ds_bpermute_b32 v6, v38, v4
	v_xor_b32_e32 v7, 8, v14
	v_cmp_lt_i32_e32 vcc, v7, v15
	v_cndmask_b32_e32 v7, v14, v7, vcc
	v_lshlrev_b32_e32 v39, 2, v7
	s_waitcnt lgkmcnt(0)
	v_max_f32_e32 v6, v6, v6
	v_max_f32_e32 v4, v4, v6
	ds_bpermute_b32 v6, v39, v4
	v_xor_b32_e32 v7, 4, v14
	v_cmp_lt_i32_e32 vcc, v7, v15
	v_cndmask_b32_e32 v7, v14, v7, vcc
	v_lshlrev_b32_e32 v40, 2, v7
	s_waitcnt lgkmcnt(0)
	v_max_f32_e32 v6, v6, v6
	v_max_f32_e32 v4, v4, v6
	;; [unrolled: 8-line block ×4, first 2 shown]
	ds_bpermute_b32 v6, v42, v4
	v_mov_b32_e32 v14, 0x7f800000
	s_waitcnt lgkmcnt(0)
	v_max_f32_e32 v6, v6, v6
	v_max_f32_e32 v4, v4, v6
	v_sub_f32_e32 v15, v16, v4
	v_sub_f32_e32 v16, v17, v4
	v_pk_add_f32 v[6:7], v[8:9], v[4:5] op_sel_hi:[1,0] neg_lo:[0,1] neg_hi:[0,1]
	v_mul_f32_e32 v8, 0x3fb8aa3b, v15
	v_sub_f32_e32 v17, v18, v4
	v_mul_f32_e32 v9, 0x3fb8aa3b, v16
	v_fma_f32 v23, v15, s2, -v8
	v_rndne_f32_e32 v24, v8
	v_mul_f32_e32 v18, 0x3fb8aa3b, v17
	v_fma_f32 v25, v16, s2, -v9
	v_rndne_f32_e32 v26, v9
	v_fmac_f32_e32 v23, 0x32a5705f, v15
	v_sub_f32_e32 v8, v8, v24
	v_fma_f32 v27, v17, s2, -v18
	v_rndne_f32_e32 v28, v18
	v_fmac_f32_e32 v25, 0x32a5705f, v16
	v_sub_f32_e32 v9, v9, v26
	v_add_f32_e32 v8, v8, v23
	v_cvt_i32_f32_e32 v24, v24
	v_fmac_f32_e32 v27, 0x32a5705f, v17
	v_sub_f32_e32 v18, v18, v28
	v_add_f32_e32 v9, v9, v25
	v_exp_f32_e32 v8, v8
	v_cvt_i32_f32_e32 v26, v26
	v_add_f32_e32 v18, v18, v27
	v_exp_f32_e32 v9, v9
	v_mul_f32_e32 v21, 0x3fb8aa3b, v7
	v_cvt_i32_f32_e32 v28, v28
	v_exp_f32_e32 v18, v18
	v_fma_f32 v29, v7, s2, -v21
	v_rndne_f32_e32 v30, v21
	v_mul_f32_e32 v22, 0x3fb8aa3b, v6
	v_fmac_f32_e32 v29, 0x32a5705f, v7
	v_sub_f32_e32 v21, v21, v30
	v_ldexp_f32 v8, v8, v24
	v_cmp_ngt_f32_e32 vcc, s0, v15
	v_fma_f32 v31, v6, s2, -v22
	v_rndne_f32_e32 v32, v22
	v_add_f32_e32 v21, v21, v29
	v_ldexp_f32 v9, v9, v26
	v_cndmask_b32_e32 v8, 0, v8, vcc
	v_cmp_ngt_f32_e32 vcc, s0, v16
	v_cvt_i32_f32_e32 v30, v30
	v_fmac_f32_e32 v31, 0x32a5705f, v6
	v_sub_f32_e32 v22, v22, v32
	v_exp_f32_e32 v21, v21
	v_ldexp_f32 v18, v18, v28
	v_cndmask_b32_e32 v9, 0, v9, vcc
	v_cmp_ngt_f32_e32 vcc, s0, v17
	v_add_f32_e32 v22, v22, v31
	v_cndmask_b32_e32 v18, 0, v18, vcc
	v_cmp_nlt_f32_e32 vcc, s1, v15
	v_cvt_i32_f32_e32 v32, v32
	v_exp_f32_e32 v22, v22
	v_cndmask_b32_e32 v15, v14, v8, vcc
	v_cmp_nlt_f32_e32 vcc, s1, v16
	v_cndmask_b32_e32 v16, v14, v9, vcc
	v_cmp_nlt_f32_e32 vcc, s1, v17
	v_ldexp_f32 v21, v21, v30
	v_cndmask_b32_e32 v17, v14, v18, vcc
	v_add_f32_e32 v8, v15, v16
	v_cmp_ngt_f32_e32 vcc, s0, v7
	v_add_f32_e32 v18, v8, v17
	v_cndmask_b32_e32 v8, 0, v21, vcc
	v_cmp_nlt_f32_e32 vcc, s1, v7
	v_cndmask_b32_e32 v7, v14, v8, vcc
	v_ldexp_f32 v8, v22, v32
	v_cmp_ngt_f32_e32 vcc, s0, v6
	v_cndmask_b32_e32 v21, 0, v8, vcc
	v_pk_add_f32 v[8:9], v[10:11], v[4:5] op_sel_hi:[1,0] neg_lo:[0,1] neg_hi:[0,1]
	v_mul_f32_e32 v10, 0x3fb8aa3b, v9
	v_fma_f32 v11, v9, s2, -v10
	v_rndne_f32_e32 v22, v10
	v_fmac_f32_e32 v11, 0x32a5705f, v9
	v_sub_f32_e32 v10, v10, v22
	v_add_f32_e32 v10, v10, v11
	v_exp_f32_e32 v10, v10
	v_cvt_i32_f32_e32 v11, v22
	v_cmp_nlt_f32_e32 vcc, s1, v6
	v_cndmask_b32_e32 v6, v14, v21, vcc
	v_cmp_ngt_f32_e32 vcc, s0, v9
	v_ldexp_f32 v10, v10, v11
	v_mul_f32_e32 v11, 0x3fb8aa3b, v8
	v_fma_f32 v21, v8, s2, -v11
	v_rndne_f32_e32 v22, v11
	v_fmac_f32_e32 v21, 0x32a5705f, v8
	v_sub_f32_e32 v11, v11, v22
	v_add_f32_e32 v11, v11, v21
	v_exp_f32_e32 v11, v11
	v_cvt_i32_f32_e32 v21, v22
	v_cndmask_b32_e32 v10, 0, v10, vcc
	v_cmp_nlt_f32_e32 vcc, s1, v9
	v_cndmask_b32_e32 v9, v14, v10, vcc
	v_ldexp_f32 v10, v11, v21
	v_cmp_ngt_f32_e32 vcc, s0, v8
	v_cndmask_b32_e32 v21, 0, v10, vcc
	v_pk_add_f32 v[10:11], v[12:13], v[4:5] op_sel_hi:[1,0] neg_lo:[0,1] neg_hi:[0,1]
	v_mul_f32_e32 v12, 0x3fb8aa3b, v11
	v_fma_f32 v13, v11, s2, -v12
	v_rndne_f32_e32 v22, v12
	v_fmac_f32_e32 v13, 0x32a5705f, v11
	v_sub_f32_e32 v12, v12, v22
	v_add_f32_e32 v12, v12, v13
	v_exp_f32_e32 v12, v12
	v_cvt_i32_f32_e32 v13, v22
	v_cmp_nlt_f32_e32 vcc, s1, v8
	v_cndmask_b32_e32 v8, v14, v21, vcc
	v_cmp_ngt_f32_e32 vcc, s0, v11
	v_ldexp_f32 v12, v12, v13
	v_mul_f32_e32 v13, 0x3fb8aa3b, v10
	v_fma_f32 v21, v10, s2, -v13
	v_rndne_f32_e32 v22, v13
	v_fmac_f32_e32 v21, 0x32a5705f, v10
	v_sub_f32_e32 v13, v13, v22
	v_add_f32_e32 v13, v13, v21
	v_exp_f32_e32 v13, v13
	v_cvt_i32_f32_e32 v21, v22
	v_cndmask_b32_e32 v12, 0, v12, vcc
	v_cmp_nlt_f32_e32 vcc, s1, v11
	v_cndmask_b32_e32 v11, v14, v12, vcc
	v_ldexp_f32 v12, v13, v21
	v_sub_f32_e32 v13, v19, v4
	v_mul_f32_e32 v19, 0x3fb8aa3b, v13
	v_fma_f32 v21, v13, s2, -v19
	v_rndne_f32_e32 v22, v19
	v_fmac_f32_e32 v21, 0x32a5705f, v13
	v_sub_f32_e32 v19, v19, v22
	v_add_f32_e32 v19, v19, v21
	v_add_f32_e32 v18, v18, v6
	v_exp_f32_e32 v19, v19
	v_cvt_i32_f32_e32 v21, v22
	v_add_f32_e32 v18, v18, v7
	v_cmp_ngt_f32_e32 vcc, s0, v10
	v_add_f32_e32 v18, v18, v8
	v_cndmask_b32_e32 v12, 0, v12, vcc
	v_cmp_nlt_f32_e32 vcc, s1, v10
	v_add_f32_e32 v18, v18, v9
	v_cndmask_b32_e32 v10, v14, v12, vcc
	v_add_f32_e32 v12, v18, v10
	v_ldexp_f32 v18, v19, v21
	v_sub_f32_e32 v19, v20, v4
	v_mul_f32_e32 v20, 0x3fb8aa3b, v19
	v_fma_f32 v21, v19, s2, -v20
	v_rndne_f32_e32 v22, v20
	v_fmac_f32_e32 v21, 0x32a5705f, v19
	v_sub_f32_e32 v20, v20, v22
	v_add_f32_e32 v20, v20, v21
	v_exp_f32_e32 v20, v20
	v_cvt_i32_f32_e32 v21, v22
	v_cmp_ngt_f32_e32 vcc, s0, v13
	v_cndmask_b32_e32 v18, 0, v18, vcc
	v_cmp_nlt_f32_e32 vcc, s1, v13
	v_sub_f32_e32 v5, v5, v4
	v_cndmask_b32_e32 v13, v14, v18, vcc
	v_ldexp_f32 v18, v20, v21
	v_mul_f32_e32 v20, 0x3fb8aa3b, v5
	v_fma_f32 v21, v5, s2, -v20
	v_rndne_f32_e32 v22, v20
	v_fmac_f32_e32 v21, 0x32a5705f, v5
	v_sub_f32_e32 v20, v20, v22
	v_add_f32_e32 v20, v20, v21
	v_exp_f32_e32 v20, v20
	v_cvt_i32_f32_e32 v21, v22
	v_cmp_ngt_f32_e32 vcc, s0, v19
	v_pk_add_f32 v[2:3], v[2:3], v[4:5] op_sel_hi:[1,0] neg_lo:[0,1] neg_hi:[0,1]
	v_cndmask_b32_e32 v18, 0, v18, vcc
	v_cmp_nlt_f32_e32 vcc, s1, v19
	v_ldexp_f32 v19, v20, v21
	v_mul_f32_e32 v20, 0x3fb8aa3b, v3
	v_fma_f32 v21, v3, s2, -v20
	v_rndne_f32_e32 v22, v20
	v_fmac_f32_e32 v21, 0x32a5705f, v3
	v_sub_f32_e32 v20, v20, v22
	v_add_f32_e32 v20, v20, v21
	v_exp_f32_e32 v20, v20
	v_cvt_i32_f32_e32 v21, v22
	v_cndmask_b32_e32 v18, v14, v18, vcc
	v_cmp_ngt_f32_e32 vcc, s0, v5
	v_cndmask_b32_e32 v19, 0, v19, vcc
	v_cmp_nlt_f32_e32 vcc, s1, v5
	v_cndmask_b32_e32 v5, v14, v19, vcc
	v_ldexp_f32 v19, v20, v21
	v_mul_f32_e32 v20, 0x3fb8aa3b, v2
	v_fma_f32 v21, v2, s2, -v20
	v_rndne_f32_e32 v22, v20
	v_fmac_f32_e32 v21, 0x32a5705f, v2
	v_sub_f32_e32 v20, v20, v22
	v_add_f32_e32 v20, v20, v21
	v_exp_f32_e32 v20, v20
	v_cvt_i32_f32_e32 v21, v22
	v_cmp_ngt_f32_e32 vcc, s0, v3
	v_pk_add_f32 v[0:1], v[0:1], v[4:5] op_sel_hi:[1,0] neg_lo:[0,1] neg_hi:[0,1]
	v_cndmask_b32_e32 v19, 0, v19, vcc
	v_cmp_nlt_f32_e32 vcc, s1, v3
	v_mul_f32_e32 v4, 0x3fb8aa3b, v1
	v_cndmask_b32_e32 v3, v14, v19, vcc
	v_ldexp_f32 v19, v20, v21
	v_fma_f32 v20, v1, s2, -v4
	v_rndne_f32_e32 v21, v4
	v_fmac_f32_e32 v20, 0x32a5705f, v1
	v_sub_f32_e32 v4, v4, v21
	v_add_f32_e32 v4, v4, v20
	v_exp_f32_e32 v4, v4
	v_cvt_i32_f32_e32 v20, v21
	v_cmp_ngt_f32_e32 vcc, s0, v2
	v_cndmask_b32_e32 v19, 0, v19, vcc
	v_cmp_nlt_f32_e32 vcc, s1, v2
	v_cndmask_b32_e32 v2, v14, v19, vcc
	v_mul_f32_e32 v19, 0x3fb8aa3b, v0
	v_ldexp_f32 v4, v4, v20
	v_fma_f32 v20, v0, s2, -v19
	v_rndne_f32_e32 v21, v19
	v_fmac_f32_e32 v20, 0x32a5705f, v0
	v_sub_f32_e32 v19, v19, v21
	v_add_f32_e32 v19, v19, v20
	v_exp_f32_e32 v19, v19
	v_cvt_i32_f32_e32 v20, v21
	v_add_f32_e32 v12, v12, v11
	v_add_f32_e32 v12, v12, v13
	v_cmp_ngt_f32_e32 vcc, s0, v1
	v_add_f32_e32 v12, v12, v18
	v_cndmask_b32_e32 v4, 0, v4, vcc
	v_cmp_nlt_f32_e32 vcc, s1, v1
	v_add_f32_e32 v12, v12, v5
	v_cndmask_b32_e32 v1, v14, v4, vcc
	v_ldexp_f32 v4, v19, v20
	v_cmp_ngt_f32_e32 vcc, s0, v0
	v_add_f32_e32 v12, v12, v2
	v_cndmask_b32_e32 v4, 0, v4, vcc
	v_cmp_nlt_f32_e32 vcc, s1, v0
	v_add_f32_e32 v12, v12, v3
	v_cndmask_b32_e32 v0, v14, v4, vcc
	v_add_f32_e32 v4, v12, v0
	v_add_f32_e32 v4, v4, v1
	ds_bpermute_b32 v12, v38, v4
	s_movk_i32 s2, 0x1f8
	s_waitcnt lgkmcnt(0)
	v_add_f32_e32 v4, v4, v12
	ds_bpermute_b32 v12, v39, v4
	s_waitcnt lgkmcnt(0)
	v_add_f32_e32 v4, v4, v12
	ds_bpermute_b32 v12, v40, v4
	;; [unrolled: 3-line block ×4, first 2 shown]
	s_waitcnt lgkmcnt(0)
	v_add_f32_e32 v4, v4, v12
	v_div_scale_f32 v12, s[0:1], v4, v4, 1.0
	v_rcp_f32_e32 v14, v12
	s_load_dwordx2 s[0:1], s[4:5], 0x40
	v_fma_f32 v19, -v12, v14, 1.0
	v_fmac_f32_e32 v14, v19, v14
	v_div_scale_f32 v19, vcc, 1.0, v4, 1.0
	v_mul_f32_e32 v20, v19, v14
	v_fma_f32 v21, -v12, v20, v19
	v_fmac_f32_e32 v20, v21, v14
	v_fma_f32 v12, -v12, v20, v19
	v_div_fmas_f32 v12, v12, v14, v20
	v_div_fixup_f32 v4, v12, v4, 1.0
	v_mul_f32_e32 v19, v4, v15
	v_mul_f32_e32 v16, v4, v16
	v_cmp_class_f32_e64 vcc, v19, s2
	v_mul_f32_e32 v17, v4, v17
	v_pk_mul_f32 v[14:15], v[4:5], v[0:1] op_sel_hi:[0,1]
	v_cndmask_b32_e32 v0, 0, v19, vcc
	v_cmp_class_f32_e64 vcc, v16, s2
	v_pk_mul_f32 v[6:7], v[4:5], v[6:7] op_sel_hi:[0,1]
	v_cndmask_b32_e32 v1, 0, v16, vcc
	v_cmp_class_f32_e64 vcc, v17, s2
	v_mov_b32_e32 v16, 0x207
	v_mul_f32_e32 v20, v4, v13
	v_pk_mul_f32 v[12:13], v[4:5], v[2:3] op_sel_hi:[0,1]
	v_cndmask_b32_e32 v2, 0, v17, vcc
	v_cmp_class_f32_e32 vcc, v7, v16
	v_pk_mul_f32 v[8:9], v[4:5], v[8:9] op_sel_hi:[0,1]
	v_pk_mul_f32 v[10:11], v[4:5], v[10:11] op_sel_hi:[0,1]
	v_mul_f32_e32 v18, v4, v18
	v_mul_f32_e32 v21, v4, v5
	v_cndmask_b32_e64 v4, v7, 0, vcc
	v_cmp_class_f32_e32 vcc, v6, v16
	v_cndmask_b32_e64 v3, v6, 0, vcc
	v_cmp_class_f32_e32 vcc, v9, v16
	;; [unrolled: 2-line block ×5, first 2 shown]
	v_cndmask_b32_e64 v7, v10, 0, vcc
	v_cmp_class_f32_e64 vcc, v20, s2
	v_cndmask_b32_e32 v9, 0, v20, vcc
	v_cmp_class_f32_e64 vcc, v18, s2
	v_cndmask_b32_e32 v10, 0, v18, vcc
	;; [unrolled: 2-line block ×3, first 2 shown]
	v_cmp_class_f32_e32 vcc, v13, v16
	v_cndmask_b32_e64 v13, v13, 0, vcc
	v_cmp_class_f32_e32 vcc, v12, v16
	v_cndmask_b32_e64 v12, v12, 0, vcc
	;; [unrolled: 2-line block ×3, first 2 shown]
	v_cmp_class_f32_e32 vcc, v14, v16
	s_waitcnt lgkmcnt(0)
	s_cmp_eq_u64 s[0:1], 0
	v_cndmask_b32_e64 v14, v14, 0, vcc
	s_cbranch_scc1 .LBB106_27
; %bb.4:
	v_lshlrev_b32_e32 v32, 2, v43
	global_load_dwordx4 v[16:19], v32, s[0:1]
	global_load_dwordx4 v[20:23], v32, s[0:1] offset:16
	global_load_dwordx4 v[24:27], v32, s[0:1] offset:1024
	;; [unrolled: 1-line block ×3, first 2 shown]
	s_waitcnt vmcnt(3)
	v_pk_add_f32 v[16:17], v[16:17], v[0:1]
	v_pk_add_f32 v[18:19], v[18:19], v[2:3]
	s_waitcnt vmcnt(2)
	v_pk_add_f32 v[20:21], v[20:21], v[4:5]
	v_pk_add_f32 v[22:23], v[22:23], v[6:7]
	;; [unrolled: 3-line block ×4, first 2 shown]
	s_cbranch_execnz .LBB106_6
.LBB106_5:
	v_pk_mov_b32 v[30:31], v[14:15], v[14:15] op_sel:[0,1]
	v_pk_mov_b32 v[28:29], v[12:13], v[12:13] op_sel:[0,1]
	;; [unrolled: 1-line block ×8, first 2 shown]
.LBB106_6:
	s_load_dwordx4 s[8:11], s[4:5], 0x30
	s_mov_b32 s25, 0
	v_cmp_eq_u32_e64 s[0:1], 0, v37
	s_waitcnt lgkmcnt(0)
	s_bitcmp1_b32 s11, 0
	s_cselect_b64 vcc, -1, 0
	s_cmp_gt_i32 s8, 0
	s_cselect_b64 s[20:21], -1, 0
	s_cmp_lt_i32 s8, 1
	s_cbranch_scc1 .LBB106_28
; %bb.7:
	s_load_dwordx4 s[12:15], s[4:5], 0x20
	v_mul_lo_u32 v45, v33, s8
	v_mov_b32_e32 v44, 0
	v_mov_b32_e32 v46, 0x100
	;; [unrolled: 1-line block ×3, first 2 shown]
	v_bfrev_b32_e32 v48, 4.0
	v_bfrev_b32_e32 v49, -4.0
	v_mov_b32_e32 v50, 0x104
	v_mov_b32_e32 v51, 0x105
	;; [unrolled: 1-line block ×7, first 2 shown]
	s_branch .LBB106_10
.LBB106_8:                              ;   in Loop: Header=BB106_10 Depth=1
	s_or_b64 exec, exec, s[4:5]
.LBB106_9:                              ;   in Loop: Header=BB106_10 Depth=1
	s_cmp_eq_u32 s8, s25
	v_add_u32_e32 v56, s24, v56
	s_cbranch_scc1 .LBB106_29
.LBB106_10:                             ; =>This Inner Loop Header: Depth=1
	v_cmp_gt_f32_e64 s[2:3], v17, v16
	v_cndmask_b32_e64 v32, v16, v17, s[2:3]
	v_cndmask_b32_e64 v34, v0, v1, s[2:3]
	s_waitcnt lgkmcnt(0)
	v_cndmask_b32_e64 v35, 0, 1, s[2:3]
	v_cmp_gt_f32_e64 s[2:3], v18, v32
	v_cndmask_b32_e64 v32, v32, v18, s[2:3]
	v_cndmask_b32_e64 v34, v34, v2, s[2:3]
	v_cndmask_b32_e64 v35, v35, 2, s[2:3]
	v_cmp_gt_f32_e64 s[2:3], v19, v32
	v_cndmask_b32_e64 v32, v32, v19, s[2:3]
	v_cndmask_b32_e64 v34, v34, v3, s[2:3]
	;; [unrolled: 4-line block ×14, first 2 shown]
	v_or_b32_e32 v35, v43, v35
	ds_bpermute_b32 v36, v38, v32
	ds_bpermute_b32 v57, v38, v35
	v_cndmask_b32_e64 v34, v34, v15, s[2:3]
	ds_bpermute_b32 v59, v38, v34
	s_waitcnt lgkmcnt(0)
	v_cmp_eq_f32_e64 s[4:5], v32, v36
	v_cmp_lt_i32_e64 s[6:7], v57, v35
	v_cmp_lt_f32_e64 s[2:3], v32, v36
	s_and_b64 s[4:5], s[4:5], s[6:7]
	s_or_b64 s[2:3], s[2:3], s[4:5]
	v_cndmask_b32_e64 v58, v35, v57, s[2:3]
	v_cndmask_b32_e64 v57, v32, v36, s[2:3]
	;; [unrolled: 1-line block ×3, first 2 shown]
	ds_bpermute_b32 v60, v39, v57
	ds_bpermute_b32 v36, v39, v32
	;; [unrolled: 1-line block ×3, first 2 shown]
                                        ; implicit-def: $vgpr34_vgpr35
	s_waitcnt lgkmcnt(2)
	v_cmp_lt_f32_e64 s[6:7], v57, v60
	v_cmp_nlt_f32_e64 s[2:3], v57, v60
	s_and_saveexec_b64 s[22:23], s[2:3]
	s_cbranch_execz .LBB106_12
; %bb.11:                               ;   in Loop: Header=BB106_10 Depth=1
	v_cmp_eq_f32_e64 s[2:3], v57, v60
	s_waitcnt lgkmcnt(0)
	v_cmp_lt_i32_e64 s[4:5], v59, v58
	s_and_b64 s[2:3], s[2:3], s[4:5]
	s_andn2_b64 s[4:5], s[6:7], exec
	s_and_b64 s[2:3], s[2:3], exec
	s_or_b64 s[6:7], s[4:5], s[2:3]
	v_pk_mov_b32 v[34:35], v[32:33], v[32:33] op_sel:[0,1]
.LBB106_12:                             ;   in Loop: Header=BB106_10 Depth=1
	s_or_b64 exec, exec, s[22:23]
	s_and_saveexec_b64 s[2:3], s[6:7]
	s_cbranch_execz .LBB106_14
; %bb.13:                               ;   in Loop: Header=BB106_10 Depth=1
	v_mov_b32_e32 v57, v60
	s_waitcnt lgkmcnt(1)
	v_mov_b32_e32 v32, v36
	s_waitcnt lgkmcnt(0)
	v_mov_b32_e32 v58, v59
	v_pk_mov_b32 v[34:35], v[36:37], v[36:37] op_sel:[0,1]
.LBB106_14:                             ;   in Loop: Header=BB106_10 Depth=1
	s_or_b64 exec, exec, s[2:3]
	s_waitcnt lgkmcnt(0)
	ds_bpermute_b32 v59, v40, v57
	ds_bpermute_b32 v36, v40, v32
	ds_bpermute_b32 v35, v40, v58
	s_waitcnt lgkmcnt(2)
	v_cmp_lt_f32_e64 s[6:7], v57, v59
	v_cmp_nlt_f32_e64 s[2:3], v57, v59
	s_and_saveexec_b64 s[22:23], s[2:3]
	s_cbranch_execz .LBB106_16
; %bb.15:                               ;   in Loop: Header=BB106_10 Depth=1
	v_cmp_eq_f32_e64 s[2:3], v57, v59
	s_waitcnt lgkmcnt(0)
	v_cmp_lt_i32_e64 s[4:5], v35, v58
	s_and_b64 s[2:3], s[2:3], s[4:5]
	s_andn2_b64 s[4:5], s[6:7], exec
	s_and_b64 s[2:3], s[2:3], exec
	s_or_b64 s[6:7], s[4:5], s[2:3]
.LBB106_16:                             ;   in Loop: Header=BB106_10 Depth=1
	s_or_b64 exec, exec, s[22:23]
	s_and_saveexec_b64 s[2:3], s[6:7]
	s_cbranch_execz .LBB106_18
; %bb.17:                               ;   in Loop: Header=BB106_10 Depth=1
	v_mov_b32_e32 v57, v59
	s_waitcnt lgkmcnt(1)
	v_mov_b32_e32 v32, v36
	s_waitcnt lgkmcnt(0)
	v_mov_b32_e32 v58, v35
	v_pk_mov_b32 v[34:35], v[36:37], v[36:37] op_sel:[0,1]
.LBB106_18:                             ;   in Loop: Header=BB106_10 Depth=1
	s_or_b64 exec, exec, s[2:3]
	ds_bpermute_b32 v59, v41, v57
	s_waitcnt lgkmcnt(2)
	ds_bpermute_b32 v36, v41, v32
	s_waitcnt lgkmcnt(2)
	;; [unrolled: 2-line block ×3, first 2 shown]
	v_cmp_lt_f32_e64 s[6:7], v57, v59
	v_cmp_nlt_f32_e64 s[2:3], v57, v59
	s_and_saveexec_b64 s[22:23], s[2:3]
	s_cbranch_execz .LBB106_20
; %bb.19:                               ;   in Loop: Header=BB106_10 Depth=1
	v_cmp_eq_f32_e64 s[2:3], v57, v59
	s_waitcnt lgkmcnt(0)
	v_cmp_lt_i32_e64 s[4:5], v35, v58
	s_and_b64 s[2:3], s[2:3], s[4:5]
	s_andn2_b64 s[4:5], s[6:7], exec
	s_and_b64 s[2:3], s[2:3], exec
	s_or_b64 s[6:7], s[4:5], s[2:3]
.LBB106_20:                             ;   in Loop: Header=BB106_10 Depth=1
	s_or_b64 exec, exec, s[22:23]
	s_and_saveexec_b64 s[2:3], s[6:7]
	s_cbranch_execz .LBB106_22
; %bb.21:                               ;   in Loop: Header=BB106_10 Depth=1
	v_mov_b32_e32 v57, v59
	s_waitcnt lgkmcnt(1)
	v_mov_b32_e32 v32, v36
	s_waitcnt lgkmcnt(0)
	v_mov_b32_e32 v58, v35
	v_pk_mov_b32 v[34:35], v[36:37], v[36:37] op_sel:[0,1]
.LBB106_22:                             ;   in Loop: Header=BB106_10 Depth=1
	s_or_b64 exec, exec, s[2:3]
	s_waitcnt lgkmcnt(1)
	ds_bpermute_b32 v36, v42, v57
	ds_bpermute_b32 v59, v42, v58
	s_waitcnt lgkmcnt(2)
	ds_bpermute_b32 v35, v42, v32
	s_waitcnt lgkmcnt(2)
	v_cmp_eq_f32_e64 s[4:5], v57, v36
	s_waitcnt lgkmcnt(1)
	v_cmp_lt_i32_e64 s[6:7], v59, v58
	v_cmp_lt_f32_e64 s[2:3], v57, v36
	s_and_b64 s[4:5], s[4:5], s[6:7]
	s_or_b64 s[2:3], s[2:3], s[4:5]
	v_cndmask_b32_e64 v32, v58, v59, s[2:3]
	s_and_saveexec_b64 s[6:7], s[0:1]
	s_cbranch_execnz .LBB106_24
; %bb.23:                               ;   in Loop: Header=BB106_10 Depth=1
	s_or_b64 exec, exec, s[6:7]
	s_add_i32 s25, s25, 1
	s_cmp_ge_i32 s25, s8
	s_cbranch_scc1 .LBB106_9
	s_branch .LBB106_25
.LBB106_24:                             ;   in Loop: Header=BB106_10 Depth=1
	s_waitcnt lgkmcnt(0)
	v_cndmask_b32_e64 v36, v34, v35, s[2:3]
	v_add_u32_e32 v34, s25, v45
	v_ashrrev_i32_e32 v35, 31, v34
	v_cmp_le_i32_e64 s[2:3], s9, v32
	v_cmp_gt_i32_e64 s[4:5], s10, v32
	v_lshlrev_b64 v[34:35], 2, v[34:35]
	s_and_b64 s[4:5], s[2:3], s[4:5]
	v_mov_b32_e32 v57, s17
	v_add_co_u32_e64 v58, s[2:3], s16, v34
	v_addc_co_u32_e64 v59, s[2:3], v57, v35, s[2:3]
	v_subrev_u32_e32 v57, s9, v32
	s_and_b64 s[2:3], s[18:19], s[4:5]
	global_store_dword v[58:59], v36, off
	v_cndmask_b32_e64 v57, v54, v57, s[2:3]
	v_mov_b32_e32 v59, s13
	v_add_co_u32_e64 v58, s[2:3], s12, v34
	v_addc_co_u32_e64 v59, s[2:3], v59, v35, s[2:3]
	global_store_dword v[58:59], v57, off
	v_mov_b32_e32 v57, s15
	v_add_co_u32_e64 v34, s[2:3], s14, v34
	v_addc_co_u32_e64 v35, s[2:3], v57, v35, s[2:3]
	global_store_dword v[34:35], v56, off
	v_add_f32_e32 v34, v44, v36
	v_cndmask_b32_e32 v44, v44, v34, vcc
	s_or_b64 exec, exec, s[6:7]
	s_add_i32 s25, s25, 1
	s_cmp_ge_i32 s25, s8
	s_cbranch_scc1 .LBB106_9
.LBB106_25:                             ;   in Loop: Header=BB106_10 Depth=1
	v_ashrrev_i32_e32 v34, 31, v32
	s_waitcnt lgkmcnt(0)
	v_lshrrev_b32_e32 v35, 29, v34
	v_add_u32_e32 v36, v32, v35
	v_ashrrev_i32_e32 v35, 3, v36
	v_ashrrev_i32_e32 v36, 31, v36
	v_lshrrev_b32_e32 v36, 27, v36
	v_add_u32_e32 v36, v35, v36
	v_and_b32_e32 v36, 0xffffffe0, v36
	v_sub_u32_e32 v36, v35, v36
	v_cmp_eq_u32_e64 s[2:3], v37, v36
	s_and_saveexec_b64 s[4:5], s[2:3]
	s_cbranch_execz .LBB106_8
; %bb.26:                               ;   in Loop: Header=BB106_10 Depth=1
	v_add_u32_sdwa v34, v32, v34 dst_sel:DWORD dst_unused:UNUSED_PAD src0_sel:DWORD src1_sel:BYTE_3
	v_lshlrev_b32_e32 v35, 3, v35
	v_ashrrev_i32_e32 v34, 8, v34
	v_sub_u32_e32 v32, v32, v35
	v_lshl_add_u32 v32, v34, 3, v32
	v_cmp_ne_u32_e64 s[2:3], 15, v32
	v_cndmask_b32_e64 v31, v55, v31, s[2:3]
	v_cmp_ne_u32_e64 s[2:3], 14, v32
	v_cndmask_b32_e64 v30, v55, v30, s[2:3]
	;; [unrolled: 2-line block ×16, first 2 shown]
	s_branch .LBB106_8
.LBB106_27:
                                        ; implicit-def: $vgpr16_vgpr17_vgpr18_vgpr19_vgpr20_vgpr21_vgpr22_vgpr23_vgpr24_vgpr25_vgpr26_vgpr27_vgpr28_vgpr29_vgpr30_vgpr31
	s_andn2_b64 vcc, exec, s[6:7]
	s_cbranch_vccz .LBB106_5
	s_branch .LBB106_6
.LBB106_28:
	v_mov_b32_e32 v44, 0
.LBB106_29:
	v_cmp_eq_u32_e64 s[0:1], 0, v37
	s_and_b64 s[0:1], s[0:1], vcc
	s_and_b64 exec, exec, s[0:1]
	s_cbranch_execz .LBB106_38
; %bb.30:
	s_andn2_b64 vcc, exec, s[20:21]
	s_cbranch_vccnz .LBB106_38
; %bb.31:
	v_cmp_lt_f32_e32 vcc, 0, v44
	s_mov_b32 s2, 0
	v_cndmask_b32_e32 v0, 1.0, v44, vcc
	v_mul_lo_u32 v4, v33, s8
	s_cmp_eq_u32 s8, 1
	s_mov_b64 s[0:1], -1
	s_cbranch_scc1 .LBB106_35
; %bb.32:
	s_and_b32 s2, s8, 0x7ffffffe
	v_mov_b32_e32 v1, v0
	v_mov_b32_e32 v5, s17
	s_mov_b32 s3, s2
	v_mov_b32_e32 v2, v4
.LBB106_33:                             ; =>This Inner Loop Header: Depth=1
	v_ashrrev_i32_e32 v3, 31, v2
	v_lshlrev_b64 v[6:7], 2, v[2:3]
	v_add_co_u32_e32 v6, vcc, s16, v6
	v_addc_co_u32_e32 v7, vcc, v5, v7, vcc
	global_load_dwordx2 v[8:9], v[6:7], off
	s_add_i32 s3, s3, -2
	s_cmp_lg_u32 s3, 0
	v_add_u32_e32 v2, 2, v2
	s_waitcnt vmcnt(0)
	v_div_scale_f32 v3, s[0:1], v1, v1, v9
	v_div_scale_f32 v11, s[0:1], v0, v0, v8
	v_rcp_f32_e32 v12, v3
	v_rcp_f32_e32 v13, v11
	v_div_scale_f32 v10, vcc, v9, v1, v9
	v_fma_f32 v15, -v3, v12, 1.0
	v_fma_f32 v16, -v11, v13, 1.0
	v_fmac_f32_e32 v12, v15, v12
	v_div_scale_f32 v14, s[0:1], v8, v0, v8
	v_fmac_f32_e32 v13, v16, v13
	v_mul_f32_e32 v15, v10, v12
	v_mul_f32_e32 v16, v14, v13
	v_fma_f32 v17, -v3, v15, v10
	v_fma_f32 v18, -v11, v16, v14
	v_fmac_f32_e32 v15, v17, v12
	v_fmac_f32_e32 v16, v18, v13
	v_fma_f32 v3, -v3, v15, v10
	v_fma_f32 v10, -v11, v16, v14
	v_div_fmas_f32 v3, v3, v12, v15
	s_mov_b64 vcc, s[0:1]
	v_div_fixup_f32 v9, v3, v1, v9
	v_div_fmas_f32 v3, v10, v13, v16
	v_div_fixup_f32 v8, v3, v0, v8
	global_store_dwordx2 v[6:7], v[8:9], off
	s_cbranch_scc1 .LBB106_33
; %bb.34:
	s_cmp_lg_u32 s2, s8
	s_cselect_b64 s[0:1], -1, 0
.LBB106_35:
	s_and_b64 vcc, exec, s[0:1]
	s_cbranch_vccz .LBB106_38
; %bb.36:
	v_ashrrev_i32_e32 v1, 31, v4
	v_add_co_u32_e32 v2, vcc, s2, v4
	v_addc_co_u32_e32 v3, vcc, 0, v1, vcc
	v_lshlrev_b64 v[2:3], 2, v[2:3]
	v_mov_b32_e32 v1, s17
	v_add_co_u32_e32 v2, vcc, s16, v2
	s_sub_i32 s0, s8, s2
	v_addc_co_u32_e32 v3, vcc, v1, v3, vcc
.LBB106_37:                             ; =>This Inner Loop Header: Depth=1
	global_load_dword v1, v[2:3], off
	s_add_i32 s0, s0, -1
	s_cmp_lg_u32 s0, 0
	s_waitcnt vmcnt(0)
	v_div_scale_f32 v4, s[2:3], v0, v0, v1
	v_rcp_f32_e32 v5, v4
	v_div_scale_f32 v6, vcc, v1, v0, v1
	v_fma_f32 v7, -v4, v5, 1.0
	v_fmac_f32_e32 v5, v7, v5
	v_mul_f32_e32 v7, v6, v5
	v_fma_f32 v8, -v4, v7, v6
	v_fmac_f32_e32 v7, v8, v5
	v_fma_f32 v4, -v4, v7, v6
	v_div_fmas_f32 v4, v4, v5, v7
	v_div_fixup_f32 v1, v4, v0, v1
	global_store_dword v[2:3], v1, off
	v_add_co_u32_e32 v2, vcc, 4, v2
	v_addc_co_u32_e32 v3, vcc, 0, v3, vcc
	s_cbranch_scc1 .LBB106_37
.LBB106_38:
	s_endpgm
	.section	.rodata,"a",@progbits
	.p2align	6, 0x0
	.amdhsa_kernel _ZN4vllm3moe10topkGatingILi16ELi512ELi4ELi16ELi32Ej6__halfLNS0_11ScoringFuncE0EEEvPKT5_PKbPfiPT4_PiiiibPKf
		.amdhsa_group_segment_fixed_size 0
		.amdhsa_private_segment_fixed_size 0
		.amdhsa_kernarg_size 72
		.amdhsa_user_sgpr_count 6
		.amdhsa_user_sgpr_private_segment_buffer 1
		.amdhsa_user_sgpr_dispatch_ptr 0
		.amdhsa_user_sgpr_queue_ptr 0
		.amdhsa_user_sgpr_kernarg_segment_ptr 1
		.amdhsa_user_sgpr_dispatch_id 0
		.amdhsa_user_sgpr_flat_scratch_init 0
		.amdhsa_user_sgpr_kernarg_preload_length 0
		.amdhsa_user_sgpr_kernarg_preload_offset 0
		.amdhsa_user_sgpr_private_segment_size 0
		.amdhsa_uses_dynamic_stack 0
		.amdhsa_system_sgpr_private_segment_wavefront_offset 0
		.amdhsa_system_sgpr_workgroup_id_x 1
		.amdhsa_system_sgpr_workgroup_id_y 0
		.amdhsa_system_sgpr_workgroup_id_z 0
		.amdhsa_system_sgpr_workgroup_info 0
		.amdhsa_system_vgpr_workitem_id 1
		.amdhsa_next_free_vgpr 61
		.amdhsa_next_free_sgpr 26
		.amdhsa_accum_offset 64
		.amdhsa_reserve_vcc 1
		.amdhsa_reserve_flat_scratch 0
		.amdhsa_float_round_mode_32 0
		.amdhsa_float_round_mode_16_64 0
		.amdhsa_float_denorm_mode_32 3
		.amdhsa_float_denorm_mode_16_64 3
		.amdhsa_dx10_clamp 1
		.amdhsa_ieee_mode 1
		.amdhsa_fp16_overflow 0
		.amdhsa_tg_split 0
		.amdhsa_exception_fp_ieee_invalid_op 0
		.amdhsa_exception_fp_denorm_src 0
		.amdhsa_exception_fp_ieee_div_zero 0
		.amdhsa_exception_fp_ieee_overflow 0
		.amdhsa_exception_fp_ieee_underflow 0
		.amdhsa_exception_fp_ieee_inexact 0
		.amdhsa_exception_int_div_zero 0
	.end_amdhsa_kernel
	.section	.text._ZN4vllm3moe10topkGatingILi16ELi512ELi4ELi16ELi32Ej6__halfLNS0_11ScoringFuncE0EEEvPKT5_PKbPfiPT4_PiiiibPKf,"axG",@progbits,_ZN4vllm3moe10topkGatingILi16ELi512ELi4ELi16ELi32Ej6__halfLNS0_11ScoringFuncE0EEEvPKT5_PKbPfiPT4_PiiiibPKf,comdat
.Lfunc_end106:
	.size	_ZN4vllm3moe10topkGatingILi16ELi512ELi4ELi16ELi32Ej6__halfLNS0_11ScoringFuncE0EEEvPKT5_PKbPfiPT4_PiiiibPKf, .Lfunc_end106-_ZN4vllm3moe10topkGatingILi16ELi512ELi4ELi16ELi32Ej6__halfLNS0_11ScoringFuncE0EEEvPKT5_PKbPfiPT4_PiiiibPKf
                                        ; -- End function
	.section	.AMDGPU.csdata,"",@progbits
; Kernel info:
; codeLenInByte = 4692
; NumSgprs: 30
; NumVgprs: 61
; NumAgprs: 0
; TotalNumVgprs: 61
; ScratchSize: 0
; MemoryBound: 0
; FloatMode: 240
; IeeeMode: 1
; LDSByteSize: 0 bytes/workgroup (compile time only)
; SGPRBlocks: 3
; VGPRBlocks: 7
; NumSGPRsForWavesPerEU: 30
; NumVGPRsForWavesPerEU: 61
; AccumOffset: 64
; Occupancy: 8
; WaveLimiterHint : 1
; COMPUTE_PGM_RSRC2:SCRATCH_EN: 0
; COMPUTE_PGM_RSRC2:USER_SGPR: 6
; COMPUTE_PGM_RSRC2:TRAP_HANDLER: 0
; COMPUTE_PGM_RSRC2:TGID_X_EN: 1
; COMPUTE_PGM_RSRC2:TGID_Y_EN: 0
; COMPUTE_PGM_RSRC2:TGID_Z_EN: 0
; COMPUTE_PGM_RSRC2:TIDIG_COMP_CNT: 1
; COMPUTE_PGM_RSRC3_GFX90A:ACCUM_OFFSET: 15
; COMPUTE_PGM_RSRC3_GFX90A:TG_SPLIT: 0
	.section	.text._ZN4vllm3moe10topkGatingILi1ELi1ELi4ELi2ELi64El6__halfLNS0_11ScoringFuncE0EEEvPKT5_PKbPfiPT4_PiiiibPKf,"axG",@progbits,_ZN4vllm3moe10topkGatingILi1ELi1ELi4ELi2ELi64El6__halfLNS0_11ScoringFuncE0EEEvPKT5_PKbPfiPT4_PiiiibPKf,comdat
	.protected	_ZN4vllm3moe10topkGatingILi1ELi1ELi4ELi2ELi64El6__halfLNS0_11ScoringFuncE0EEEvPKT5_PKbPfiPT4_PiiiibPKf ; -- Begin function _ZN4vllm3moe10topkGatingILi1ELi1ELi4ELi2ELi64El6__halfLNS0_11ScoringFuncE0EEEvPKT5_PKbPfiPT4_PiiiibPKf
	.globl	_ZN4vllm3moe10topkGatingILi1ELi1ELi4ELi2ELi64El6__halfLNS0_11ScoringFuncE0EEEvPKT5_PKbPfiPT4_PiiiibPKf
	.p2align	8
	.type	_ZN4vllm3moe10topkGatingILi1ELi1ELi4ELi2ELi64El6__halfLNS0_11ScoringFuncE0EEEvPKT5_PKbPfiPT4_PiiiibPKf,@function
_ZN4vllm3moe10topkGatingILi1ELi1ELi4ELi2ELi64El6__halfLNS0_11ScoringFuncE0EEEvPKT5_PKbPfiPT4_PiiiibPKf: ; @_ZN4vllm3moe10topkGatingILi1ELi1ELi4ELi2ELi64El6__halfLNS0_11ScoringFuncE0EEEvPKT5_PKbPfiPT4_PiiiibPKf
; %bb.0:
	s_load_dword s18, s[4:5], 0x18
	v_bfe_u32 v1, v0, 10, 10
	s_lshl_b32 s0, s6, 8
	v_lshlrev_b32_e32 v1, 6, v1
	v_and_b32_e32 v0, 0x3ff, v0
	v_add3_u32 v0, v1, v0, s0
	s_waitcnt lgkmcnt(0)
	v_cmp_gt_i32_e32 vcc, s18, v0
	s_and_saveexec_b64 s[0:1], vcc
	s_cbranch_execz .LBB107_17
; %bb.1:
	s_load_dwordx4 s[12:15], s[4:5], 0x0
	s_load_dwordx2 s[2:3], s[4:5], 0x10
	v_ashrrev_i32_e32 v1, 31, v0
	s_waitcnt lgkmcnt(0)
	s_cmp_eq_u64 s[14:15], 0
	s_cbranch_scc1 .LBB107_3
; %bb.2:
	v_mov_b32_e32 v3, s15
	v_add_co_u32_e32 v2, vcc, s14, v0
	v_addc_co_u32_e32 v3, vcc, v3, v1, vcc
	global_load_ubyte v2, v[2:3], off
	s_waitcnt vmcnt(0)
	v_and_b32_e32 v2, 1, v2
	v_cmp_eq_u32_e32 vcc, 1, v2
	s_xor_b64 s[0:1], vcc, -1
	s_orn2_b64 s[16:17], s[0:1], exec
	s_branch .LBB107_4
.LBB107_3:
	s_mov_b64 s[16:17], -1
.LBB107_4:
	s_load_dwordx4 s[8:11], s[4:5], 0x30
	s_waitcnt lgkmcnt(0)
	s_bitcmp1_b32 s11, 0
	s_cselect_b64 s[0:1], -1, 0
	s_cmp_gt_i32 s8, 0
	s_cselect_b64 s[14:15], -1, 0
	s_cmp_lt_i32 s8, 1
	s_cbranch_scc1 .LBB107_8
; %bb.5:
	v_lshlrev_b64 v[2:3], 1, v[0:1]
	v_mov_b32_e32 v1, s13
	v_add_co_u32_e32 v2, vcc, s12, v2
	v_addc_co_u32_e32 v3, vcc, v1, v3, vcc
	global_load_ushort v4, v[2:3], off
	s_mov_b32 s19, 0x3fb8aa3b
	v_mul_lo_u32 v2, v0, s8
	s_load_dwordx4 s[4:7], s[4:5], 0x20
	s_cmp_lt_i32 s9, 1
	v_ashrrev_i32_e32 v3, 31, v2
	s_cselect_b64 s[12:13], -1, 0
	s_cmp_gt_i32 s10, 0
	v_lshlrev_b64 v[8:9], 2, v[2:3]
	v_mov_b32_e32 v5, s3
	s_cselect_b64 s[10:11], -1, 0
	s_sub_i32 s9, 0, s9
	v_lshlrev_b64 v[6:7], 3, v[2:3]
	v_add_co_u32_e32 v2, vcc, s2, v8
	s_and_b64 s[10:11], s[12:13], s[10:11]
	s_ashr_i32 s12, s9, 31
	v_addc_co_u32_e32 v3, vcc, v5, v9, vcc
	v_mov_b32_e32 v12, s9
	v_mov_b32_e32 v5, s12
	s_and_b64 vcc, s[16:17], s[10:11]
	v_cndmask_b32_e32 v5, 0, v5, vcc
	s_mov_b32 s20, 0xc2ce8ed0
	s_mov_b32 s21, 0x42b17218
	v_mov_b32_e32 v11, 0x7f800000
	s_waitcnt lgkmcnt(0)
	v_mov_b32_e32 v14, s7
	s_movk_i32 s22, 0x1f8
	v_mov_b32_e32 v1, 0
	v_mov_b32_e32 v10, v0
	s_waitcnt vmcnt(0)
	v_cvt_f32_f16_e32 v13, v4
	v_cndmask_b32_e32 v4, 1, v12, vcc
	v_mov_b32_e32 v12, s5
	v_add_co_u32_e32 v6, vcc, s4, v6
	v_sub_f32_e32 v13, v13, v13
	v_mul_f32_e32 v15, 0x3fb8aa3b, v13
	v_fma_f32 v16, v13, s19, -v15
	v_rndne_f32_e32 v17, v15
	v_fmac_f32_e32 v16, 0x32a5705f, v13
	v_sub_f32_e32 v15, v15, v17
	v_add_f32_e32 v15, v15, v16
	v_cvt_i32_f32_e32 v17, v17
	v_exp_f32_e32 v15, v15
	v_addc_co_u32_e32 v7, vcc, v12, v7, vcc
	v_cmp_ngt_f32_e32 vcc, s20, v13
	v_ldexp_f32 v12, v15, v17
	v_cndmask_b32_e32 v12, 0, v12, vcc
	v_cmp_nlt_f32_e32 vcc, s21, v13
	v_cndmask_b32_e32 v11, v11, v12, vcc
	v_div_scale_f32 v12, s[4:5], v11, v11, 1.0
	v_rcp_f32_e32 v13, v12
	v_add_co_u32_e32 v8, vcc, s6, v8
	v_addc_co_u32_e32 v9, vcc, v14, v9, vcc
	v_fma_f32 v15, -v12, v13, 1.0
	v_div_scale_f32 v14, vcc, 1.0, v11, 1.0
	v_fmac_f32_e32 v13, v15, v13
	v_mul_f32_e32 v15, v14, v13
	v_fma_f32 v16, -v12, v15, v14
	v_fmac_f32_e32 v15, v16, v13
	v_fma_f32 v12, -v12, v15, v14
	v_div_fmas_f32 v12, v12, v13, v15
	v_div_fixup_f32 v12, v12, v11, 1.0
	v_mul_f32_e32 v11, v11, v12
	v_cmp_class_f32_e64 vcc, v11, s22
	v_cndmask_b32_e32 v11, 0, v11, vcc
	s_mov_b32 s4, s8
.LBB107_6:                              ; =>This Inner Loop Header: Depth=1
	global_store_dword v[2:3], v11, off
	global_store_dwordx2 v[6:7], v[4:5], off
	global_store_dword v[8:9], v10, off
	v_add_co_u32_e32 v2, vcc, 4, v2
	v_addc_co_u32_e32 v3, vcc, 0, v3, vcc
	v_add_co_u32_e32 v6, vcc, 8, v6
	v_addc_co_u32_e32 v7, vcc, 0, v7, vcc
	v_add_f32_e32 v12, v1, v11
	s_add_i32 s4, s4, -1
	v_add_co_u32_e32 v8, vcc, 4, v8
	v_cndmask_b32_e64 v1, v1, v12, s[0:1]
	v_add_u32_e32 v10, s18, v10
	s_cmp_lg_u32 s4, 0
	v_addc_co_u32_e32 v9, vcc, 0, v9, vcc
	s_cbranch_scc1 .LBB107_6
; %bb.7:
	s_andn2_b64 vcc, exec, s[0:1]
	s_cbranch_vccz .LBB107_9
	s_branch .LBB107_17
.LBB107_8:
	v_mov_b32_e32 v1, 0
	s_andn2_b64 vcc, exec, s[0:1]
	s_cbranch_vccnz .LBB107_17
.LBB107_9:
	s_andn2_b64 vcc, exec, s[14:15]
	s_cbranch_vccnz .LBB107_17
; %bb.10:
	v_cmp_lt_f32_e32 vcc, 0, v1
	s_mov_b32 s4, 0
	v_cndmask_b32_e32 v2, 1.0, v1, vcc
	v_mul_lo_u32 v0, v0, s8
	s_cmp_eq_u32 s8, 1
	s_mov_b64 s[0:1], -1
	s_cbranch_scc1 .LBB107_14
; %bb.11:
	s_and_b32 s4, s8, 0x7ffffffe
	v_mov_b32_e32 v1, v2
	v_mov_b32_e32 v3, s3
	s_mov_b32 s5, s4
	v_mov_b32_e32 v4, v0
.LBB107_12:                             ; =>This Inner Loop Header: Depth=1
	v_ashrrev_i32_e32 v5, 31, v4
	v_lshlrev_b64 v[6:7], 2, v[4:5]
	v_add_co_u32_e32 v6, vcc, s2, v6
	v_addc_co_u32_e32 v7, vcc, v3, v7, vcc
	global_load_dwordx2 v[8:9], v[6:7], off
	s_add_i32 s5, s5, -2
	s_cmp_lg_u32 s5, 0
	v_add_u32_e32 v4, 2, v4
	s_waitcnt vmcnt(0)
	v_div_scale_f32 v5, s[0:1], v1, v1, v9
	v_div_scale_f32 v11, s[0:1], v2, v2, v8
	v_rcp_f32_e32 v12, v5
	v_rcp_f32_e32 v13, v11
	v_div_scale_f32 v10, vcc, v9, v1, v9
	v_fma_f32 v15, -v5, v12, 1.0
	v_fma_f32 v16, -v11, v13, 1.0
	v_fmac_f32_e32 v12, v15, v12
	v_div_scale_f32 v14, s[0:1], v8, v2, v8
	v_fmac_f32_e32 v13, v16, v13
	v_mul_f32_e32 v15, v10, v12
	v_mul_f32_e32 v16, v14, v13
	v_fma_f32 v17, -v5, v15, v10
	v_fma_f32 v18, -v11, v16, v14
	v_fmac_f32_e32 v15, v17, v12
	v_fmac_f32_e32 v16, v18, v13
	v_fma_f32 v5, -v5, v15, v10
	v_fma_f32 v10, -v11, v16, v14
	v_div_fmas_f32 v5, v5, v12, v15
	s_mov_b64 vcc, s[0:1]
	v_div_fixup_f32 v9, v5, v1, v9
	v_div_fmas_f32 v5, v10, v13, v16
	v_div_fixup_f32 v8, v5, v2, v8
	global_store_dwordx2 v[6:7], v[8:9], off
	s_cbranch_scc1 .LBB107_12
; %bb.13:
	s_cmp_lg_u32 s4, s8
	s_cselect_b64 s[0:1], -1, 0
.LBB107_14:
	s_and_b64 vcc, exec, s[0:1]
	s_cbranch_vccz .LBB107_17
; %bb.15:
	v_ashrrev_i32_e32 v1, 31, v0
	v_add_co_u32_e32 v0, vcc, s4, v0
	v_addc_co_u32_e32 v1, vcc, 0, v1, vcc
	v_lshlrev_b64 v[0:1], 2, v[0:1]
	v_mov_b32_e32 v3, s3
	v_add_co_u32_e32 v0, vcc, s2, v0
	s_sub_i32 s0, s8, s4
	v_addc_co_u32_e32 v1, vcc, v3, v1, vcc
.LBB107_16:                             ; =>This Inner Loop Header: Depth=1
	global_load_dword v3, v[0:1], off
	s_add_i32 s0, s0, -1
	s_cmp_lg_u32 s0, 0
	s_waitcnt vmcnt(0)
	v_div_scale_f32 v4, s[2:3], v2, v2, v3
	v_rcp_f32_e32 v5, v4
	v_div_scale_f32 v6, vcc, v3, v2, v3
	v_fma_f32 v7, -v4, v5, 1.0
	v_fmac_f32_e32 v5, v7, v5
	v_mul_f32_e32 v7, v6, v5
	v_fma_f32 v8, -v4, v7, v6
	v_fmac_f32_e32 v7, v8, v5
	v_fma_f32 v4, -v4, v7, v6
	v_div_fmas_f32 v4, v4, v5, v7
	v_div_fixup_f32 v3, v4, v2, v3
	global_store_dword v[0:1], v3, off
	v_add_co_u32_e32 v0, vcc, 4, v0
	v_addc_co_u32_e32 v1, vcc, 0, v1, vcc
	s_cbranch_scc1 .LBB107_16
.LBB107_17:
	s_endpgm
	.section	.rodata,"a",@progbits
	.p2align	6, 0x0
	.amdhsa_kernel _ZN4vllm3moe10topkGatingILi1ELi1ELi4ELi2ELi64El6__halfLNS0_11ScoringFuncE0EEEvPKT5_PKbPfiPT4_PiiiibPKf
		.amdhsa_group_segment_fixed_size 0
		.amdhsa_private_segment_fixed_size 0
		.amdhsa_kernarg_size 72
		.amdhsa_user_sgpr_count 6
		.amdhsa_user_sgpr_private_segment_buffer 1
		.amdhsa_user_sgpr_dispatch_ptr 0
		.amdhsa_user_sgpr_queue_ptr 0
		.amdhsa_user_sgpr_kernarg_segment_ptr 1
		.amdhsa_user_sgpr_dispatch_id 0
		.amdhsa_user_sgpr_flat_scratch_init 0
		.amdhsa_user_sgpr_kernarg_preload_length 0
		.amdhsa_user_sgpr_kernarg_preload_offset 0
		.amdhsa_user_sgpr_private_segment_size 0
		.amdhsa_uses_dynamic_stack 0
		.amdhsa_system_sgpr_private_segment_wavefront_offset 0
		.amdhsa_system_sgpr_workgroup_id_x 1
		.amdhsa_system_sgpr_workgroup_id_y 0
		.amdhsa_system_sgpr_workgroup_id_z 0
		.amdhsa_system_sgpr_workgroup_info 0
		.amdhsa_system_vgpr_workitem_id 1
		.amdhsa_next_free_vgpr 19
		.amdhsa_next_free_sgpr 23
		.amdhsa_accum_offset 20
		.amdhsa_reserve_vcc 1
		.amdhsa_reserve_flat_scratch 0
		.amdhsa_float_round_mode_32 0
		.amdhsa_float_round_mode_16_64 0
		.amdhsa_float_denorm_mode_32 3
		.amdhsa_float_denorm_mode_16_64 3
		.amdhsa_dx10_clamp 1
		.amdhsa_ieee_mode 1
		.amdhsa_fp16_overflow 0
		.amdhsa_tg_split 0
		.amdhsa_exception_fp_ieee_invalid_op 0
		.amdhsa_exception_fp_denorm_src 0
		.amdhsa_exception_fp_ieee_div_zero 0
		.amdhsa_exception_fp_ieee_overflow 0
		.amdhsa_exception_fp_ieee_underflow 0
		.amdhsa_exception_fp_ieee_inexact 0
		.amdhsa_exception_int_div_zero 0
	.end_amdhsa_kernel
	.section	.text._ZN4vllm3moe10topkGatingILi1ELi1ELi4ELi2ELi64El6__halfLNS0_11ScoringFuncE0EEEvPKT5_PKbPfiPT4_PiiiibPKf,"axG",@progbits,_ZN4vllm3moe10topkGatingILi1ELi1ELi4ELi2ELi64El6__halfLNS0_11ScoringFuncE0EEEvPKT5_PKbPfiPT4_PiiiibPKf,comdat
.Lfunc_end107:
	.size	_ZN4vllm3moe10topkGatingILi1ELi1ELi4ELi2ELi64El6__halfLNS0_11ScoringFuncE0EEEvPKT5_PKbPfiPT4_PiiiibPKf, .Lfunc_end107-_ZN4vllm3moe10topkGatingILi1ELi1ELi4ELi2ELi64El6__halfLNS0_11ScoringFuncE0EEEvPKT5_PKbPfiPT4_PiiiibPKf
                                        ; -- End function
	.section	.AMDGPU.csdata,"",@progbits
; Kernel info:
; codeLenInByte = 1076
; NumSgprs: 27
; NumVgprs: 19
; NumAgprs: 0
; TotalNumVgprs: 19
; ScratchSize: 0
; MemoryBound: 0
; FloatMode: 240
; IeeeMode: 1
; LDSByteSize: 0 bytes/workgroup (compile time only)
; SGPRBlocks: 3
; VGPRBlocks: 2
; NumSGPRsForWavesPerEU: 27
; NumVGPRsForWavesPerEU: 19
; AccumOffset: 20
; Occupancy: 8
; WaveLimiterHint : 0
; COMPUTE_PGM_RSRC2:SCRATCH_EN: 0
; COMPUTE_PGM_RSRC2:USER_SGPR: 6
; COMPUTE_PGM_RSRC2:TRAP_HANDLER: 0
; COMPUTE_PGM_RSRC2:TGID_X_EN: 1
; COMPUTE_PGM_RSRC2:TGID_Y_EN: 0
; COMPUTE_PGM_RSRC2:TGID_Z_EN: 0
; COMPUTE_PGM_RSRC2:TIDIG_COMP_CNT: 1
; COMPUTE_PGM_RSRC3_GFX90A:ACCUM_OFFSET: 4
; COMPUTE_PGM_RSRC3_GFX90A:TG_SPLIT: 0
	.section	.text._ZN4vllm3moe10topkGatingILi1ELi1ELi4ELi2ELi32El6__halfLNS0_11ScoringFuncE0EEEvPKT5_PKbPfiPT4_PiiiibPKf,"axG",@progbits,_ZN4vllm3moe10topkGatingILi1ELi1ELi4ELi2ELi32El6__halfLNS0_11ScoringFuncE0EEEvPKT5_PKbPfiPT4_PiiiibPKf,comdat
	.protected	_ZN4vllm3moe10topkGatingILi1ELi1ELi4ELi2ELi32El6__halfLNS0_11ScoringFuncE0EEEvPKT5_PKbPfiPT4_PiiiibPKf ; -- Begin function _ZN4vllm3moe10topkGatingILi1ELi1ELi4ELi2ELi32El6__halfLNS0_11ScoringFuncE0EEEvPKT5_PKbPfiPT4_PiiiibPKf
	.globl	_ZN4vllm3moe10topkGatingILi1ELi1ELi4ELi2ELi32El6__halfLNS0_11ScoringFuncE0EEEvPKT5_PKbPfiPT4_PiiiibPKf
	.p2align	8
	.type	_ZN4vllm3moe10topkGatingILi1ELi1ELi4ELi2ELi32El6__halfLNS0_11ScoringFuncE0EEEvPKT5_PKbPfiPT4_PiiiibPKf,@function
_ZN4vllm3moe10topkGatingILi1ELi1ELi4ELi2ELi32El6__halfLNS0_11ScoringFuncE0EEEvPKT5_PKbPfiPT4_PiiiibPKf: ; @_ZN4vllm3moe10topkGatingILi1ELi1ELi4ELi2ELi32El6__halfLNS0_11ScoringFuncE0EEEvPKT5_PKbPfiPT4_PiiiibPKf
; %bb.0:
	s_load_dword s18, s[4:5], 0x18
	v_bfe_u32 v1, v0, 10, 10
	s_lshl_b32 s0, s6, 7
	v_lshlrev_b32_e32 v1, 5, v1
	v_and_b32_e32 v0, 0x3ff, v0
	v_add3_u32 v0, v1, v0, s0
	s_waitcnt lgkmcnt(0)
	v_cmp_gt_i32_e32 vcc, s18, v0
	s_and_saveexec_b64 s[0:1], vcc
	s_cbranch_execz .LBB108_17
; %bb.1:
	s_load_dwordx4 s[12:15], s[4:5], 0x0
	s_load_dwordx2 s[2:3], s[4:5], 0x10
	v_ashrrev_i32_e32 v1, 31, v0
	s_waitcnt lgkmcnt(0)
	s_cmp_eq_u64 s[14:15], 0
	s_cbranch_scc1 .LBB108_3
; %bb.2:
	v_mov_b32_e32 v3, s15
	v_add_co_u32_e32 v2, vcc, s14, v0
	v_addc_co_u32_e32 v3, vcc, v3, v1, vcc
	global_load_ubyte v2, v[2:3], off
	s_waitcnt vmcnt(0)
	v_and_b32_e32 v2, 1, v2
	v_cmp_eq_u32_e32 vcc, 1, v2
	s_xor_b64 s[0:1], vcc, -1
	s_orn2_b64 s[16:17], s[0:1], exec
	s_branch .LBB108_4
.LBB108_3:
	s_mov_b64 s[16:17], -1
.LBB108_4:
	s_load_dwordx4 s[8:11], s[4:5], 0x30
	s_waitcnt lgkmcnt(0)
	s_bitcmp1_b32 s11, 0
	s_cselect_b64 s[0:1], -1, 0
	s_cmp_gt_i32 s8, 0
	s_cselect_b64 s[14:15], -1, 0
	s_cmp_lt_i32 s8, 1
	s_cbranch_scc1 .LBB108_8
; %bb.5:
	v_lshlrev_b64 v[2:3], 1, v[0:1]
	v_mov_b32_e32 v1, s13
	v_add_co_u32_e32 v2, vcc, s12, v2
	v_addc_co_u32_e32 v3, vcc, v1, v3, vcc
	global_load_ushort v4, v[2:3], off
	s_mov_b32 s19, 0x3fb8aa3b
	v_mul_lo_u32 v2, v0, s8
	s_load_dwordx4 s[4:7], s[4:5], 0x20
	s_cmp_lt_i32 s9, 1
	v_ashrrev_i32_e32 v3, 31, v2
	s_cselect_b64 s[12:13], -1, 0
	s_cmp_gt_i32 s10, 0
	v_lshlrev_b64 v[8:9], 2, v[2:3]
	v_mov_b32_e32 v5, s3
	s_cselect_b64 s[10:11], -1, 0
	s_sub_i32 s9, 0, s9
	v_lshlrev_b64 v[6:7], 3, v[2:3]
	v_add_co_u32_e32 v2, vcc, s2, v8
	s_and_b64 s[10:11], s[12:13], s[10:11]
	s_ashr_i32 s12, s9, 31
	v_addc_co_u32_e32 v3, vcc, v5, v9, vcc
	v_mov_b32_e32 v12, s9
	v_mov_b32_e32 v5, s12
	s_and_b64 vcc, s[16:17], s[10:11]
	v_cndmask_b32_e32 v5, 0, v5, vcc
	s_mov_b32 s20, 0xc2ce8ed0
	s_mov_b32 s21, 0x42b17218
	v_mov_b32_e32 v11, 0x7f800000
	s_waitcnt lgkmcnt(0)
	v_mov_b32_e32 v14, s7
	s_movk_i32 s22, 0x1f8
	v_mov_b32_e32 v1, 0
	v_mov_b32_e32 v10, v0
	s_waitcnt vmcnt(0)
	v_cvt_f32_f16_e32 v13, v4
	v_cndmask_b32_e32 v4, 1, v12, vcc
	v_mov_b32_e32 v12, s5
	v_add_co_u32_e32 v6, vcc, s4, v6
	v_sub_f32_e32 v13, v13, v13
	v_mul_f32_e32 v15, 0x3fb8aa3b, v13
	v_fma_f32 v16, v13, s19, -v15
	v_rndne_f32_e32 v17, v15
	v_fmac_f32_e32 v16, 0x32a5705f, v13
	v_sub_f32_e32 v15, v15, v17
	v_add_f32_e32 v15, v15, v16
	v_cvt_i32_f32_e32 v17, v17
	v_exp_f32_e32 v15, v15
	v_addc_co_u32_e32 v7, vcc, v12, v7, vcc
	v_cmp_ngt_f32_e32 vcc, s20, v13
	v_ldexp_f32 v12, v15, v17
	v_cndmask_b32_e32 v12, 0, v12, vcc
	v_cmp_nlt_f32_e32 vcc, s21, v13
	v_cndmask_b32_e32 v11, v11, v12, vcc
	v_div_scale_f32 v12, s[4:5], v11, v11, 1.0
	v_rcp_f32_e32 v13, v12
	v_add_co_u32_e32 v8, vcc, s6, v8
	v_addc_co_u32_e32 v9, vcc, v14, v9, vcc
	v_fma_f32 v15, -v12, v13, 1.0
	v_div_scale_f32 v14, vcc, 1.0, v11, 1.0
	v_fmac_f32_e32 v13, v15, v13
	v_mul_f32_e32 v15, v14, v13
	v_fma_f32 v16, -v12, v15, v14
	v_fmac_f32_e32 v15, v16, v13
	v_fma_f32 v12, -v12, v15, v14
	v_div_fmas_f32 v12, v12, v13, v15
	v_div_fixup_f32 v12, v12, v11, 1.0
	v_mul_f32_e32 v11, v11, v12
	v_cmp_class_f32_e64 vcc, v11, s22
	v_cndmask_b32_e32 v11, 0, v11, vcc
	s_mov_b32 s4, s8
.LBB108_6:                              ; =>This Inner Loop Header: Depth=1
	global_store_dword v[2:3], v11, off
	global_store_dwordx2 v[6:7], v[4:5], off
	global_store_dword v[8:9], v10, off
	v_add_co_u32_e32 v2, vcc, 4, v2
	v_addc_co_u32_e32 v3, vcc, 0, v3, vcc
	v_add_co_u32_e32 v6, vcc, 8, v6
	v_addc_co_u32_e32 v7, vcc, 0, v7, vcc
	v_add_f32_e32 v12, v1, v11
	s_add_i32 s4, s4, -1
	v_add_co_u32_e32 v8, vcc, 4, v8
	v_cndmask_b32_e64 v1, v1, v12, s[0:1]
	v_add_u32_e32 v10, s18, v10
	s_cmp_lg_u32 s4, 0
	v_addc_co_u32_e32 v9, vcc, 0, v9, vcc
	s_cbranch_scc1 .LBB108_6
; %bb.7:
	s_andn2_b64 vcc, exec, s[0:1]
	s_cbranch_vccz .LBB108_9
	s_branch .LBB108_17
.LBB108_8:
	v_mov_b32_e32 v1, 0
	s_andn2_b64 vcc, exec, s[0:1]
	s_cbranch_vccnz .LBB108_17
.LBB108_9:
	s_andn2_b64 vcc, exec, s[14:15]
	s_cbranch_vccnz .LBB108_17
; %bb.10:
	v_cmp_lt_f32_e32 vcc, 0, v1
	s_mov_b32 s4, 0
	v_cndmask_b32_e32 v2, 1.0, v1, vcc
	v_mul_lo_u32 v0, v0, s8
	s_cmp_eq_u32 s8, 1
	s_mov_b64 s[0:1], -1
	s_cbranch_scc1 .LBB108_14
; %bb.11:
	s_and_b32 s4, s8, 0x7ffffffe
	v_mov_b32_e32 v1, v2
	v_mov_b32_e32 v3, s3
	s_mov_b32 s5, s4
	v_mov_b32_e32 v4, v0
.LBB108_12:                             ; =>This Inner Loop Header: Depth=1
	v_ashrrev_i32_e32 v5, 31, v4
	v_lshlrev_b64 v[6:7], 2, v[4:5]
	v_add_co_u32_e32 v6, vcc, s2, v6
	v_addc_co_u32_e32 v7, vcc, v3, v7, vcc
	global_load_dwordx2 v[8:9], v[6:7], off
	s_add_i32 s5, s5, -2
	s_cmp_lg_u32 s5, 0
	v_add_u32_e32 v4, 2, v4
	s_waitcnt vmcnt(0)
	v_div_scale_f32 v5, s[0:1], v1, v1, v9
	v_div_scale_f32 v11, s[0:1], v2, v2, v8
	v_rcp_f32_e32 v12, v5
	v_rcp_f32_e32 v13, v11
	v_div_scale_f32 v10, vcc, v9, v1, v9
	v_fma_f32 v15, -v5, v12, 1.0
	v_fma_f32 v16, -v11, v13, 1.0
	v_fmac_f32_e32 v12, v15, v12
	v_div_scale_f32 v14, s[0:1], v8, v2, v8
	v_fmac_f32_e32 v13, v16, v13
	v_mul_f32_e32 v15, v10, v12
	v_mul_f32_e32 v16, v14, v13
	v_fma_f32 v17, -v5, v15, v10
	v_fma_f32 v18, -v11, v16, v14
	v_fmac_f32_e32 v15, v17, v12
	v_fmac_f32_e32 v16, v18, v13
	v_fma_f32 v5, -v5, v15, v10
	v_fma_f32 v10, -v11, v16, v14
	v_div_fmas_f32 v5, v5, v12, v15
	s_mov_b64 vcc, s[0:1]
	v_div_fixup_f32 v9, v5, v1, v9
	v_div_fmas_f32 v5, v10, v13, v16
	v_div_fixup_f32 v8, v5, v2, v8
	global_store_dwordx2 v[6:7], v[8:9], off
	s_cbranch_scc1 .LBB108_12
; %bb.13:
	s_cmp_lg_u32 s4, s8
	s_cselect_b64 s[0:1], -1, 0
.LBB108_14:
	s_and_b64 vcc, exec, s[0:1]
	s_cbranch_vccz .LBB108_17
; %bb.15:
	v_ashrrev_i32_e32 v1, 31, v0
	v_add_co_u32_e32 v0, vcc, s4, v0
	v_addc_co_u32_e32 v1, vcc, 0, v1, vcc
	v_lshlrev_b64 v[0:1], 2, v[0:1]
	v_mov_b32_e32 v3, s3
	v_add_co_u32_e32 v0, vcc, s2, v0
	s_sub_i32 s0, s8, s4
	v_addc_co_u32_e32 v1, vcc, v3, v1, vcc
.LBB108_16:                             ; =>This Inner Loop Header: Depth=1
	global_load_dword v3, v[0:1], off
	s_add_i32 s0, s0, -1
	s_cmp_lg_u32 s0, 0
	s_waitcnt vmcnt(0)
	v_div_scale_f32 v4, s[2:3], v2, v2, v3
	v_rcp_f32_e32 v5, v4
	v_div_scale_f32 v6, vcc, v3, v2, v3
	v_fma_f32 v7, -v4, v5, 1.0
	v_fmac_f32_e32 v5, v7, v5
	v_mul_f32_e32 v7, v6, v5
	v_fma_f32 v8, -v4, v7, v6
	v_fmac_f32_e32 v7, v8, v5
	v_fma_f32 v4, -v4, v7, v6
	v_div_fmas_f32 v4, v4, v5, v7
	v_div_fixup_f32 v3, v4, v2, v3
	global_store_dword v[0:1], v3, off
	v_add_co_u32_e32 v0, vcc, 4, v0
	v_addc_co_u32_e32 v1, vcc, 0, v1, vcc
	s_cbranch_scc1 .LBB108_16
.LBB108_17:
	s_endpgm
	.section	.rodata,"a",@progbits
	.p2align	6, 0x0
	.amdhsa_kernel _ZN4vllm3moe10topkGatingILi1ELi1ELi4ELi2ELi32El6__halfLNS0_11ScoringFuncE0EEEvPKT5_PKbPfiPT4_PiiiibPKf
		.amdhsa_group_segment_fixed_size 0
		.amdhsa_private_segment_fixed_size 0
		.amdhsa_kernarg_size 72
		.amdhsa_user_sgpr_count 6
		.amdhsa_user_sgpr_private_segment_buffer 1
		.amdhsa_user_sgpr_dispatch_ptr 0
		.amdhsa_user_sgpr_queue_ptr 0
		.amdhsa_user_sgpr_kernarg_segment_ptr 1
		.amdhsa_user_sgpr_dispatch_id 0
		.amdhsa_user_sgpr_flat_scratch_init 0
		.amdhsa_user_sgpr_kernarg_preload_length 0
		.amdhsa_user_sgpr_kernarg_preload_offset 0
		.amdhsa_user_sgpr_private_segment_size 0
		.amdhsa_uses_dynamic_stack 0
		.amdhsa_system_sgpr_private_segment_wavefront_offset 0
		.amdhsa_system_sgpr_workgroup_id_x 1
		.amdhsa_system_sgpr_workgroup_id_y 0
		.amdhsa_system_sgpr_workgroup_id_z 0
		.amdhsa_system_sgpr_workgroup_info 0
		.amdhsa_system_vgpr_workitem_id 1
		.amdhsa_next_free_vgpr 19
		.amdhsa_next_free_sgpr 23
		.amdhsa_accum_offset 20
		.amdhsa_reserve_vcc 1
		.amdhsa_reserve_flat_scratch 0
		.amdhsa_float_round_mode_32 0
		.amdhsa_float_round_mode_16_64 0
		.amdhsa_float_denorm_mode_32 3
		.amdhsa_float_denorm_mode_16_64 3
		.amdhsa_dx10_clamp 1
		.amdhsa_ieee_mode 1
		.amdhsa_fp16_overflow 0
		.amdhsa_tg_split 0
		.amdhsa_exception_fp_ieee_invalid_op 0
		.amdhsa_exception_fp_denorm_src 0
		.amdhsa_exception_fp_ieee_div_zero 0
		.amdhsa_exception_fp_ieee_overflow 0
		.amdhsa_exception_fp_ieee_underflow 0
		.amdhsa_exception_fp_ieee_inexact 0
		.amdhsa_exception_int_div_zero 0
	.end_amdhsa_kernel
	.section	.text._ZN4vllm3moe10topkGatingILi1ELi1ELi4ELi2ELi32El6__halfLNS0_11ScoringFuncE0EEEvPKT5_PKbPfiPT4_PiiiibPKf,"axG",@progbits,_ZN4vllm3moe10topkGatingILi1ELi1ELi4ELi2ELi32El6__halfLNS0_11ScoringFuncE0EEEvPKT5_PKbPfiPT4_PiiiibPKf,comdat
.Lfunc_end108:
	.size	_ZN4vllm3moe10topkGatingILi1ELi1ELi4ELi2ELi32El6__halfLNS0_11ScoringFuncE0EEEvPKT5_PKbPfiPT4_PiiiibPKf, .Lfunc_end108-_ZN4vllm3moe10topkGatingILi1ELi1ELi4ELi2ELi32El6__halfLNS0_11ScoringFuncE0EEEvPKT5_PKbPfiPT4_PiiiibPKf
                                        ; -- End function
	.section	.AMDGPU.csdata,"",@progbits
; Kernel info:
; codeLenInByte = 1076
; NumSgprs: 27
; NumVgprs: 19
; NumAgprs: 0
; TotalNumVgprs: 19
; ScratchSize: 0
; MemoryBound: 0
; FloatMode: 240
; IeeeMode: 1
; LDSByteSize: 0 bytes/workgroup (compile time only)
; SGPRBlocks: 3
; VGPRBlocks: 2
; NumSGPRsForWavesPerEU: 27
; NumVGPRsForWavesPerEU: 19
; AccumOffset: 20
; Occupancy: 8
; WaveLimiterHint : 0
; COMPUTE_PGM_RSRC2:SCRATCH_EN: 0
; COMPUTE_PGM_RSRC2:USER_SGPR: 6
; COMPUTE_PGM_RSRC2:TRAP_HANDLER: 0
; COMPUTE_PGM_RSRC2:TGID_X_EN: 1
; COMPUTE_PGM_RSRC2:TGID_Y_EN: 0
; COMPUTE_PGM_RSRC2:TGID_Z_EN: 0
; COMPUTE_PGM_RSRC2:TIDIG_COMP_CNT: 1
; COMPUTE_PGM_RSRC3_GFX90A:ACCUM_OFFSET: 4
; COMPUTE_PGM_RSRC3_GFX90A:TG_SPLIT: 0
	.section	.text._ZN4vllm3moe10topkGatingILi2ELi2ELi4ELi4ELi64El6__halfLNS0_11ScoringFuncE0EEEvPKT5_PKbPfiPT4_PiiiibPKf,"axG",@progbits,_ZN4vllm3moe10topkGatingILi2ELi2ELi4ELi4ELi64El6__halfLNS0_11ScoringFuncE0EEEvPKT5_PKbPfiPT4_PiiiibPKf,comdat
	.protected	_ZN4vllm3moe10topkGatingILi2ELi2ELi4ELi4ELi64El6__halfLNS0_11ScoringFuncE0EEEvPKT5_PKbPfiPT4_PiiiibPKf ; -- Begin function _ZN4vllm3moe10topkGatingILi2ELi2ELi4ELi4ELi64El6__halfLNS0_11ScoringFuncE0EEEvPKT5_PKbPfiPT4_PiiiibPKf
	.globl	_ZN4vllm3moe10topkGatingILi2ELi2ELi4ELi4ELi64El6__halfLNS0_11ScoringFuncE0EEEvPKT5_PKbPfiPT4_PiiiibPKf
	.p2align	8
	.type	_ZN4vllm3moe10topkGatingILi2ELi2ELi4ELi4ELi64El6__halfLNS0_11ScoringFuncE0EEEvPKT5_PKbPfiPT4_PiiiibPKf,@function
_ZN4vllm3moe10topkGatingILi2ELi2ELi4ELi4ELi64El6__halfLNS0_11ScoringFuncE0EEEvPKT5_PKbPfiPT4_PiiiibPKf: ; @_ZN4vllm3moe10topkGatingILi2ELi2ELi4ELi4ELi64El6__halfLNS0_11ScoringFuncE0EEEvPKT5_PKbPfiPT4_PiiiibPKf
; %bb.0:
	s_load_dword s16, s[4:5], 0x18
	v_bfe_u32 v1, v0, 10, 10
	s_lshl_b32 s0, s6, 8
	v_lshlrev_b32_e32 v1, 6, v1
	v_and_b32_e32 v0, 0x3ff, v0
	v_add3_u32 v10, v1, v0, s0
	s_waitcnt lgkmcnt(0)
	v_cmp_gt_i32_e32 vcc, s16, v10
	s_and_saveexec_b64 s[0:1], vcc
	s_cbranch_execz .LBB109_19
; %bb.1:
	s_load_dwordx4 s[0:3], s[4:5], 0x0
	s_load_dwordx2 s[6:7], s[4:5], 0x10
	s_waitcnt lgkmcnt(0)
	s_cmp_eq_u64 s[2:3], 0
	s_cbranch_scc1 .LBB109_3
; %bb.2:
	v_ashrrev_i32_e32 v1, 31, v10
	v_mov_b32_e32 v2, s3
	v_add_co_u32_e32 v0, vcc, s2, v10
	v_addc_co_u32_e32 v1, vcc, v2, v1, vcc
	global_load_ubyte v0, v[0:1], off
	s_waitcnt vmcnt(0)
	v_and_b32_e32 v0, 1, v0
	v_cmp_eq_u32_e32 vcc, 1, v0
	s_xor_b64 s[2:3], vcc, -1
	s_orn2_b64 s[12:13], s[2:3], exec
	s_branch .LBB109_4
.LBB109_3:
	s_mov_b64 s[12:13], -1
.LBB109_4:
	v_lshlrev_b32_e32 v0, 1, v10
	v_ashrrev_i32_e32 v1, 31, v0
	v_lshlrev_b64 v[0:1], 1, v[0:1]
	v_mov_b32_e32 v2, s1
	v_add_co_u32_e32 v0, vcc, s0, v0
	v_addc_co_u32_e32 v1, vcc, v2, v1, vcc
	global_load_dword v1, v[0:1], off
	s_mov_b32 s2, 0x3fb8aa3b
	s_mov_b32 s3, 0xc2ce8ed0
	;; [unrolled: 1-line block ×3, first 2 shown]
	s_load_dwordx2 s[0:1], s[4:5], 0x40
	s_mov_b32 s9, 0x7f800000
	s_waitcnt lgkmcnt(0)
	s_cmp_eq_u64 s[0:1], 0
	s_waitcnt vmcnt(0)
	v_cvt_f32_f16_e32 v0, v1
	v_cvt_f32_f16_sdwa v1, v1 dst_sel:DWORD dst_unused:UNUSED_PAD src0_sel:WORD_1
	v_max_f32_e32 v2, v0, v1
	v_pk_add_f32 v[0:1], v[0:1], v[2:3] op_sel_hi:[1,0] neg_lo:[0,1] neg_hi:[0,1]
	v_mul_f32_e32 v2, 0x3fb8aa3b, v1
	v_mul_f32_e32 v3, 0x3fb8aa3b, v0
	v_fma_f32 v4, v1, s2, -v2
	v_rndne_f32_e32 v5, v2
	v_fma_f32 v6, v0, s2, -v3
	v_rndne_f32_e32 v7, v3
	v_fmac_f32_e32 v4, 0x32a5705f, v1
	v_sub_f32_e32 v2, v2, v5
	v_fmac_f32_e32 v6, 0x32a5705f, v0
	v_sub_f32_e32 v3, v3, v7
	v_add_f32_e32 v2, v2, v4
	v_cvt_i32_f32_e32 v5, v5
	v_add_f32_e32 v3, v3, v6
	v_exp_f32_e32 v2, v2
	v_cvt_i32_f32_e32 v7, v7
	v_exp_f32_e32 v3, v3
	v_cmp_ngt_f32_e32 vcc, s3, v1
	v_ldexp_f32 v2, v2, v5
	v_cndmask_b32_e32 v2, 0, v2, vcc
	v_ldexp_f32 v3, v3, v7
	v_cmp_ngt_f32_e32 vcc, s3, v0
	v_mov_b32_e32 v4, 0x7f800000
	v_cndmask_b32_e32 v3, 0, v3, vcc
	v_cmp_nlt_f32_e32 vcc, s8, v1
	v_cndmask_b32_e32 v1, v4, v2, vcc
	v_cmp_nlt_f32_e32 vcc, s8, v0
	v_cndmask_b32_e32 v0, v4, v3, vcc
	v_add_f32_e32 v2, v0, v1
	v_div_scale_f32 v3, s[2:3], v2, v2, 1.0
	v_rcp_f32_e32 v4, v3
	v_div_scale_f32 v5, vcc, 1.0, v2, 1.0
	s_movk_i32 s2, 0x1f8
	v_fma_f32 v6, -v3, v4, 1.0
	v_fmac_f32_e32 v4, v6, v4
	v_mul_f32_e32 v6, v5, v4
	v_fma_f32 v7, -v3, v6, v5
	v_fmac_f32_e32 v6, v7, v4
	v_fma_f32 v3, -v3, v6, v5
	v_div_fmas_f32 v3, v3, v4, v6
	v_div_fixup_f32 v2, v3, v2, 1.0
	v_pk_mul_f32 v[0:1], v[2:3], v[0:1] op_sel_hi:[0,1]
	v_cmp_nlg_f32_e64 vcc, |v0|, s9
	v_cndmask_b32_e32 v1, v1, v1, vcc
	v_cndmask_b32_e64 v0, v0, 0, vcc
	v_cmp_class_f32_e64 vcc, v1, s2
	v_cndmask_b32_e32 v1, 0, v1, vcc
	v_pk_mov_b32 v[2:3], v[0:1], v[0:1] op_sel:[0,1]
	s_cbranch_scc1 .LBB109_6
; %bb.5:
	s_load_dwordx2 s[0:1], s[0:1], 0x0
	s_waitcnt lgkmcnt(0)
	v_pk_add_f32 v[2:3], v[0:1], s[0:1]
.LBB109_6:
	s_load_dwordx4 s[8:11], s[4:5], 0x30
	s_waitcnt lgkmcnt(0)
	s_bitcmp1_b32 s11, 0
	s_cselect_b64 vcc, -1, 0
	s_cmp_gt_i32 s8, 0
	s_cselect_b64 s[14:15], -1, 0
	s_cmp_lt_i32 s8, 1
	s_cbranch_scc1 .LBB109_10
; %bb.7:
	s_load_dwordx4 s[20:23], s[4:5], 0x20
	v_mul_lo_u32 v6, v10, s8
	v_ashrrev_i32_e32 v7, 31, v6
	v_lshlrev_b64 v[8:9], 2, v[6:7]
	v_mov_b32_e32 v5, s7
	v_add_co_u32_e64 v4, s[0:1], s6, v8
	v_addc_co_u32_e64 v5, s[0:1], v5, v9, s[0:1]
	v_lshlrev_b64 v[6:7], 3, v[6:7]
	s_waitcnt lgkmcnt(0)
	v_mov_b32_e32 v11, s21
	v_add_co_u32_e64 v6, s[0:1], s20, v6
	v_addc_co_u32_e64 v7, s[0:1], v11, v7, s[0:1]
	v_mov_b32_e32 v11, s23
	v_add_co_u32_e64 v8, s[0:1], s22, v8
	v_addc_co_u32_e64 v9, s[0:1], v11, v9, s[0:1]
	s_mov_b32 s11, 0
	v_mov_b32_e32 v11, 0
	v_mov_b32_e32 v12, 0xc61c4000
	;; [unrolled: 1-line block ×3, first 2 shown]
.LBB109_8:                              ; =>This Inner Loop Header: Depth=1
	v_cmp_gt_f32_e64 s[0:1], v3, v2
	v_cndmask_b32_e64 v14, 0, 1, s[0:1]
	v_cmp_le_i32_e64 s[2:3], s9, v14
	v_cmp_gt_i32_e64 s[4:5], s10, v14
	s_and_b64 s[2:3], s[2:3], s[4:5]
	v_subrev_u32_e32 v14, s9, v14
	v_ashrrev_i32_e32 v15, 31, v14
	s_and_b64 s[2:3], s[12:13], s[2:3]
	v_cndmask_b32_e64 v16, v0, v1, s[0:1]
	v_cndmask_b32_e64 v15, 0, v15, s[2:3]
	;; [unrolled: 1-line block ×3, first 2 shown]
	s_add_i32 s11, s11, 1
	global_store_dword v[4:5], v16, off
	global_store_dwordx2 v[6:7], v[14:15], off
	global_store_dword v[8:9], v13, off
	v_add_f32_e32 v14, v11, v16
	s_cmp_lt_i32 s11, s8
	v_cndmask_b32_e32 v11, v11, v14, vcc
	v_cndmask_b32_e64 v14, v12, v2, s[0:1]
	v_cndmask_b32_e64 v15, v3, v12, s[0:1]
	s_cselect_b64 s[0:1], -1, 0
	v_cndmask_b32_e64 v3, v3, v15, s[0:1]
	v_cndmask_b32_e64 v2, v2, v14, s[0:1]
	v_add_co_u32_e64 v4, s[0:1], 4, v4
	v_addc_co_u32_e64 v5, s[0:1], 0, v5, s[0:1]
	v_add_co_u32_e64 v6, s[0:1], 8, v6
	v_addc_co_u32_e64 v7, s[0:1], 0, v7, s[0:1]
	v_add_co_u32_e64 v8, s[0:1], 4, v8
	v_add_u32_e32 v13, s16, v13
	s_cmp_eq_u32 s8, s11
	v_addc_co_u32_e64 v9, s[0:1], 0, v9, s[0:1]
	s_cbranch_scc0 .LBB109_8
; %bb.9:
	s_and_b64 vcc, exec, vcc
	s_cbranch_vccnz .LBB109_11
	s_branch .LBB109_19
.LBB109_10:
	v_mov_b32_e32 v11, 0
	s_and_b64 vcc, exec, vcc
	s_cbranch_vccz .LBB109_19
.LBB109_11:
	s_andn2_b64 vcc, exec, s[14:15]
	s_cbranch_vccnz .LBB109_19
; %bb.12:
	v_cmp_lt_f32_e32 vcc, 0, v11
	s_mov_b32 s2, 0
	v_cndmask_b32_e32 v0, 1.0, v11, vcc
	v_mul_lo_u32 v4, v10, s8
	s_cmp_eq_u32 s8, 1
	s_mov_b64 s[0:1], -1
	s_cbranch_scc1 .LBB109_16
; %bb.13:
	s_and_b32 s2, s8, 0x7ffffffe
	v_mov_b32_e32 v1, v0
	v_mov_b32_e32 v5, s7
	s_mov_b32 s3, s2
	v_mov_b32_e32 v2, v4
.LBB109_14:                             ; =>This Inner Loop Header: Depth=1
	v_ashrrev_i32_e32 v3, 31, v2
	v_lshlrev_b64 v[6:7], 2, v[2:3]
	v_add_co_u32_e32 v6, vcc, s6, v6
	v_addc_co_u32_e32 v7, vcc, v5, v7, vcc
	global_load_dwordx2 v[8:9], v[6:7], off
	s_add_i32 s3, s3, -2
	s_cmp_lg_u32 s3, 0
	v_add_u32_e32 v2, 2, v2
	s_waitcnt vmcnt(0)
	v_div_scale_f32 v3, s[0:1], v1, v1, v9
	v_div_scale_f32 v11, s[0:1], v0, v0, v8
	v_rcp_f32_e32 v12, v3
	v_rcp_f32_e32 v13, v11
	v_div_scale_f32 v10, vcc, v9, v1, v9
	v_fma_f32 v15, -v3, v12, 1.0
	v_fma_f32 v16, -v11, v13, 1.0
	v_fmac_f32_e32 v12, v15, v12
	v_div_scale_f32 v14, s[0:1], v8, v0, v8
	v_fmac_f32_e32 v13, v16, v13
	v_mul_f32_e32 v15, v10, v12
	v_mul_f32_e32 v16, v14, v13
	v_fma_f32 v17, -v3, v15, v10
	v_fma_f32 v18, -v11, v16, v14
	v_fmac_f32_e32 v15, v17, v12
	v_fmac_f32_e32 v16, v18, v13
	v_fma_f32 v3, -v3, v15, v10
	v_fma_f32 v10, -v11, v16, v14
	v_div_fmas_f32 v3, v3, v12, v15
	s_mov_b64 vcc, s[0:1]
	v_div_fixup_f32 v9, v3, v1, v9
	v_div_fmas_f32 v3, v10, v13, v16
	v_div_fixup_f32 v8, v3, v0, v8
	global_store_dwordx2 v[6:7], v[8:9], off
	s_cbranch_scc1 .LBB109_14
; %bb.15:
	s_cmp_lg_u32 s2, s8
	s_cselect_b64 s[0:1], -1, 0
.LBB109_16:
	s_and_b64 vcc, exec, s[0:1]
	s_cbranch_vccz .LBB109_19
; %bb.17:
	v_ashrrev_i32_e32 v1, 31, v4
	v_add_co_u32_e32 v2, vcc, s2, v4
	v_addc_co_u32_e32 v3, vcc, 0, v1, vcc
	v_lshlrev_b64 v[2:3], 2, v[2:3]
	v_mov_b32_e32 v1, s7
	v_add_co_u32_e32 v2, vcc, s6, v2
	s_sub_i32 s0, s8, s2
	v_addc_co_u32_e32 v3, vcc, v1, v3, vcc
.LBB109_18:                             ; =>This Inner Loop Header: Depth=1
	global_load_dword v1, v[2:3], off
	s_add_i32 s0, s0, -1
	s_cmp_lg_u32 s0, 0
	s_waitcnt vmcnt(0)
	v_div_scale_f32 v4, s[2:3], v0, v0, v1
	v_rcp_f32_e32 v5, v4
	v_div_scale_f32 v6, vcc, v1, v0, v1
	v_fma_f32 v7, -v4, v5, 1.0
	v_fmac_f32_e32 v5, v7, v5
	v_mul_f32_e32 v7, v6, v5
	v_fma_f32 v8, -v4, v7, v6
	v_fmac_f32_e32 v7, v8, v5
	v_fma_f32 v4, -v4, v7, v6
	v_div_fmas_f32 v4, v4, v5, v7
	v_div_fixup_f32 v1, v4, v0, v1
	global_store_dword v[2:3], v1, off
	v_add_co_u32_e32 v2, vcc, 4, v2
	v_addc_co_u32_e32 v3, vcc, 0, v3, vcc
	s_cbranch_scc1 .LBB109_18
.LBB109_19:
	s_endpgm
	.section	.rodata,"a",@progbits
	.p2align	6, 0x0
	.amdhsa_kernel _ZN4vllm3moe10topkGatingILi2ELi2ELi4ELi4ELi64El6__halfLNS0_11ScoringFuncE0EEEvPKT5_PKbPfiPT4_PiiiibPKf
		.amdhsa_group_segment_fixed_size 0
		.amdhsa_private_segment_fixed_size 0
		.amdhsa_kernarg_size 72
		.amdhsa_user_sgpr_count 6
		.amdhsa_user_sgpr_private_segment_buffer 1
		.amdhsa_user_sgpr_dispatch_ptr 0
		.amdhsa_user_sgpr_queue_ptr 0
		.amdhsa_user_sgpr_kernarg_segment_ptr 1
		.amdhsa_user_sgpr_dispatch_id 0
		.amdhsa_user_sgpr_flat_scratch_init 0
		.amdhsa_user_sgpr_kernarg_preload_length 0
		.amdhsa_user_sgpr_kernarg_preload_offset 0
		.amdhsa_user_sgpr_private_segment_size 0
		.amdhsa_uses_dynamic_stack 0
		.amdhsa_system_sgpr_private_segment_wavefront_offset 0
		.amdhsa_system_sgpr_workgroup_id_x 1
		.amdhsa_system_sgpr_workgroup_id_y 0
		.amdhsa_system_sgpr_workgroup_id_z 0
		.amdhsa_system_sgpr_workgroup_info 0
		.amdhsa_system_vgpr_workitem_id 1
		.amdhsa_next_free_vgpr 19
		.amdhsa_next_free_sgpr 24
		.amdhsa_accum_offset 20
		.amdhsa_reserve_vcc 1
		.amdhsa_reserve_flat_scratch 0
		.amdhsa_float_round_mode_32 0
		.amdhsa_float_round_mode_16_64 0
		.amdhsa_float_denorm_mode_32 3
		.amdhsa_float_denorm_mode_16_64 3
		.amdhsa_dx10_clamp 1
		.amdhsa_ieee_mode 1
		.amdhsa_fp16_overflow 0
		.amdhsa_tg_split 0
		.amdhsa_exception_fp_ieee_invalid_op 0
		.amdhsa_exception_fp_denorm_src 0
		.amdhsa_exception_fp_ieee_div_zero 0
		.amdhsa_exception_fp_ieee_overflow 0
		.amdhsa_exception_fp_ieee_underflow 0
		.amdhsa_exception_fp_ieee_inexact 0
		.amdhsa_exception_int_div_zero 0
	.end_amdhsa_kernel
	.section	.text._ZN4vllm3moe10topkGatingILi2ELi2ELi4ELi4ELi64El6__halfLNS0_11ScoringFuncE0EEEvPKT5_PKbPfiPT4_PiiiibPKf,"axG",@progbits,_ZN4vllm3moe10topkGatingILi2ELi2ELi4ELi4ELi64El6__halfLNS0_11ScoringFuncE0EEEvPKT5_PKbPfiPT4_PiiiibPKf,comdat
.Lfunc_end109:
	.size	_ZN4vllm3moe10topkGatingILi2ELi2ELi4ELi4ELi64El6__halfLNS0_11ScoringFuncE0EEEvPKT5_PKbPfiPT4_PiiiibPKf, .Lfunc_end109-_ZN4vllm3moe10topkGatingILi2ELi2ELi4ELi4ELi64El6__halfLNS0_11ScoringFuncE0EEEvPKT5_PKbPfiPT4_PiiiibPKf
                                        ; -- End function
	.section	.AMDGPU.csdata,"",@progbits
; Kernel info:
; codeLenInByte = 1368
; NumSgprs: 28
; NumVgprs: 19
; NumAgprs: 0
; TotalNumVgprs: 19
; ScratchSize: 0
; MemoryBound: 1
; FloatMode: 240
; IeeeMode: 1
; LDSByteSize: 0 bytes/workgroup (compile time only)
; SGPRBlocks: 3
; VGPRBlocks: 2
; NumSGPRsForWavesPerEU: 28
; NumVGPRsForWavesPerEU: 19
; AccumOffset: 20
; Occupancy: 8
; WaveLimiterHint : 0
; COMPUTE_PGM_RSRC2:SCRATCH_EN: 0
; COMPUTE_PGM_RSRC2:USER_SGPR: 6
; COMPUTE_PGM_RSRC2:TRAP_HANDLER: 0
; COMPUTE_PGM_RSRC2:TGID_X_EN: 1
; COMPUTE_PGM_RSRC2:TGID_Y_EN: 0
; COMPUTE_PGM_RSRC2:TGID_Z_EN: 0
; COMPUTE_PGM_RSRC2:TIDIG_COMP_CNT: 1
; COMPUTE_PGM_RSRC3_GFX90A:ACCUM_OFFSET: 4
; COMPUTE_PGM_RSRC3_GFX90A:TG_SPLIT: 0
	.section	.text._ZN4vllm3moe10topkGatingILi2ELi2ELi4ELi4ELi32El6__halfLNS0_11ScoringFuncE0EEEvPKT5_PKbPfiPT4_PiiiibPKf,"axG",@progbits,_ZN4vllm3moe10topkGatingILi2ELi2ELi4ELi4ELi32El6__halfLNS0_11ScoringFuncE0EEEvPKT5_PKbPfiPT4_PiiiibPKf,comdat
	.protected	_ZN4vllm3moe10topkGatingILi2ELi2ELi4ELi4ELi32El6__halfLNS0_11ScoringFuncE0EEEvPKT5_PKbPfiPT4_PiiiibPKf ; -- Begin function _ZN4vllm3moe10topkGatingILi2ELi2ELi4ELi4ELi32El6__halfLNS0_11ScoringFuncE0EEEvPKT5_PKbPfiPT4_PiiiibPKf
	.globl	_ZN4vllm3moe10topkGatingILi2ELi2ELi4ELi4ELi32El6__halfLNS0_11ScoringFuncE0EEEvPKT5_PKbPfiPT4_PiiiibPKf
	.p2align	8
	.type	_ZN4vllm3moe10topkGatingILi2ELi2ELi4ELi4ELi32El6__halfLNS0_11ScoringFuncE0EEEvPKT5_PKbPfiPT4_PiiiibPKf,@function
_ZN4vllm3moe10topkGatingILi2ELi2ELi4ELi4ELi32El6__halfLNS0_11ScoringFuncE0EEEvPKT5_PKbPfiPT4_PiiiibPKf: ; @_ZN4vllm3moe10topkGatingILi2ELi2ELi4ELi4ELi32El6__halfLNS0_11ScoringFuncE0EEEvPKT5_PKbPfiPT4_PiiiibPKf
; %bb.0:
	s_load_dword s16, s[4:5], 0x18
	v_bfe_u32 v1, v0, 10, 10
	s_lshl_b32 s0, s6, 7
	v_lshlrev_b32_e32 v1, 5, v1
	v_and_b32_e32 v0, 0x3ff, v0
	v_add3_u32 v10, v1, v0, s0
	s_waitcnt lgkmcnt(0)
	v_cmp_gt_i32_e32 vcc, s16, v10
	s_and_saveexec_b64 s[0:1], vcc
	s_cbranch_execz .LBB110_19
; %bb.1:
	s_load_dwordx4 s[0:3], s[4:5], 0x0
	s_load_dwordx2 s[6:7], s[4:5], 0x10
	s_waitcnt lgkmcnt(0)
	s_cmp_eq_u64 s[2:3], 0
	s_cbranch_scc1 .LBB110_3
; %bb.2:
	v_ashrrev_i32_e32 v1, 31, v10
	v_mov_b32_e32 v2, s3
	v_add_co_u32_e32 v0, vcc, s2, v10
	v_addc_co_u32_e32 v1, vcc, v2, v1, vcc
	global_load_ubyte v0, v[0:1], off
	s_waitcnt vmcnt(0)
	v_and_b32_e32 v0, 1, v0
	v_cmp_eq_u32_e32 vcc, 1, v0
	s_xor_b64 s[2:3], vcc, -1
	s_orn2_b64 s[12:13], s[2:3], exec
	s_branch .LBB110_4
.LBB110_3:
	s_mov_b64 s[12:13], -1
.LBB110_4:
	v_lshlrev_b32_e32 v0, 1, v10
	v_ashrrev_i32_e32 v1, 31, v0
	v_lshlrev_b64 v[0:1], 1, v[0:1]
	v_mov_b32_e32 v2, s1
	v_add_co_u32_e32 v0, vcc, s0, v0
	v_addc_co_u32_e32 v1, vcc, v2, v1, vcc
	global_load_dword v1, v[0:1], off
	s_mov_b32 s2, 0x3fb8aa3b
	s_mov_b32 s3, 0xc2ce8ed0
	;; [unrolled: 1-line block ×3, first 2 shown]
	s_load_dwordx2 s[0:1], s[4:5], 0x40
	s_mov_b32 s9, 0x7f800000
	s_waitcnt lgkmcnt(0)
	s_cmp_eq_u64 s[0:1], 0
	s_waitcnt vmcnt(0)
	v_cvt_f32_f16_e32 v0, v1
	v_cvt_f32_f16_sdwa v1, v1 dst_sel:DWORD dst_unused:UNUSED_PAD src0_sel:WORD_1
	v_max_f32_e32 v2, v0, v1
	v_pk_add_f32 v[0:1], v[0:1], v[2:3] op_sel_hi:[1,0] neg_lo:[0,1] neg_hi:[0,1]
	v_mul_f32_e32 v2, 0x3fb8aa3b, v1
	v_mul_f32_e32 v3, 0x3fb8aa3b, v0
	v_fma_f32 v4, v1, s2, -v2
	v_rndne_f32_e32 v5, v2
	v_fma_f32 v6, v0, s2, -v3
	v_rndne_f32_e32 v7, v3
	v_fmac_f32_e32 v4, 0x32a5705f, v1
	v_sub_f32_e32 v2, v2, v5
	v_fmac_f32_e32 v6, 0x32a5705f, v0
	v_sub_f32_e32 v3, v3, v7
	v_add_f32_e32 v2, v2, v4
	v_cvt_i32_f32_e32 v5, v5
	v_add_f32_e32 v3, v3, v6
	v_exp_f32_e32 v2, v2
	v_cvt_i32_f32_e32 v7, v7
	v_exp_f32_e32 v3, v3
	v_cmp_ngt_f32_e32 vcc, s3, v1
	v_ldexp_f32 v2, v2, v5
	v_cndmask_b32_e32 v2, 0, v2, vcc
	v_ldexp_f32 v3, v3, v7
	v_cmp_ngt_f32_e32 vcc, s3, v0
	v_mov_b32_e32 v4, 0x7f800000
	v_cndmask_b32_e32 v3, 0, v3, vcc
	v_cmp_nlt_f32_e32 vcc, s8, v1
	v_cndmask_b32_e32 v1, v4, v2, vcc
	v_cmp_nlt_f32_e32 vcc, s8, v0
	v_cndmask_b32_e32 v0, v4, v3, vcc
	v_add_f32_e32 v2, v0, v1
	v_div_scale_f32 v3, s[2:3], v2, v2, 1.0
	v_rcp_f32_e32 v4, v3
	v_div_scale_f32 v5, vcc, 1.0, v2, 1.0
	s_movk_i32 s2, 0x1f8
	v_fma_f32 v6, -v3, v4, 1.0
	v_fmac_f32_e32 v4, v6, v4
	v_mul_f32_e32 v6, v5, v4
	v_fma_f32 v7, -v3, v6, v5
	v_fmac_f32_e32 v6, v7, v4
	v_fma_f32 v3, -v3, v6, v5
	v_div_fmas_f32 v3, v3, v4, v6
	v_div_fixup_f32 v2, v3, v2, 1.0
	v_pk_mul_f32 v[0:1], v[2:3], v[0:1] op_sel_hi:[0,1]
	v_cmp_nlg_f32_e64 vcc, |v0|, s9
	v_cndmask_b32_e32 v1, v1, v1, vcc
	v_cndmask_b32_e64 v0, v0, 0, vcc
	v_cmp_class_f32_e64 vcc, v1, s2
	v_cndmask_b32_e32 v1, 0, v1, vcc
	v_pk_mov_b32 v[2:3], v[0:1], v[0:1] op_sel:[0,1]
	s_cbranch_scc1 .LBB110_6
; %bb.5:
	s_load_dwordx2 s[0:1], s[0:1], 0x0
	s_waitcnt lgkmcnt(0)
	v_pk_add_f32 v[2:3], v[0:1], s[0:1]
.LBB110_6:
	s_load_dwordx4 s[8:11], s[4:5], 0x30
	s_waitcnt lgkmcnt(0)
	s_bitcmp1_b32 s11, 0
	s_cselect_b64 vcc, -1, 0
	s_cmp_gt_i32 s8, 0
	s_cselect_b64 s[14:15], -1, 0
	s_cmp_lt_i32 s8, 1
	s_cbranch_scc1 .LBB110_10
; %bb.7:
	s_load_dwordx4 s[20:23], s[4:5], 0x20
	v_mul_lo_u32 v6, v10, s8
	v_ashrrev_i32_e32 v7, 31, v6
	v_lshlrev_b64 v[8:9], 2, v[6:7]
	v_mov_b32_e32 v5, s7
	v_add_co_u32_e64 v4, s[0:1], s6, v8
	v_addc_co_u32_e64 v5, s[0:1], v5, v9, s[0:1]
	v_lshlrev_b64 v[6:7], 3, v[6:7]
	s_waitcnt lgkmcnt(0)
	v_mov_b32_e32 v11, s21
	v_add_co_u32_e64 v6, s[0:1], s20, v6
	v_addc_co_u32_e64 v7, s[0:1], v11, v7, s[0:1]
	v_mov_b32_e32 v11, s23
	v_add_co_u32_e64 v8, s[0:1], s22, v8
	v_addc_co_u32_e64 v9, s[0:1], v11, v9, s[0:1]
	s_mov_b32 s11, 0
	v_mov_b32_e32 v11, 0
	v_mov_b32_e32 v12, 0xc61c4000
	;; [unrolled: 1-line block ×3, first 2 shown]
.LBB110_8:                              ; =>This Inner Loop Header: Depth=1
	v_cmp_gt_f32_e64 s[0:1], v3, v2
	v_cndmask_b32_e64 v14, 0, 1, s[0:1]
	v_cmp_le_i32_e64 s[2:3], s9, v14
	v_cmp_gt_i32_e64 s[4:5], s10, v14
	s_and_b64 s[2:3], s[2:3], s[4:5]
	v_subrev_u32_e32 v14, s9, v14
	v_ashrrev_i32_e32 v15, 31, v14
	s_and_b64 s[2:3], s[12:13], s[2:3]
	v_cndmask_b32_e64 v16, v0, v1, s[0:1]
	v_cndmask_b32_e64 v15, 0, v15, s[2:3]
	;; [unrolled: 1-line block ×3, first 2 shown]
	s_add_i32 s11, s11, 1
	global_store_dword v[4:5], v16, off
	global_store_dwordx2 v[6:7], v[14:15], off
	global_store_dword v[8:9], v13, off
	v_add_f32_e32 v14, v11, v16
	s_cmp_lt_i32 s11, s8
	v_cndmask_b32_e32 v11, v11, v14, vcc
	v_cndmask_b32_e64 v14, v12, v2, s[0:1]
	v_cndmask_b32_e64 v15, v3, v12, s[0:1]
	s_cselect_b64 s[0:1], -1, 0
	v_cndmask_b32_e64 v3, v3, v15, s[0:1]
	v_cndmask_b32_e64 v2, v2, v14, s[0:1]
	v_add_co_u32_e64 v4, s[0:1], 4, v4
	v_addc_co_u32_e64 v5, s[0:1], 0, v5, s[0:1]
	v_add_co_u32_e64 v6, s[0:1], 8, v6
	v_addc_co_u32_e64 v7, s[0:1], 0, v7, s[0:1]
	v_add_co_u32_e64 v8, s[0:1], 4, v8
	v_add_u32_e32 v13, s16, v13
	s_cmp_eq_u32 s8, s11
	v_addc_co_u32_e64 v9, s[0:1], 0, v9, s[0:1]
	s_cbranch_scc0 .LBB110_8
; %bb.9:
	s_and_b64 vcc, exec, vcc
	s_cbranch_vccnz .LBB110_11
	s_branch .LBB110_19
.LBB110_10:
	v_mov_b32_e32 v11, 0
	s_and_b64 vcc, exec, vcc
	s_cbranch_vccz .LBB110_19
.LBB110_11:
	s_andn2_b64 vcc, exec, s[14:15]
	s_cbranch_vccnz .LBB110_19
; %bb.12:
	v_cmp_lt_f32_e32 vcc, 0, v11
	s_mov_b32 s2, 0
	v_cndmask_b32_e32 v0, 1.0, v11, vcc
	v_mul_lo_u32 v4, v10, s8
	s_cmp_eq_u32 s8, 1
	s_mov_b64 s[0:1], -1
	s_cbranch_scc1 .LBB110_16
; %bb.13:
	s_and_b32 s2, s8, 0x7ffffffe
	v_mov_b32_e32 v1, v0
	v_mov_b32_e32 v5, s7
	s_mov_b32 s3, s2
	v_mov_b32_e32 v2, v4
.LBB110_14:                             ; =>This Inner Loop Header: Depth=1
	v_ashrrev_i32_e32 v3, 31, v2
	v_lshlrev_b64 v[6:7], 2, v[2:3]
	v_add_co_u32_e32 v6, vcc, s6, v6
	v_addc_co_u32_e32 v7, vcc, v5, v7, vcc
	global_load_dwordx2 v[8:9], v[6:7], off
	s_add_i32 s3, s3, -2
	s_cmp_lg_u32 s3, 0
	v_add_u32_e32 v2, 2, v2
	s_waitcnt vmcnt(0)
	v_div_scale_f32 v3, s[0:1], v1, v1, v9
	v_div_scale_f32 v11, s[0:1], v0, v0, v8
	v_rcp_f32_e32 v12, v3
	v_rcp_f32_e32 v13, v11
	v_div_scale_f32 v10, vcc, v9, v1, v9
	v_fma_f32 v15, -v3, v12, 1.0
	v_fma_f32 v16, -v11, v13, 1.0
	v_fmac_f32_e32 v12, v15, v12
	v_div_scale_f32 v14, s[0:1], v8, v0, v8
	v_fmac_f32_e32 v13, v16, v13
	v_mul_f32_e32 v15, v10, v12
	v_mul_f32_e32 v16, v14, v13
	v_fma_f32 v17, -v3, v15, v10
	v_fma_f32 v18, -v11, v16, v14
	v_fmac_f32_e32 v15, v17, v12
	v_fmac_f32_e32 v16, v18, v13
	v_fma_f32 v3, -v3, v15, v10
	v_fma_f32 v10, -v11, v16, v14
	v_div_fmas_f32 v3, v3, v12, v15
	s_mov_b64 vcc, s[0:1]
	v_div_fixup_f32 v9, v3, v1, v9
	v_div_fmas_f32 v3, v10, v13, v16
	v_div_fixup_f32 v8, v3, v0, v8
	global_store_dwordx2 v[6:7], v[8:9], off
	s_cbranch_scc1 .LBB110_14
; %bb.15:
	s_cmp_lg_u32 s2, s8
	s_cselect_b64 s[0:1], -1, 0
.LBB110_16:
	s_and_b64 vcc, exec, s[0:1]
	s_cbranch_vccz .LBB110_19
; %bb.17:
	v_ashrrev_i32_e32 v1, 31, v4
	v_add_co_u32_e32 v2, vcc, s2, v4
	v_addc_co_u32_e32 v3, vcc, 0, v1, vcc
	v_lshlrev_b64 v[2:3], 2, v[2:3]
	v_mov_b32_e32 v1, s7
	v_add_co_u32_e32 v2, vcc, s6, v2
	s_sub_i32 s0, s8, s2
	v_addc_co_u32_e32 v3, vcc, v1, v3, vcc
.LBB110_18:                             ; =>This Inner Loop Header: Depth=1
	global_load_dword v1, v[2:3], off
	s_add_i32 s0, s0, -1
	s_cmp_lg_u32 s0, 0
	s_waitcnt vmcnt(0)
	v_div_scale_f32 v4, s[2:3], v0, v0, v1
	v_rcp_f32_e32 v5, v4
	v_div_scale_f32 v6, vcc, v1, v0, v1
	v_fma_f32 v7, -v4, v5, 1.0
	v_fmac_f32_e32 v5, v7, v5
	v_mul_f32_e32 v7, v6, v5
	v_fma_f32 v8, -v4, v7, v6
	v_fmac_f32_e32 v7, v8, v5
	v_fma_f32 v4, -v4, v7, v6
	v_div_fmas_f32 v4, v4, v5, v7
	v_div_fixup_f32 v1, v4, v0, v1
	global_store_dword v[2:3], v1, off
	v_add_co_u32_e32 v2, vcc, 4, v2
	v_addc_co_u32_e32 v3, vcc, 0, v3, vcc
	s_cbranch_scc1 .LBB110_18
.LBB110_19:
	s_endpgm
	.section	.rodata,"a",@progbits
	.p2align	6, 0x0
	.amdhsa_kernel _ZN4vllm3moe10topkGatingILi2ELi2ELi4ELi4ELi32El6__halfLNS0_11ScoringFuncE0EEEvPKT5_PKbPfiPT4_PiiiibPKf
		.amdhsa_group_segment_fixed_size 0
		.amdhsa_private_segment_fixed_size 0
		.amdhsa_kernarg_size 72
		.amdhsa_user_sgpr_count 6
		.amdhsa_user_sgpr_private_segment_buffer 1
		.amdhsa_user_sgpr_dispatch_ptr 0
		.amdhsa_user_sgpr_queue_ptr 0
		.amdhsa_user_sgpr_kernarg_segment_ptr 1
		.amdhsa_user_sgpr_dispatch_id 0
		.amdhsa_user_sgpr_flat_scratch_init 0
		.amdhsa_user_sgpr_kernarg_preload_length 0
		.amdhsa_user_sgpr_kernarg_preload_offset 0
		.amdhsa_user_sgpr_private_segment_size 0
		.amdhsa_uses_dynamic_stack 0
		.amdhsa_system_sgpr_private_segment_wavefront_offset 0
		.amdhsa_system_sgpr_workgroup_id_x 1
		.amdhsa_system_sgpr_workgroup_id_y 0
		.amdhsa_system_sgpr_workgroup_id_z 0
		.amdhsa_system_sgpr_workgroup_info 0
		.amdhsa_system_vgpr_workitem_id 1
		.amdhsa_next_free_vgpr 19
		.amdhsa_next_free_sgpr 24
		.amdhsa_accum_offset 20
		.amdhsa_reserve_vcc 1
		.amdhsa_reserve_flat_scratch 0
		.amdhsa_float_round_mode_32 0
		.amdhsa_float_round_mode_16_64 0
		.amdhsa_float_denorm_mode_32 3
		.amdhsa_float_denorm_mode_16_64 3
		.amdhsa_dx10_clamp 1
		.amdhsa_ieee_mode 1
		.amdhsa_fp16_overflow 0
		.amdhsa_tg_split 0
		.amdhsa_exception_fp_ieee_invalid_op 0
		.amdhsa_exception_fp_denorm_src 0
		.amdhsa_exception_fp_ieee_div_zero 0
		.amdhsa_exception_fp_ieee_overflow 0
		.amdhsa_exception_fp_ieee_underflow 0
		.amdhsa_exception_fp_ieee_inexact 0
		.amdhsa_exception_int_div_zero 0
	.end_amdhsa_kernel
	.section	.text._ZN4vllm3moe10topkGatingILi2ELi2ELi4ELi4ELi32El6__halfLNS0_11ScoringFuncE0EEEvPKT5_PKbPfiPT4_PiiiibPKf,"axG",@progbits,_ZN4vllm3moe10topkGatingILi2ELi2ELi4ELi4ELi32El6__halfLNS0_11ScoringFuncE0EEEvPKT5_PKbPfiPT4_PiiiibPKf,comdat
.Lfunc_end110:
	.size	_ZN4vllm3moe10topkGatingILi2ELi2ELi4ELi4ELi32El6__halfLNS0_11ScoringFuncE0EEEvPKT5_PKbPfiPT4_PiiiibPKf, .Lfunc_end110-_ZN4vllm3moe10topkGatingILi2ELi2ELi4ELi4ELi32El6__halfLNS0_11ScoringFuncE0EEEvPKT5_PKbPfiPT4_PiiiibPKf
                                        ; -- End function
	.section	.AMDGPU.csdata,"",@progbits
; Kernel info:
; codeLenInByte = 1368
; NumSgprs: 28
; NumVgprs: 19
; NumAgprs: 0
; TotalNumVgprs: 19
; ScratchSize: 0
; MemoryBound: 1
; FloatMode: 240
; IeeeMode: 1
; LDSByteSize: 0 bytes/workgroup (compile time only)
; SGPRBlocks: 3
; VGPRBlocks: 2
; NumSGPRsForWavesPerEU: 28
; NumVGPRsForWavesPerEU: 19
; AccumOffset: 20
; Occupancy: 8
; WaveLimiterHint : 0
; COMPUTE_PGM_RSRC2:SCRATCH_EN: 0
; COMPUTE_PGM_RSRC2:USER_SGPR: 6
; COMPUTE_PGM_RSRC2:TRAP_HANDLER: 0
; COMPUTE_PGM_RSRC2:TGID_X_EN: 1
; COMPUTE_PGM_RSRC2:TGID_Y_EN: 0
; COMPUTE_PGM_RSRC2:TGID_Z_EN: 0
; COMPUTE_PGM_RSRC2:TIDIG_COMP_CNT: 1
; COMPUTE_PGM_RSRC3_GFX90A:ACCUM_OFFSET: 4
; COMPUTE_PGM_RSRC3_GFX90A:TG_SPLIT: 0
	.section	.text._ZN4vllm3moe10topkGatingILi4ELi4ELi4ELi8ELi64El6__halfLNS0_11ScoringFuncE0EEEvPKT5_PKbPfiPT4_PiiiibPKf,"axG",@progbits,_ZN4vllm3moe10topkGatingILi4ELi4ELi4ELi8ELi64El6__halfLNS0_11ScoringFuncE0EEEvPKT5_PKbPfiPT4_PiiiibPKf,comdat
	.protected	_ZN4vllm3moe10topkGatingILi4ELi4ELi4ELi8ELi64El6__halfLNS0_11ScoringFuncE0EEEvPKT5_PKbPfiPT4_PiiiibPKf ; -- Begin function _ZN4vllm3moe10topkGatingILi4ELi4ELi4ELi8ELi64El6__halfLNS0_11ScoringFuncE0EEEvPKT5_PKbPfiPT4_PiiiibPKf
	.globl	_ZN4vllm3moe10topkGatingILi4ELi4ELi4ELi8ELi64El6__halfLNS0_11ScoringFuncE0EEEvPKT5_PKbPfiPT4_PiiiibPKf
	.p2align	8
	.type	_ZN4vllm3moe10topkGatingILi4ELi4ELi4ELi8ELi64El6__halfLNS0_11ScoringFuncE0EEEvPKT5_PKbPfiPT4_PiiiibPKf,@function
_ZN4vllm3moe10topkGatingILi4ELi4ELi4ELi8ELi64El6__halfLNS0_11ScoringFuncE0EEEvPKT5_PKbPfiPT4_PiiiibPKf: ; @_ZN4vllm3moe10topkGatingILi4ELi4ELi4ELi8ELi64El6__halfLNS0_11ScoringFuncE0EEEvPKT5_PKbPfiPT4_PiiiibPKf
; %bb.0:
	s_load_dword s16, s[4:5], 0x18
	v_bfe_u32 v1, v0, 10, 10
	s_lshl_b32 s0, s6, 8
	v_lshlrev_b32_e32 v1, 6, v1
	v_and_b32_e32 v0, 0x3ff, v0
	v_add3_u32 v14, v1, v0, s0
	s_waitcnt lgkmcnt(0)
	v_cmp_gt_i32_e32 vcc, s16, v14
	s_and_saveexec_b64 s[0:1], vcc
	s_cbranch_execz .LBB111_20
; %bb.1:
	s_load_dwordx4 s[0:3], s[4:5], 0x0
	s_load_dwordx2 s[6:7], s[4:5], 0x10
	s_mov_b64 s[8:9], -1
	s_mov_b64 s[12:13], -1
	s_waitcnt lgkmcnt(0)
	s_cmp_eq_u64 s[2:3], 0
	s_cbranch_scc1 .LBB111_3
; %bb.2:
	v_ashrrev_i32_e32 v1, 31, v14
	v_mov_b32_e32 v2, s3
	v_add_co_u32_e32 v0, vcc, s2, v14
	v_addc_co_u32_e32 v1, vcc, v2, v1, vcc
	global_load_ubyte v0, v[0:1], off
	s_waitcnt vmcnt(0)
	v_and_b32_e32 v0, 1, v0
	v_cmp_eq_u32_e32 vcc, 1, v0
	s_xor_b64 s[2:3], vcc, -1
	s_orn2_b64 s[12:13], s[2:3], exec
.LBB111_3:
	v_lshlrev_b32_e32 v0, 2, v14
	v_ashrrev_i32_e32 v1, 31, v0
	v_lshlrev_b64 v[0:1], 1, v[0:1]
	v_mov_b32_e32 v2, s1
	v_add_co_u32_e32 v0, vcc, s0, v0
	v_addc_co_u32_e32 v1, vcc, v2, v1, vcc
	global_load_dwordx2 v[0:1], v[0:1], off
	v_mov_b32_e32 v5, 0x7f800000
	s_mov_b32 s2, 0x3fb8aa3b
	s_mov_b32 s3, 0xc2ce8ed0
	;; [unrolled: 1-line block ×3, first 2 shown]
	s_load_dwordx2 s[0:1], s[4:5], 0x40
	v_mov_b32_e32 v6, 0x207
	s_waitcnt lgkmcnt(0)
	s_cmp_eq_u64 s[0:1], 0
	s_waitcnt vmcnt(0)
	v_cvt_f32_f16_e32 v2, v0
	v_cvt_f32_f16_sdwa v3, v0 dst_sel:DWORD dst_unused:UNUSED_PAD src0_sel:WORD_1
	v_cvt_f32_f16_e32 v0, v1
	v_cvt_f32_f16_sdwa v1, v1 dst_sel:DWORD dst_unused:UNUSED_PAD src0_sel:WORD_1
	v_max_f32_e32 v4, v2, v3
	v_max3_f32 v4, v4, v0, v1
	v_pk_add_f32 v[2:3], v[2:3], v[4:5] op_sel_hi:[1,0] neg_lo:[0,1] neg_hi:[0,1]
	v_pk_add_f32 v[0:1], v[0:1], v[4:5] op_sel_hi:[1,0] neg_lo:[0,1] neg_hi:[0,1]
	v_mul_f32_e32 v4, 0x3fb8aa3b, v3
	v_mul_f32_e32 v7, 0x3fb8aa3b, v2
	v_fma_f32 v10, v3, s2, -v4
	v_rndne_f32_e32 v11, v4
	v_mul_f32_e32 v8, 0x3fb8aa3b, v1
	v_fma_f32 v12, v2, s2, -v7
	v_rndne_f32_e32 v13, v7
	v_fmac_f32_e32 v10, 0x32a5705f, v3
	v_sub_f32_e32 v4, v4, v11
	v_mul_f32_e32 v9, 0x3fb8aa3b, v0
	v_fma_f32 v15, v1, s2, -v8
	v_rndne_f32_e32 v16, v8
	v_fmac_f32_e32 v12, 0x32a5705f, v2
	v_sub_f32_e32 v7, v7, v13
	v_add_f32_e32 v4, v4, v10
	v_fma_f32 v17, v0, s2, -v9
	v_rndne_f32_e32 v18, v9
	v_cvt_i32_f32_e32 v11, v11
	v_fmac_f32_e32 v15, 0x32a5705f, v1
	v_sub_f32_e32 v8, v8, v16
	v_add_f32_e32 v7, v7, v12
	v_exp_f32_e32 v4, v4
	v_cvt_i32_f32_e32 v13, v13
	v_fmac_f32_e32 v17, 0x32a5705f, v0
	v_sub_f32_e32 v9, v9, v18
	v_add_f32_e32 v8, v8, v15
	v_exp_f32_e32 v7, v7
	v_cvt_i32_f32_e32 v16, v16
	v_add_f32_e32 v9, v9, v17
	v_exp_f32_e32 v8, v8
	v_cvt_i32_f32_e32 v18, v18
	v_exp_f32_e32 v9, v9
	v_ldexp_f32 v4, v4, v11
	v_cmp_ngt_f32_e32 vcc, s3, v3
	v_ldexp_f32 v7, v7, v13
	v_cndmask_b32_e32 v4, 0, v4, vcc
	v_cmp_ngt_f32_e32 vcc, s3, v2
	v_ldexp_f32 v8, v8, v16
	v_cndmask_b32_e32 v7, 0, v7, vcc
	;; [unrolled: 3-line block ×3, first 2 shown]
	v_cmp_ngt_f32_e32 vcc, s3, v0
	v_cndmask_b32_e32 v9, 0, v9, vcc
	v_cmp_nlt_f32_e32 vcc, s10, v3
	v_cndmask_b32_e32 v3, v5, v4, vcc
	v_cmp_nlt_f32_e32 vcc, s10, v2
	;; [unrolled: 2-line block ×4, first 2 shown]
	v_cndmask_b32_e32 v0, v5, v9, vcc
	v_add_f32_e32 v4, v2, v3
	v_add_f32_e32 v4, v4, v0
	;; [unrolled: 1-line block ×3, first 2 shown]
	v_div_scale_f32 v5, s[2:3], v4, v4, 1.0
	v_rcp_f32_e32 v7, v5
	v_div_scale_f32 v8, vcc, 1.0, v4, 1.0
	v_fma_f32 v9, -v5, v7, 1.0
	v_fmac_f32_e32 v7, v9, v7
	v_mul_f32_e32 v9, v8, v7
	v_fma_f32 v10, -v5, v9, v8
	v_fmac_f32_e32 v9, v10, v7
	v_fma_f32 v5, -v5, v9, v8
	v_div_fmas_f32 v5, v5, v7, v9
	v_div_fixup_f32 v4, v5, v4, 1.0
	v_pk_mul_f32 v[2:3], v[4:5], v[2:3] op_sel_hi:[0,1]
	v_cmp_class_f32_e32 vcc, v3, v6
	v_pk_mul_f32 v[4:5], v[4:5], v[0:1] op_sel_hi:[0,1]
	v_cndmask_b32_e64 v1, v3, 0, vcc
	v_cmp_class_f32_e32 vcc, v2, v6
	v_cndmask_b32_e64 v0, v2, 0, vcc
	v_cmp_class_f32_e32 vcc, v5, v6
	;; [unrolled: 2-line block ×3, first 2 shown]
	v_cndmask_b32_e64 v2, v4, 0, vcc
	s_cbranch_scc1 .LBB111_10
; %bb.4:
	s_load_dwordx4 s[0:3], s[0:1], 0x0
	s_waitcnt lgkmcnt(0)
	v_pk_add_f32 v[4:5], s[0:1], v[0:1]
	v_pk_add_f32 v[6:7], s[2:3], v[2:3]
	s_cbranch_execnz .LBB111_6
.LBB111_5:
	v_pk_mov_b32 v[6:7], v[2:3], v[2:3] op_sel:[0,1]
	v_pk_mov_b32 v[4:5], v[0:1], v[0:1] op_sel:[0,1]
.LBB111_6:
	s_load_dwordx4 s[8:11], s[4:5], 0x30
	s_waitcnt lgkmcnt(0)
	s_bitcmp1_b32 s11, 0
	s_cselect_b64 vcc, -1, 0
	s_cmp_gt_i32 s8, 0
	s_cselect_b64 s[14:15], -1, 0
	s_cmp_lt_i32 s8, 1
	s_mov_b32 s11, 0
	s_cbranch_scc1 .LBB111_11
; %bb.7:
	s_load_dwordx4 s[20:23], s[4:5], 0x20
	v_mul_lo_u32 v10, v14, s8
	v_ashrrev_i32_e32 v11, 31, v10
	v_lshlrev_b64 v[12:13], 2, v[10:11]
	v_mov_b32_e32 v9, s7
	v_add_co_u32_e64 v8, s[0:1], s6, v12
	v_addc_co_u32_e64 v9, s[0:1], v9, v13, s[0:1]
	v_lshlrev_b64 v[10:11], 3, v[10:11]
	s_waitcnt lgkmcnt(0)
	v_mov_b32_e32 v15, s21
	v_add_co_u32_e64 v10, s[0:1], s20, v10
	v_addc_co_u32_e64 v11, s[0:1], v15, v11, s[0:1]
	v_mov_b32_e32 v15, s23
	v_add_co_u32_e64 v12, s[0:1], s22, v12
	v_addc_co_u32_e64 v13, s[0:1], v15, v13, s[0:1]
	v_mov_b32_e32 v15, 0
	v_mov_b32_e32 v16, 0xc61c4000
	;; [unrolled: 1-line block ×3, first 2 shown]
.LBB111_8:                              ; =>This Inner Loop Header: Depth=1
	v_cmp_gt_f32_e64 s[0:1], v5, v4
	v_cndmask_b32_e64 v18, v4, v5, s[0:1]
	v_cndmask_b32_e64 v19, v0, v1, s[0:1]
	;; [unrolled: 1-line block ×3, first 2 shown]
	v_cmp_gt_f32_e64 s[0:1], v6, v18
	v_cndmask_b32_e64 v18, v18, v6, s[0:1]
	v_cndmask_b32_e64 v19, v19, v2, s[0:1]
	;; [unrolled: 1-line block ×3, first 2 shown]
	v_cmp_gt_f32_e64 s[0:1], v7, v18
	v_cndmask_b32_e64 v20, v20, 3, s[0:1]
	v_cndmask_b32_e64 v21, v19, v3, s[0:1]
	v_cmp_le_i32_e64 s[0:1], s9, v20
	v_cmp_gt_i32_e64 s[2:3], s10, v20
	s_and_b64 s[0:1], s[0:1], s[2:3]
	v_subrev_u32_e32 v18, s9, v20
	v_ashrrev_i32_e32 v19, 31, v18
	s_and_b64 s[0:1], s[12:13], s[0:1]
	v_cndmask_b32_e64 v19, 0, v19, s[0:1]
	v_cndmask_b32_e64 v18, 4, v18, s[0:1]
	global_store_dword v[8:9], v21, off
	global_store_dwordx2 v[10:11], v[18:19], off
	global_store_dword v[12:13], v17, off
	v_add_f32_e32 v18, v15, v21
	v_cmp_ne_u32_e64 s[0:1], 0, v20
	v_cndmask_b32_e32 v15, v15, v18, vcc
	v_cndmask_b32_e64 v18, v16, v4, s[0:1]
	v_cmp_ne_u32_e64 s[0:1], 1, v20
	s_add_i32 s11, s11, 1
	v_cndmask_b32_e64 v19, v16, v5, s[0:1]
	v_cmp_ne_u32_e64 s[0:1], 2, v20
	s_cmp_lt_i32 s11, s8
	v_cndmask_b32_e64 v21, v16, v6, s[0:1]
	v_cmp_ne_u32_e64 s[0:1], 3, v20
	v_cndmask_b32_e64 v20, v16, v7, s[0:1]
	s_cselect_b64 s[0:1], -1, 0
	v_cndmask_b32_e64 v7, v7, v20, s[0:1]
	v_cndmask_b32_e64 v6, v6, v21, s[0:1]
	v_cndmask_b32_e64 v5, v5, v19, s[0:1]
	v_cndmask_b32_e64 v4, v4, v18, s[0:1]
	v_add_co_u32_e64 v8, s[0:1], 4, v8
	v_addc_co_u32_e64 v9, s[0:1], 0, v9, s[0:1]
	v_add_co_u32_e64 v10, s[0:1], 8, v10
	v_addc_co_u32_e64 v11, s[0:1], 0, v11, s[0:1]
	v_add_co_u32_e64 v12, s[0:1], 4, v12
	v_add_u32_e32 v17, s16, v17
	s_cmp_eq_u32 s8, s11
	v_addc_co_u32_e64 v13, s[0:1], 0, v13, s[0:1]
	s_cbranch_scc0 .LBB111_8
; %bb.9:
	s_and_b64 vcc, exec, vcc
	s_cbranch_vccnz .LBB111_12
	s_branch .LBB111_20
.LBB111_10:
                                        ; implicit-def: $vgpr4_vgpr5_vgpr6_vgpr7
	s_andn2_b64 vcc, exec, s[8:9]
	s_cbranch_vccz .LBB111_5
	s_branch .LBB111_6
.LBB111_11:
	v_mov_b32_e32 v15, 0
	s_and_b64 vcc, exec, vcc
	s_cbranch_vccz .LBB111_20
.LBB111_12:
	s_andn2_b64 vcc, exec, s[14:15]
	s_cbranch_vccnz .LBB111_20
; %bb.13:
	v_cmp_lt_f32_e32 vcc, 0, v15
	s_mov_b32 s2, 0
	v_cndmask_b32_e32 v0, 1.0, v15, vcc
	v_mul_lo_u32 v4, v14, s8
	s_cmp_eq_u32 s8, 1
	s_mov_b64 s[0:1], -1
	s_cbranch_scc1 .LBB111_17
; %bb.14:
	s_and_b32 s2, s8, 0x7ffffffe
	v_mov_b32_e32 v1, v0
	v_mov_b32_e32 v5, s7
	s_mov_b32 s3, s2
	v_mov_b32_e32 v2, v4
.LBB111_15:                             ; =>This Inner Loop Header: Depth=1
	v_ashrrev_i32_e32 v3, 31, v2
	v_lshlrev_b64 v[6:7], 2, v[2:3]
	v_add_co_u32_e32 v6, vcc, s6, v6
	v_addc_co_u32_e32 v7, vcc, v5, v7, vcc
	global_load_dwordx2 v[8:9], v[6:7], off
	s_add_i32 s3, s3, -2
	s_cmp_lg_u32 s3, 0
	v_add_u32_e32 v2, 2, v2
	s_waitcnt vmcnt(0)
	v_div_scale_f32 v3, s[0:1], v1, v1, v9
	v_div_scale_f32 v11, s[0:1], v0, v0, v8
	v_rcp_f32_e32 v12, v3
	v_rcp_f32_e32 v13, v11
	v_div_scale_f32 v10, vcc, v9, v1, v9
	v_fma_f32 v15, -v3, v12, 1.0
	v_fma_f32 v16, -v11, v13, 1.0
	v_fmac_f32_e32 v12, v15, v12
	v_div_scale_f32 v14, s[0:1], v8, v0, v8
	v_fmac_f32_e32 v13, v16, v13
	v_mul_f32_e32 v15, v10, v12
	v_mul_f32_e32 v16, v14, v13
	v_fma_f32 v17, -v3, v15, v10
	v_fma_f32 v18, -v11, v16, v14
	v_fmac_f32_e32 v15, v17, v12
	v_fmac_f32_e32 v16, v18, v13
	v_fma_f32 v3, -v3, v15, v10
	v_fma_f32 v10, -v11, v16, v14
	v_div_fmas_f32 v3, v3, v12, v15
	s_mov_b64 vcc, s[0:1]
	v_div_fixup_f32 v9, v3, v1, v9
	v_div_fmas_f32 v3, v10, v13, v16
	v_div_fixup_f32 v8, v3, v0, v8
	global_store_dwordx2 v[6:7], v[8:9], off
	s_cbranch_scc1 .LBB111_15
; %bb.16:
	s_cmp_lg_u32 s2, s8
	s_cselect_b64 s[0:1], -1, 0
.LBB111_17:
	s_and_b64 vcc, exec, s[0:1]
	s_cbranch_vccz .LBB111_20
; %bb.18:
	v_ashrrev_i32_e32 v1, 31, v4
	v_add_co_u32_e32 v2, vcc, s2, v4
	v_addc_co_u32_e32 v3, vcc, 0, v1, vcc
	v_lshlrev_b64 v[2:3], 2, v[2:3]
	v_mov_b32_e32 v1, s7
	v_add_co_u32_e32 v2, vcc, s6, v2
	s_sub_i32 s0, s8, s2
	v_addc_co_u32_e32 v3, vcc, v1, v3, vcc
.LBB111_19:                             ; =>This Inner Loop Header: Depth=1
	global_load_dword v1, v[2:3], off
	s_add_i32 s0, s0, -1
	s_cmp_lg_u32 s0, 0
	s_waitcnt vmcnt(0)
	v_div_scale_f32 v4, s[2:3], v0, v0, v1
	v_rcp_f32_e32 v5, v4
	v_div_scale_f32 v6, vcc, v1, v0, v1
	v_fma_f32 v7, -v4, v5, 1.0
	v_fmac_f32_e32 v5, v7, v5
	v_mul_f32_e32 v7, v6, v5
	v_fma_f32 v8, -v4, v7, v6
	v_fmac_f32_e32 v7, v8, v5
	v_fma_f32 v4, -v4, v7, v6
	v_div_fmas_f32 v4, v4, v5, v7
	v_div_fixup_f32 v1, v4, v0, v1
	global_store_dword v[2:3], v1, off
	v_add_co_u32_e32 v2, vcc, 4, v2
	v_addc_co_u32_e32 v3, vcc, 0, v3, vcc
	s_cbranch_scc1 .LBB111_19
.LBB111_20:
	s_endpgm
	.section	.rodata,"a",@progbits
	.p2align	6, 0x0
	.amdhsa_kernel _ZN4vllm3moe10topkGatingILi4ELi4ELi4ELi8ELi64El6__halfLNS0_11ScoringFuncE0EEEvPKT5_PKbPfiPT4_PiiiibPKf
		.amdhsa_group_segment_fixed_size 0
		.amdhsa_private_segment_fixed_size 0
		.amdhsa_kernarg_size 72
		.amdhsa_user_sgpr_count 6
		.amdhsa_user_sgpr_private_segment_buffer 1
		.amdhsa_user_sgpr_dispatch_ptr 0
		.amdhsa_user_sgpr_queue_ptr 0
		.amdhsa_user_sgpr_kernarg_segment_ptr 1
		.amdhsa_user_sgpr_dispatch_id 0
		.amdhsa_user_sgpr_flat_scratch_init 0
		.amdhsa_user_sgpr_kernarg_preload_length 0
		.amdhsa_user_sgpr_kernarg_preload_offset 0
		.amdhsa_user_sgpr_private_segment_size 0
		.amdhsa_uses_dynamic_stack 0
		.amdhsa_system_sgpr_private_segment_wavefront_offset 0
		.amdhsa_system_sgpr_workgroup_id_x 1
		.amdhsa_system_sgpr_workgroup_id_y 0
		.amdhsa_system_sgpr_workgroup_id_z 0
		.amdhsa_system_sgpr_workgroup_info 0
		.amdhsa_system_vgpr_workitem_id 1
		.amdhsa_next_free_vgpr 22
		.amdhsa_next_free_sgpr 24
		.amdhsa_accum_offset 24
		.amdhsa_reserve_vcc 1
		.amdhsa_reserve_flat_scratch 0
		.amdhsa_float_round_mode_32 0
		.amdhsa_float_round_mode_16_64 0
		.amdhsa_float_denorm_mode_32 3
		.amdhsa_float_denorm_mode_16_64 3
		.amdhsa_dx10_clamp 1
		.amdhsa_ieee_mode 1
		.amdhsa_fp16_overflow 0
		.amdhsa_tg_split 0
		.amdhsa_exception_fp_ieee_invalid_op 0
		.amdhsa_exception_fp_denorm_src 0
		.amdhsa_exception_fp_ieee_div_zero 0
		.amdhsa_exception_fp_ieee_overflow 0
		.amdhsa_exception_fp_ieee_underflow 0
		.amdhsa_exception_fp_ieee_inexact 0
		.amdhsa_exception_int_div_zero 0
	.end_amdhsa_kernel
	.section	.text._ZN4vllm3moe10topkGatingILi4ELi4ELi4ELi8ELi64El6__halfLNS0_11ScoringFuncE0EEEvPKT5_PKbPfiPT4_PiiiibPKf,"axG",@progbits,_ZN4vllm3moe10topkGatingILi4ELi4ELi4ELi8ELi64El6__halfLNS0_11ScoringFuncE0EEEvPKT5_PKbPfiPT4_PiiiibPKf,comdat
.Lfunc_end111:
	.size	_ZN4vllm3moe10topkGatingILi4ELi4ELi4ELi8ELi64El6__halfLNS0_11ScoringFuncE0EEEvPKT5_PKbPfiPT4_PiiiibPKf, .Lfunc_end111-_ZN4vllm3moe10topkGatingILi4ELi4ELi4ELi8ELi64El6__halfLNS0_11ScoringFuncE0EEEvPKT5_PKbPfiPT4_PiiiibPKf
                                        ; -- End function
	.section	.AMDGPU.csdata,"",@progbits
; Kernel info:
; codeLenInByte = 1720
; NumSgprs: 28
; NumVgprs: 22
; NumAgprs: 0
; TotalNumVgprs: 22
; ScratchSize: 0
; MemoryBound: 1
; FloatMode: 240
; IeeeMode: 1
; LDSByteSize: 0 bytes/workgroup (compile time only)
; SGPRBlocks: 3
; VGPRBlocks: 2
; NumSGPRsForWavesPerEU: 28
; NumVGPRsForWavesPerEU: 22
; AccumOffset: 24
; Occupancy: 8
; WaveLimiterHint : 0
; COMPUTE_PGM_RSRC2:SCRATCH_EN: 0
; COMPUTE_PGM_RSRC2:USER_SGPR: 6
; COMPUTE_PGM_RSRC2:TRAP_HANDLER: 0
; COMPUTE_PGM_RSRC2:TGID_X_EN: 1
; COMPUTE_PGM_RSRC2:TGID_Y_EN: 0
; COMPUTE_PGM_RSRC2:TGID_Z_EN: 0
; COMPUTE_PGM_RSRC2:TIDIG_COMP_CNT: 1
; COMPUTE_PGM_RSRC3_GFX90A:ACCUM_OFFSET: 5
; COMPUTE_PGM_RSRC3_GFX90A:TG_SPLIT: 0
	.section	.text._ZN4vllm3moe10topkGatingILi4ELi4ELi4ELi8ELi32El6__halfLNS0_11ScoringFuncE0EEEvPKT5_PKbPfiPT4_PiiiibPKf,"axG",@progbits,_ZN4vllm3moe10topkGatingILi4ELi4ELi4ELi8ELi32El6__halfLNS0_11ScoringFuncE0EEEvPKT5_PKbPfiPT4_PiiiibPKf,comdat
	.protected	_ZN4vllm3moe10topkGatingILi4ELi4ELi4ELi8ELi32El6__halfLNS0_11ScoringFuncE0EEEvPKT5_PKbPfiPT4_PiiiibPKf ; -- Begin function _ZN4vllm3moe10topkGatingILi4ELi4ELi4ELi8ELi32El6__halfLNS0_11ScoringFuncE0EEEvPKT5_PKbPfiPT4_PiiiibPKf
	.globl	_ZN4vllm3moe10topkGatingILi4ELi4ELi4ELi8ELi32El6__halfLNS0_11ScoringFuncE0EEEvPKT5_PKbPfiPT4_PiiiibPKf
	.p2align	8
	.type	_ZN4vllm3moe10topkGatingILi4ELi4ELi4ELi8ELi32El6__halfLNS0_11ScoringFuncE0EEEvPKT5_PKbPfiPT4_PiiiibPKf,@function
_ZN4vllm3moe10topkGatingILi4ELi4ELi4ELi8ELi32El6__halfLNS0_11ScoringFuncE0EEEvPKT5_PKbPfiPT4_PiiiibPKf: ; @_ZN4vllm3moe10topkGatingILi4ELi4ELi4ELi8ELi32El6__halfLNS0_11ScoringFuncE0EEEvPKT5_PKbPfiPT4_PiiiibPKf
; %bb.0:
	s_load_dword s16, s[4:5], 0x18
	v_bfe_u32 v1, v0, 10, 10
	s_lshl_b32 s0, s6, 7
	v_lshlrev_b32_e32 v1, 5, v1
	v_and_b32_e32 v0, 0x3ff, v0
	v_add3_u32 v14, v1, v0, s0
	s_waitcnt lgkmcnt(0)
	v_cmp_gt_i32_e32 vcc, s16, v14
	s_and_saveexec_b64 s[0:1], vcc
	s_cbranch_execz .LBB112_20
; %bb.1:
	s_load_dwordx4 s[0:3], s[4:5], 0x0
	s_load_dwordx2 s[6:7], s[4:5], 0x10
	s_mov_b64 s[8:9], -1
	s_mov_b64 s[12:13], -1
	s_waitcnt lgkmcnt(0)
	s_cmp_eq_u64 s[2:3], 0
	s_cbranch_scc1 .LBB112_3
; %bb.2:
	v_ashrrev_i32_e32 v1, 31, v14
	v_mov_b32_e32 v2, s3
	v_add_co_u32_e32 v0, vcc, s2, v14
	v_addc_co_u32_e32 v1, vcc, v2, v1, vcc
	global_load_ubyte v0, v[0:1], off
	s_waitcnt vmcnt(0)
	v_and_b32_e32 v0, 1, v0
	v_cmp_eq_u32_e32 vcc, 1, v0
	s_xor_b64 s[2:3], vcc, -1
	s_orn2_b64 s[12:13], s[2:3], exec
.LBB112_3:
	v_lshlrev_b32_e32 v0, 2, v14
	v_ashrrev_i32_e32 v1, 31, v0
	v_lshlrev_b64 v[0:1], 1, v[0:1]
	v_mov_b32_e32 v2, s1
	v_add_co_u32_e32 v0, vcc, s0, v0
	v_addc_co_u32_e32 v1, vcc, v2, v1, vcc
	global_load_dwordx2 v[0:1], v[0:1], off
	v_mov_b32_e32 v5, 0x7f800000
	s_mov_b32 s2, 0x3fb8aa3b
	s_mov_b32 s3, 0xc2ce8ed0
	;; [unrolled: 1-line block ×3, first 2 shown]
	s_load_dwordx2 s[0:1], s[4:5], 0x40
	v_mov_b32_e32 v6, 0x207
	s_waitcnt lgkmcnt(0)
	s_cmp_eq_u64 s[0:1], 0
	s_waitcnt vmcnt(0)
	v_cvt_f32_f16_e32 v2, v0
	v_cvt_f32_f16_sdwa v3, v0 dst_sel:DWORD dst_unused:UNUSED_PAD src0_sel:WORD_1
	v_cvt_f32_f16_e32 v0, v1
	v_cvt_f32_f16_sdwa v1, v1 dst_sel:DWORD dst_unused:UNUSED_PAD src0_sel:WORD_1
	v_max_f32_e32 v4, v2, v3
	v_max3_f32 v4, v4, v0, v1
	v_pk_add_f32 v[2:3], v[2:3], v[4:5] op_sel_hi:[1,0] neg_lo:[0,1] neg_hi:[0,1]
	v_pk_add_f32 v[0:1], v[0:1], v[4:5] op_sel_hi:[1,0] neg_lo:[0,1] neg_hi:[0,1]
	v_mul_f32_e32 v4, 0x3fb8aa3b, v3
	v_mul_f32_e32 v7, 0x3fb8aa3b, v2
	v_fma_f32 v10, v3, s2, -v4
	v_rndne_f32_e32 v11, v4
	v_mul_f32_e32 v8, 0x3fb8aa3b, v1
	v_fma_f32 v12, v2, s2, -v7
	v_rndne_f32_e32 v13, v7
	v_fmac_f32_e32 v10, 0x32a5705f, v3
	v_sub_f32_e32 v4, v4, v11
	v_mul_f32_e32 v9, 0x3fb8aa3b, v0
	v_fma_f32 v15, v1, s2, -v8
	v_rndne_f32_e32 v16, v8
	v_fmac_f32_e32 v12, 0x32a5705f, v2
	v_sub_f32_e32 v7, v7, v13
	v_add_f32_e32 v4, v4, v10
	v_fma_f32 v17, v0, s2, -v9
	v_rndne_f32_e32 v18, v9
	v_cvt_i32_f32_e32 v11, v11
	v_fmac_f32_e32 v15, 0x32a5705f, v1
	v_sub_f32_e32 v8, v8, v16
	v_add_f32_e32 v7, v7, v12
	v_exp_f32_e32 v4, v4
	v_cvt_i32_f32_e32 v13, v13
	v_fmac_f32_e32 v17, 0x32a5705f, v0
	v_sub_f32_e32 v9, v9, v18
	v_add_f32_e32 v8, v8, v15
	v_exp_f32_e32 v7, v7
	v_cvt_i32_f32_e32 v16, v16
	v_add_f32_e32 v9, v9, v17
	v_exp_f32_e32 v8, v8
	v_cvt_i32_f32_e32 v18, v18
	v_exp_f32_e32 v9, v9
	v_ldexp_f32 v4, v4, v11
	v_cmp_ngt_f32_e32 vcc, s3, v3
	v_ldexp_f32 v7, v7, v13
	v_cndmask_b32_e32 v4, 0, v4, vcc
	v_cmp_ngt_f32_e32 vcc, s3, v2
	v_ldexp_f32 v8, v8, v16
	v_cndmask_b32_e32 v7, 0, v7, vcc
	;; [unrolled: 3-line block ×3, first 2 shown]
	v_cmp_ngt_f32_e32 vcc, s3, v0
	v_cndmask_b32_e32 v9, 0, v9, vcc
	v_cmp_nlt_f32_e32 vcc, s10, v3
	v_cndmask_b32_e32 v3, v5, v4, vcc
	v_cmp_nlt_f32_e32 vcc, s10, v2
	;; [unrolled: 2-line block ×4, first 2 shown]
	v_cndmask_b32_e32 v0, v5, v9, vcc
	v_add_f32_e32 v4, v2, v3
	v_add_f32_e32 v4, v4, v0
	;; [unrolled: 1-line block ×3, first 2 shown]
	v_div_scale_f32 v5, s[2:3], v4, v4, 1.0
	v_rcp_f32_e32 v7, v5
	v_div_scale_f32 v8, vcc, 1.0, v4, 1.0
	v_fma_f32 v9, -v5, v7, 1.0
	v_fmac_f32_e32 v7, v9, v7
	v_mul_f32_e32 v9, v8, v7
	v_fma_f32 v10, -v5, v9, v8
	v_fmac_f32_e32 v9, v10, v7
	v_fma_f32 v5, -v5, v9, v8
	v_div_fmas_f32 v5, v5, v7, v9
	v_div_fixup_f32 v4, v5, v4, 1.0
	v_pk_mul_f32 v[2:3], v[4:5], v[2:3] op_sel_hi:[0,1]
	v_cmp_class_f32_e32 vcc, v3, v6
	v_pk_mul_f32 v[4:5], v[4:5], v[0:1] op_sel_hi:[0,1]
	v_cndmask_b32_e64 v1, v3, 0, vcc
	v_cmp_class_f32_e32 vcc, v2, v6
	v_cndmask_b32_e64 v0, v2, 0, vcc
	v_cmp_class_f32_e32 vcc, v5, v6
	;; [unrolled: 2-line block ×3, first 2 shown]
	v_cndmask_b32_e64 v2, v4, 0, vcc
	s_cbranch_scc1 .LBB112_10
; %bb.4:
	s_load_dwordx4 s[0:3], s[0:1], 0x0
	s_waitcnt lgkmcnt(0)
	v_pk_add_f32 v[4:5], s[0:1], v[0:1]
	v_pk_add_f32 v[6:7], s[2:3], v[2:3]
	s_cbranch_execnz .LBB112_6
.LBB112_5:
	v_pk_mov_b32 v[6:7], v[2:3], v[2:3] op_sel:[0,1]
	v_pk_mov_b32 v[4:5], v[0:1], v[0:1] op_sel:[0,1]
.LBB112_6:
	s_load_dwordx4 s[8:11], s[4:5], 0x30
	s_waitcnt lgkmcnt(0)
	s_bitcmp1_b32 s11, 0
	s_cselect_b64 vcc, -1, 0
	s_cmp_gt_i32 s8, 0
	s_cselect_b64 s[14:15], -1, 0
	s_cmp_lt_i32 s8, 1
	s_mov_b32 s11, 0
	s_cbranch_scc1 .LBB112_11
; %bb.7:
	s_load_dwordx4 s[20:23], s[4:5], 0x20
	v_mul_lo_u32 v10, v14, s8
	v_ashrrev_i32_e32 v11, 31, v10
	v_lshlrev_b64 v[12:13], 2, v[10:11]
	v_mov_b32_e32 v9, s7
	v_add_co_u32_e64 v8, s[0:1], s6, v12
	v_addc_co_u32_e64 v9, s[0:1], v9, v13, s[0:1]
	v_lshlrev_b64 v[10:11], 3, v[10:11]
	s_waitcnt lgkmcnt(0)
	v_mov_b32_e32 v15, s21
	v_add_co_u32_e64 v10, s[0:1], s20, v10
	v_addc_co_u32_e64 v11, s[0:1], v15, v11, s[0:1]
	v_mov_b32_e32 v15, s23
	v_add_co_u32_e64 v12, s[0:1], s22, v12
	v_addc_co_u32_e64 v13, s[0:1], v15, v13, s[0:1]
	v_mov_b32_e32 v15, 0
	v_mov_b32_e32 v16, 0xc61c4000
	;; [unrolled: 1-line block ×3, first 2 shown]
.LBB112_8:                              ; =>This Inner Loop Header: Depth=1
	v_cmp_gt_f32_e64 s[0:1], v5, v4
	v_cndmask_b32_e64 v18, v4, v5, s[0:1]
	v_cndmask_b32_e64 v19, v0, v1, s[0:1]
	;; [unrolled: 1-line block ×3, first 2 shown]
	v_cmp_gt_f32_e64 s[0:1], v6, v18
	v_cndmask_b32_e64 v18, v18, v6, s[0:1]
	v_cndmask_b32_e64 v19, v19, v2, s[0:1]
	;; [unrolled: 1-line block ×3, first 2 shown]
	v_cmp_gt_f32_e64 s[0:1], v7, v18
	v_cndmask_b32_e64 v20, v20, 3, s[0:1]
	v_cndmask_b32_e64 v21, v19, v3, s[0:1]
	v_cmp_le_i32_e64 s[0:1], s9, v20
	v_cmp_gt_i32_e64 s[2:3], s10, v20
	s_and_b64 s[0:1], s[0:1], s[2:3]
	v_subrev_u32_e32 v18, s9, v20
	v_ashrrev_i32_e32 v19, 31, v18
	s_and_b64 s[0:1], s[12:13], s[0:1]
	v_cndmask_b32_e64 v19, 0, v19, s[0:1]
	v_cndmask_b32_e64 v18, 4, v18, s[0:1]
	global_store_dword v[8:9], v21, off
	global_store_dwordx2 v[10:11], v[18:19], off
	global_store_dword v[12:13], v17, off
	v_add_f32_e32 v18, v15, v21
	v_cmp_ne_u32_e64 s[0:1], 0, v20
	v_cndmask_b32_e32 v15, v15, v18, vcc
	v_cndmask_b32_e64 v18, v16, v4, s[0:1]
	v_cmp_ne_u32_e64 s[0:1], 1, v20
	s_add_i32 s11, s11, 1
	v_cndmask_b32_e64 v19, v16, v5, s[0:1]
	v_cmp_ne_u32_e64 s[0:1], 2, v20
	s_cmp_lt_i32 s11, s8
	v_cndmask_b32_e64 v21, v16, v6, s[0:1]
	v_cmp_ne_u32_e64 s[0:1], 3, v20
	v_cndmask_b32_e64 v20, v16, v7, s[0:1]
	s_cselect_b64 s[0:1], -1, 0
	v_cndmask_b32_e64 v7, v7, v20, s[0:1]
	v_cndmask_b32_e64 v6, v6, v21, s[0:1]
	;; [unrolled: 1-line block ×4, first 2 shown]
	v_add_co_u32_e64 v8, s[0:1], 4, v8
	v_addc_co_u32_e64 v9, s[0:1], 0, v9, s[0:1]
	v_add_co_u32_e64 v10, s[0:1], 8, v10
	v_addc_co_u32_e64 v11, s[0:1], 0, v11, s[0:1]
	v_add_co_u32_e64 v12, s[0:1], 4, v12
	v_add_u32_e32 v17, s16, v17
	s_cmp_eq_u32 s8, s11
	v_addc_co_u32_e64 v13, s[0:1], 0, v13, s[0:1]
	s_cbranch_scc0 .LBB112_8
; %bb.9:
	s_and_b64 vcc, exec, vcc
	s_cbranch_vccnz .LBB112_12
	s_branch .LBB112_20
.LBB112_10:
                                        ; implicit-def: $vgpr4_vgpr5_vgpr6_vgpr7
	s_andn2_b64 vcc, exec, s[8:9]
	s_cbranch_vccz .LBB112_5
	s_branch .LBB112_6
.LBB112_11:
	v_mov_b32_e32 v15, 0
	s_and_b64 vcc, exec, vcc
	s_cbranch_vccz .LBB112_20
.LBB112_12:
	s_andn2_b64 vcc, exec, s[14:15]
	s_cbranch_vccnz .LBB112_20
; %bb.13:
	v_cmp_lt_f32_e32 vcc, 0, v15
	s_mov_b32 s2, 0
	v_cndmask_b32_e32 v0, 1.0, v15, vcc
	v_mul_lo_u32 v4, v14, s8
	s_cmp_eq_u32 s8, 1
	s_mov_b64 s[0:1], -1
	s_cbranch_scc1 .LBB112_17
; %bb.14:
	s_and_b32 s2, s8, 0x7ffffffe
	v_mov_b32_e32 v1, v0
	v_mov_b32_e32 v5, s7
	s_mov_b32 s3, s2
	v_mov_b32_e32 v2, v4
.LBB112_15:                             ; =>This Inner Loop Header: Depth=1
	v_ashrrev_i32_e32 v3, 31, v2
	v_lshlrev_b64 v[6:7], 2, v[2:3]
	v_add_co_u32_e32 v6, vcc, s6, v6
	v_addc_co_u32_e32 v7, vcc, v5, v7, vcc
	global_load_dwordx2 v[8:9], v[6:7], off
	s_add_i32 s3, s3, -2
	s_cmp_lg_u32 s3, 0
	v_add_u32_e32 v2, 2, v2
	s_waitcnt vmcnt(0)
	v_div_scale_f32 v3, s[0:1], v1, v1, v9
	v_div_scale_f32 v11, s[0:1], v0, v0, v8
	v_rcp_f32_e32 v12, v3
	v_rcp_f32_e32 v13, v11
	v_div_scale_f32 v10, vcc, v9, v1, v9
	v_fma_f32 v15, -v3, v12, 1.0
	v_fma_f32 v16, -v11, v13, 1.0
	v_fmac_f32_e32 v12, v15, v12
	v_div_scale_f32 v14, s[0:1], v8, v0, v8
	v_fmac_f32_e32 v13, v16, v13
	v_mul_f32_e32 v15, v10, v12
	v_mul_f32_e32 v16, v14, v13
	v_fma_f32 v17, -v3, v15, v10
	v_fma_f32 v18, -v11, v16, v14
	v_fmac_f32_e32 v15, v17, v12
	v_fmac_f32_e32 v16, v18, v13
	v_fma_f32 v3, -v3, v15, v10
	v_fma_f32 v10, -v11, v16, v14
	v_div_fmas_f32 v3, v3, v12, v15
	s_mov_b64 vcc, s[0:1]
	v_div_fixup_f32 v9, v3, v1, v9
	v_div_fmas_f32 v3, v10, v13, v16
	v_div_fixup_f32 v8, v3, v0, v8
	global_store_dwordx2 v[6:7], v[8:9], off
	s_cbranch_scc1 .LBB112_15
; %bb.16:
	s_cmp_lg_u32 s2, s8
	s_cselect_b64 s[0:1], -1, 0
.LBB112_17:
	s_and_b64 vcc, exec, s[0:1]
	s_cbranch_vccz .LBB112_20
; %bb.18:
	v_ashrrev_i32_e32 v1, 31, v4
	v_add_co_u32_e32 v2, vcc, s2, v4
	v_addc_co_u32_e32 v3, vcc, 0, v1, vcc
	v_lshlrev_b64 v[2:3], 2, v[2:3]
	v_mov_b32_e32 v1, s7
	v_add_co_u32_e32 v2, vcc, s6, v2
	s_sub_i32 s0, s8, s2
	v_addc_co_u32_e32 v3, vcc, v1, v3, vcc
.LBB112_19:                             ; =>This Inner Loop Header: Depth=1
	global_load_dword v1, v[2:3], off
	s_add_i32 s0, s0, -1
	s_cmp_lg_u32 s0, 0
	s_waitcnt vmcnt(0)
	v_div_scale_f32 v4, s[2:3], v0, v0, v1
	v_rcp_f32_e32 v5, v4
	v_div_scale_f32 v6, vcc, v1, v0, v1
	v_fma_f32 v7, -v4, v5, 1.0
	v_fmac_f32_e32 v5, v7, v5
	v_mul_f32_e32 v7, v6, v5
	v_fma_f32 v8, -v4, v7, v6
	v_fmac_f32_e32 v7, v8, v5
	v_fma_f32 v4, -v4, v7, v6
	v_div_fmas_f32 v4, v4, v5, v7
	v_div_fixup_f32 v1, v4, v0, v1
	global_store_dword v[2:3], v1, off
	v_add_co_u32_e32 v2, vcc, 4, v2
	v_addc_co_u32_e32 v3, vcc, 0, v3, vcc
	s_cbranch_scc1 .LBB112_19
.LBB112_20:
	s_endpgm
	.section	.rodata,"a",@progbits
	.p2align	6, 0x0
	.amdhsa_kernel _ZN4vllm3moe10topkGatingILi4ELi4ELi4ELi8ELi32El6__halfLNS0_11ScoringFuncE0EEEvPKT5_PKbPfiPT4_PiiiibPKf
		.amdhsa_group_segment_fixed_size 0
		.amdhsa_private_segment_fixed_size 0
		.amdhsa_kernarg_size 72
		.amdhsa_user_sgpr_count 6
		.amdhsa_user_sgpr_private_segment_buffer 1
		.amdhsa_user_sgpr_dispatch_ptr 0
		.amdhsa_user_sgpr_queue_ptr 0
		.amdhsa_user_sgpr_kernarg_segment_ptr 1
		.amdhsa_user_sgpr_dispatch_id 0
		.amdhsa_user_sgpr_flat_scratch_init 0
		.amdhsa_user_sgpr_kernarg_preload_length 0
		.amdhsa_user_sgpr_kernarg_preload_offset 0
		.amdhsa_user_sgpr_private_segment_size 0
		.amdhsa_uses_dynamic_stack 0
		.amdhsa_system_sgpr_private_segment_wavefront_offset 0
		.amdhsa_system_sgpr_workgroup_id_x 1
		.amdhsa_system_sgpr_workgroup_id_y 0
		.amdhsa_system_sgpr_workgroup_id_z 0
		.amdhsa_system_sgpr_workgroup_info 0
		.amdhsa_system_vgpr_workitem_id 1
		.amdhsa_next_free_vgpr 22
		.amdhsa_next_free_sgpr 24
		.amdhsa_accum_offset 24
		.amdhsa_reserve_vcc 1
		.amdhsa_reserve_flat_scratch 0
		.amdhsa_float_round_mode_32 0
		.amdhsa_float_round_mode_16_64 0
		.amdhsa_float_denorm_mode_32 3
		.amdhsa_float_denorm_mode_16_64 3
		.amdhsa_dx10_clamp 1
		.amdhsa_ieee_mode 1
		.amdhsa_fp16_overflow 0
		.amdhsa_tg_split 0
		.amdhsa_exception_fp_ieee_invalid_op 0
		.amdhsa_exception_fp_denorm_src 0
		.amdhsa_exception_fp_ieee_div_zero 0
		.amdhsa_exception_fp_ieee_overflow 0
		.amdhsa_exception_fp_ieee_underflow 0
		.amdhsa_exception_fp_ieee_inexact 0
		.amdhsa_exception_int_div_zero 0
	.end_amdhsa_kernel
	.section	.text._ZN4vllm3moe10topkGatingILi4ELi4ELi4ELi8ELi32El6__halfLNS0_11ScoringFuncE0EEEvPKT5_PKbPfiPT4_PiiiibPKf,"axG",@progbits,_ZN4vllm3moe10topkGatingILi4ELi4ELi4ELi8ELi32El6__halfLNS0_11ScoringFuncE0EEEvPKT5_PKbPfiPT4_PiiiibPKf,comdat
.Lfunc_end112:
	.size	_ZN4vllm3moe10topkGatingILi4ELi4ELi4ELi8ELi32El6__halfLNS0_11ScoringFuncE0EEEvPKT5_PKbPfiPT4_PiiiibPKf, .Lfunc_end112-_ZN4vllm3moe10topkGatingILi4ELi4ELi4ELi8ELi32El6__halfLNS0_11ScoringFuncE0EEEvPKT5_PKbPfiPT4_PiiiibPKf
                                        ; -- End function
	.section	.AMDGPU.csdata,"",@progbits
; Kernel info:
; codeLenInByte = 1720
; NumSgprs: 28
; NumVgprs: 22
; NumAgprs: 0
; TotalNumVgprs: 22
; ScratchSize: 0
; MemoryBound: 1
; FloatMode: 240
; IeeeMode: 1
; LDSByteSize: 0 bytes/workgroup (compile time only)
; SGPRBlocks: 3
; VGPRBlocks: 2
; NumSGPRsForWavesPerEU: 28
; NumVGPRsForWavesPerEU: 22
; AccumOffset: 24
; Occupancy: 8
; WaveLimiterHint : 0
; COMPUTE_PGM_RSRC2:SCRATCH_EN: 0
; COMPUTE_PGM_RSRC2:USER_SGPR: 6
; COMPUTE_PGM_RSRC2:TRAP_HANDLER: 0
; COMPUTE_PGM_RSRC2:TGID_X_EN: 1
; COMPUTE_PGM_RSRC2:TGID_Y_EN: 0
; COMPUTE_PGM_RSRC2:TGID_Z_EN: 0
; COMPUTE_PGM_RSRC2:TIDIG_COMP_CNT: 1
; COMPUTE_PGM_RSRC3_GFX90A:ACCUM_OFFSET: 5
; COMPUTE_PGM_RSRC3_GFX90A:TG_SPLIT: 0
	.section	.text._ZN4vllm3moe10topkGatingILi8ELi8ELi4ELi16ELi64El6__halfLNS0_11ScoringFuncE0EEEvPKT5_PKbPfiPT4_PiiiibPKf,"axG",@progbits,_ZN4vllm3moe10topkGatingILi8ELi8ELi4ELi16ELi64El6__halfLNS0_11ScoringFuncE0EEEvPKT5_PKbPfiPT4_PiiiibPKf,comdat
	.protected	_ZN4vllm3moe10topkGatingILi8ELi8ELi4ELi16ELi64El6__halfLNS0_11ScoringFuncE0EEEvPKT5_PKbPfiPT4_PiiiibPKf ; -- Begin function _ZN4vllm3moe10topkGatingILi8ELi8ELi4ELi16ELi64El6__halfLNS0_11ScoringFuncE0EEEvPKT5_PKbPfiPT4_PiiiibPKf
	.globl	_ZN4vllm3moe10topkGatingILi8ELi8ELi4ELi16ELi64El6__halfLNS0_11ScoringFuncE0EEEvPKT5_PKbPfiPT4_PiiiibPKf
	.p2align	8
	.type	_ZN4vllm3moe10topkGatingILi8ELi8ELi4ELi16ELi64El6__halfLNS0_11ScoringFuncE0EEEvPKT5_PKbPfiPT4_PiiiibPKf,@function
_ZN4vllm3moe10topkGatingILi8ELi8ELi4ELi16ELi64El6__halfLNS0_11ScoringFuncE0EEEvPKT5_PKbPfiPT4_PiiiibPKf: ; @_ZN4vllm3moe10topkGatingILi8ELi8ELi4ELi16ELi64El6__halfLNS0_11ScoringFuncE0EEEvPKT5_PKbPfiPT4_PiiiibPKf
; %bb.0:
	s_load_dword s18, s[4:5], 0x18
	v_bfe_u32 v1, v0, 10, 10
	s_lshl_b32 s0, s6, 8
	v_lshlrev_b32_e32 v1, 6, v1
	v_and_b32_e32 v0, 0x3ff, v0
	v_add3_u32 v16, v1, v0, s0
	s_waitcnt lgkmcnt(0)
	v_cmp_gt_i32_e32 vcc, s18, v16
	s_and_saveexec_b64 s[0:1], vcc
	s_cbranch_execz .LBB113_20
; %bb.1:
	s_load_dwordx4 s[0:3], s[4:5], 0x0
	s_load_dwordx2 s[12:13], s[4:5], 0x10
	s_mov_b64 s[6:7], -1
	s_mov_b64 s[14:15], -1
	s_waitcnt lgkmcnt(0)
	s_cmp_eq_u64 s[2:3], 0
	s_cbranch_scc1 .LBB113_3
; %bb.2:
	v_ashrrev_i32_e32 v1, 31, v16
	v_mov_b32_e32 v2, s3
	v_add_co_u32_e32 v0, vcc, s2, v16
	v_addc_co_u32_e32 v1, vcc, v2, v1, vcc
	global_load_ubyte v0, v[0:1], off
	s_waitcnt vmcnt(0)
	v_and_b32_e32 v0, 1, v0
	v_cmp_eq_u32_e32 vcc, 1, v0
	s_xor_b64 s[2:3], vcc, -1
	s_orn2_b64 s[14:15], s[2:3], exec
.LBB113_3:
	v_lshlrev_b32_e32 v0, 3, v16
	v_ashrrev_i32_e32 v1, 31, v0
	v_lshlrev_b64 v[0:1], 1, v[0:1]
	v_mov_b32_e32 v2, s1
	v_add_co_u32_e32 v0, vcc, s0, v0
	v_addc_co_u32_e32 v1, vcc, v2, v1, vcc
	global_load_dwordx4 v[0:3], v[0:1], off
	v_mov_b32_e32 v9, 0x7f800000
	s_mov_b32 s2, 0x3fb8aa3b
	s_mov_b32 s0, 0xc2ce8ed0
	;; [unrolled: 1-line block ×3, first 2 shown]
	s_waitcnt vmcnt(0)
	v_cvt_f32_f16_e32 v4, v0
	v_cvt_f32_f16_sdwa v5, v0 dst_sel:DWORD dst_unused:UNUSED_PAD src0_sel:WORD_1
	v_cvt_f32_f16_e32 v0, v1
	v_cvt_f32_f16_sdwa v1, v1 dst_sel:DWORD dst_unused:UNUSED_PAD src0_sel:WORD_1
	;; [unrolled: 2-line block ×4, first 2 shown]
	v_max_f32_e32 v8, v4, v5
	v_max3_f32 v8, v8, v0, v1
	v_max3_f32 v8, v8, v6, v7
	;; [unrolled: 1-line block ×3, first 2 shown]
	v_pk_add_f32 v[4:5], v[4:5], v[8:9] op_sel_hi:[1,0] neg_lo:[0,1] neg_hi:[0,1]
	v_pk_add_f32 v[0:1], v[0:1], v[8:9] op_sel_hi:[1,0] neg_lo:[0,1] neg_hi:[0,1]
	;; [unrolled: 1-line block ×4, first 2 shown]
	v_mul_f32_e32 v8, 0x3fb8aa3b, v5
	v_mul_f32_e32 v10, 0x3fb8aa3b, v4
	v_fma_f32 v17, v5, s2, -v8
	v_rndne_f32_e32 v18, v8
	v_mul_f32_e32 v11, 0x3fb8aa3b, v1
	v_fma_f32 v19, v4, s2, -v10
	v_rndne_f32_e32 v20, v10
	v_fmac_f32_e32 v17, 0x32a5705f, v5
	v_sub_f32_e32 v8, v8, v18
	v_mul_f32_e32 v12, 0x3fb8aa3b, v0
	v_fma_f32 v21, v1, s2, -v11
	v_rndne_f32_e32 v22, v11
	v_fmac_f32_e32 v19, 0x32a5705f, v4
	v_sub_f32_e32 v10, v10, v20
	v_add_f32_e32 v8, v8, v17
	v_mul_f32_e32 v13, 0x3fb8aa3b, v7
	v_fma_f32 v23, v0, s2, -v12
	v_rndne_f32_e32 v24, v12
	v_cvt_i32_f32_e32 v18, v18
	v_fmac_f32_e32 v21, 0x32a5705f, v1
	v_sub_f32_e32 v11, v11, v22
	v_add_f32_e32 v10, v10, v19
	v_exp_f32_e32 v8, v8
	v_fma_f32 v25, v7, s2, -v13
	v_rndne_f32_e32 v26, v13
	v_cvt_i32_f32_e32 v20, v20
	v_fmac_f32_e32 v23, 0x32a5705f, v0
	v_sub_f32_e32 v12, v12, v24
	v_add_f32_e32 v11, v11, v21
	v_exp_f32_e32 v10, v10
	v_cvt_i32_f32_e32 v22, v22
	v_fmac_f32_e32 v25, 0x32a5705f, v7
	v_sub_f32_e32 v13, v13, v26
	v_add_f32_e32 v12, v12, v23
	v_exp_f32_e32 v11, v11
	v_cvt_i32_f32_e32 v24, v24
	v_add_f32_e32 v13, v13, v25
	v_exp_f32_e32 v12, v12
	v_cvt_i32_f32_e32 v26, v26
	v_exp_f32_e32 v13, v13
	v_ldexp_f32 v8, v8, v18
	v_cmp_ngt_f32_e32 vcc, s0, v5
	v_ldexp_f32 v10, v10, v20
	v_cndmask_b32_e32 v8, 0, v8, vcc
	v_cmp_ngt_f32_e32 vcc, s0, v4
	v_ldexp_f32 v11, v11, v22
	v_cndmask_b32_e32 v10, 0, v10, vcc
	;; [unrolled: 3-line block ×4, first 2 shown]
	v_cmp_ngt_f32_e32 vcc, s0, v7
	v_mul_f32_e32 v14, 0x3fb8aa3b, v6
	v_cndmask_b32_e32 v13, 0, v13, vcc
	v_cmp_nlt_f32_e32 vcc, s1, v5
	v_mul_f32_e32 v15, 0x3fb8aa3b, v3
	v_fma_f32 v27, v6, s2, -v14
	v_rndne_f32_e32 v28, v14
	v_cndmask_b32_e32 v5, v9, v8, vcc
	v_cmp_nlt_f32_e32 vcc, s1, v4
	v_fmac_f32_e32 v27, 0x32a5705f, v6
	v_sub_f32_e32 v14, v14, v28
	v_cndmask_b32_e32 v4, v9, v10, vcc
	v_cmp_nlt_f32_e32 vcc, s1, v1
	v_fma_f32 v8, v3, s2, -v15
	v_rndne_f32_e32 v10, v15
	v_add_f32_e32 v14, v14, v27
	v_cndmask_b32_e32 v1, v9, v11, vcc
	v_fmac_f32_e32 v8, 0x32a5705f, v3
	v_sub_f32_e32 v11, v15, v10
	v_cvt_i32_f32_e32 v28, v28
	v_exp_f32_e32 v14, v14
	v_add_f32_e32 v8, v11, v8
	v_exp_f32_e32 v8, v8
	v_cvt_i32_f32_e32 v10, v10
	v_cmp_nlt_f32_e32 vcc, s1, v0
	v_cndmask_b32_e32 v0, v9, v12, vcc
	v_cmp_nlt_f32_e32 vcc, s1, v7
	v_ldexp_f32 v14, v14, v28
	v_cndmask_b32_e32 v7, v9, v13, vcc
	v_cmp_ngt_f32_e32 vcc, s0, v6
	v_cndmask_b32_e32 v11, 0, v14, vcc
	v_cmp_nlt_f32_e32 vcc, s1, v6
	v_ldexp_f32 v8, v8, v10
	v_mul_f32_e32 v10, 0x3fb8aa3b, v2
	v_cndmask_b32_e32 v6, v9, v11, vcc
	v_fma_f32 v11, v2, s2, -v10
	v_rndne_f32_e32 v12, v10
	v_fmac_f32_e32 v11, 0x32a5705f, v2
	v_sub_f32_e32 v10, v10, v12
	v_add_f32_e32 v10, v10, v11
	v_exp_f32_e32 v10, v10
	v_cvt_i32_f32_e32 v11, v12
	v_cmp_ngt_f32_e32 vcc, s0, v3
	v_cndmask_b32_e32 v8, 0, v8, vcc
	v_cmp_nlt_f32_e32 vcc, s1, v3
	v_cndmask_b32_e32 v3, v9, v8, vcc
	v_ldexp_f32 v8, v10, v11
	v_cmp_ngt_f32_e32 vcc, s0, v2
	v_cndmask_b32_e32 v8, 0, v8, vcc
	v_cmp_nlt_f32_e32 vcc, s1, v2
	v_cndmask_b32_e32 v2, v9, v8, vcc
	v_add_f32_e32 v8, v4, v5
	v_add_f32_e32 v8, v8, v0
	;; [unrolled: 1-line block ×7, first 2 shown]
	v_div_scale_f32 v9, s[0:1], v8, v8, 1.0
	v_rcp_f32_e32 v10, v9
	s_load_dwordx2 s[0:1], s[4:5], 0x40
	v_fma_f32 v11, -v9, v10, 1.0
	v_fmac_f32_e32 v10, v11, v10
	v_div_scale_f32 v11, vcc, 1.0, v8, 1.0
	v_mul_f32_e32 v12, v11, v10
	v_fma_f32 v13, -v9, v12, v11
	v_fmac_f32_e32 v12, v13, v10
	v_fma_f32 v9, -v9, v12, v11
	v_div_fmas_f32 v9, v9, v10, v12
	v_div_fixup_f32 v8, v9, v8, 1.0
	v_pk_mul_f32 v[4:5], v[8:9], v[4:5] op_sel_hi:[0,1]
	v_mov_b32_e32 v12, 0x207
	v_cmp_class_f32_e32 vcc, v5, v12
	v_pk_mul_f32 v[10:11], v[8:9], v[0:1] op_sel_hi:[0,1]
	v_cndmask_b32_e64 v1, v5, 0, vcc
	v_cmp_class_f32_e32 vcc, v4, v12
	v_cndmask_b32_e64 v0, v4, 0, vcc
	v_cmp_class_f32_e32 vcc, v11, v12
	v_pk_mul_f32 v[6:7], v[8:9], v[6:7] op_sel_hi:[0,1]
	v_pk_mul_f32 v[8:9], v[8:9], v[2:3] op_sel_hi:[0,1]
	v_cndmask_b32_e64 v3, v11, 0, vcc
	v_cmp_class_f32_e32 vcc, v10, v12
	v_cndmask_b32_e64 v2, v10, 0, vcc
	v_cmp_class_f32_e32 vcc, v7, v12
	v_cndmask_b32_e64 v5, v7, 0, vcc
	v_cmp_class_f32_e32 vcc, v6, v12
	v_cndmask_b32_e64 v4, v6, 0, vcc
	v_cmp_class_f32_e32 vcc, v9, v12
	v_cndmask_b32_e64 v7, v9, 0, vcc
	v_cmp_class_f32_e32 vcc, v8, v12
	s_waitcnt lgkmcnt(0)
	s_cmp_eq_u64 s[0:1], 0
	v_cndmask_b32_e64 v6, v8, 0, vcc
	s_cbranch_scc1 .LBB113_10
; %bb.4:
	s_load_dwordx8 s[20:27], s[0:1], 0x0
	s_waitcnt lgkmcnt(0)
	v_pk_add_f32 v[8:9], s[20:21], v[0:1]
	v_pk_add_f32 v[10:11], s[22:23], v[2:3]
	v_pk_add_f32 v[12:13], s[24:25], v[4:5]
	v_pk_add_f32 v[14:15], s[26:27], v[6:7]
	s_cbranch_execnz .LBB113_6
.LBB113_5:
	v_pk_mov_b32 v[14:15], v[6:7], v[6:7] op_sel:[0,1]
	v_pk_mov_b32 v[12:13], v[4:5], v[4:5] op_sel:[0,1]
	;; [unrolled: 1-line block ×4, first 2 shown]
.LBB113_6:
	s_load_dwordx4 s[8:11], s[4:5], 0x30
	s_waitcnt lgkmcnt(0)
	s_bitcmp1_b32 s11, 0
	s_cselect_b64 vcc, -1, 0
	s_cmp_gt_i32 s8, 0
	s_cselect_b64 s[16:17], -1, 0
	s_cmp_lt_i32 s8, 1
	s_mov_b32 s11, 0
	s_cbranch_scc1 .LBB113_11
; %bb.7:
	s_load_dwordx4 s[4:7], s[4:5], 0x20
	v_mul_lo_u32 v18, v16, s8
	v_mov_b32_e32 v17, 0
	v_mov_b32_e32 v19, s13
	;; [unrolled: 1-line block ×3, first 2 shown]
	s_waitcnt lgkmcnt(0)
	v_mov_b32_e32 v20, s5
	v_mov_b32_e32 v21, s7
	;; [unrolled: 1-line block ×3, first 2 shown]
.LBB113_8:                              ; =>This Inner Loop Header: Depth=1
	v_cmp_gt_f32_e64 s[0:1], v9, v8
	v_cndmask_b32_e64 v24, v8, v9, s[0:1]
	v_cndmask_b32_e64 v25, v0, v1, s[0:1]
	v_cndmask_b32_e64 v26, 0, 1, s[0:1]
	v_cmp_gt_f32_e64 s[0:1], v10, v24
	v_cndmask_b32_e64 v24, v24, v10, s[0:1]
	v_cndmask_b32_e64 v25, v25, v2, s[0:1]
	v_cndmask_b32_e64 v26, v26, 2, s[0:1]
	;; [unrolled: 4-line block ×6, first 2 shown]
	v_cmp_gt_f32_e64 s[0:1], v15, v24
	v_add_u32_e32 v24, s11, v18
	v_cndmask_b32_e64 v30, v25, v7, s[0:1]
	v_cndmask_b32_e64 v31, v26, 7, s[0:1]
	v_ashrrev_i32_e32 v25, 31, v24
	v_cmp_le_i32_e64 s[0:1], s9, v31
	v_cmp_gt_i32_e64 s[2:3], s10, v31
	v_lshlrev_b64 v[26:27], 2, v[24:25]
	s_and_b64 s[2:3], s[0:1], s[2:3]
	v_add_co_u32_e64 v28, s[0:1], s12, v26
	v_addc_co_u32_e64 v29, s[0:1], v19, v27, s[0:1]
	global_store_dword v[28:29], v30, off
	v_subrev_u32_e32 v28, s9, v31
	v_ashrrev_i32_e32 v29, 31, v28
	s_and_b64 s[0:1], s[14:15], s[2:3]
	v_lshlrev_b64 v[24:25], 3, v[24:25]
	v_cndmask_b32_e64 v29, 0, v29, s[0:1]
	v_cndmask_b32_e64 v28, 8, v28, s[0:1]
	v_add_co_u32_e64 v24, s[0:1], s4, v24
	v_addc_co_u32_e64 v25, s[0:1], v20, v25, s[0:1]
	global_store_dwordx2 v[24:25], v[28:29], off
	v_add_co_u32_e64 v24, s[0:1], s6, v26
	v_addc_co_u32_e64 v25, s[0:1], v21, v27, s[0:1]
	global_store_dword v[24:25], v23, off
	v_add_f32_e32 v24, v17, v30
	v_cmp_ne_u32_e64 s[0:1], 0, v31
	v_cndmask_b32_e32 v17, v17, v24, vcc
	v_cndmask_b32_e64 v24, v22, v8, s[0:1]
	v_cmp_ne_u32_e64 s[0:1], 1, v31
	v_cndmask_b32_e64 v25, v22, v9, s[0:1]
	v_cmp_ne_u32_e64 s[0:1], 2, v31
	;; [unrolled: 2-line block ×5, first 2 shown]
	s_add_i32 s11, s11, 1
	v_cndmask_b32_e64 v29, v22, v13, s[0:1]
	v_cmp_ne_u32_e64 s[0:1], 6, v31
	s_cmp_lt_i32 s11, s8
	v_cndmask_b32_e64 v30, v22, v14, s[0:1]
	v_cmp_ne_u32_e64 s[0:1], 7, v31
	v_cndmask_b32_e64 v31, v22, v15, s[0:1]
	s_cselect_b64 s[0:1], -1, 0
	v_cndmask_b32_e64 v15, v15, v31, s[0:1]
	v_cndmask_b32_e64 v14, v14, v30, s[0:1]
	;; [unrolled: 1-line block ×8, first 2 shown]
	s_cmp_eq_u32 s8, s11
	v_add_u32_e32 v23, s18, v23
	s_cbranch_scc0 .LBB113_8
; %bb.9:
	s_and_b64 vcc, exec, vcc
	s_cbranch_vccnz .LBB113_12
	s_branch .LBB113_20
.LBB113_10:
                                        ; implicit-def: $vgpr8_vgpr9_vgpr10_vgpr11_vgpr12_vgpr13_vgpr14_vgpr15
	s_andn2_b64 vcc, exec, s[6:7]
	s_cbranch_vccz .LBB113_5
	s_branch .LBB113_6
.LBB113_11:
	v_mov_b32_e32 v17, 0
	s_and_b64 vcc, exec, vcc
	s_cbranch_vccz .LBB113_20
.LBB113_12:
	s_andn2_b64 vcc, exec, s[16:17]
	s_cbranch_vccnz .LBB113_20
; %bb.13:
	v_cmp_lt_f32_e32 vcc, 0, v17
	s_mov_b32 s2, 0
	v_cndmask_b32_e32 v0, 1.0, v17, vcc
	v_mul_lo_u32 v4, v16, s8
	s_cmp_eq_u32 s8, 1
	s_mov_b64 s[0:1], -1
	s_cbranch_scc1 .LBB113_17
; %bb.14:
	s_and_b32 s2, s8, 0x7ffffffe
	v_mov_b32_e32 v1, v0
	v_mov_b32_e32 v5, s13
	s_mov_b32 s3, s2
	v_mov_b32_e32 v2, v4
.LBB113_15:                             ; =>This Inner Loop Header: Depth=1
	v_ashrrev_i32_e32 v3, 31, v2
	v_lshlrev_b64 v[6:7], 2, v[2:3]
	v_add_co_u32_e32 v6, vcc, s12, v6
	v_addc_co_u32_e32 v7, vcc, v5, v7, vcc
	global_load_dwordx2 v[8:9], v[6:7], off
	s_add_i32 s3, s3, -2
	s_cmp_lg_u32 s3, 0
	v_add_u32_e32 v2, 2, v2
	s_waitcnt vmcnt(0)
	v_div_scale_f32 v3, s[0:1], v1, v1, v9
	v_div_scale_f32 v11, s[0:1], v0, v0, v8
	v_rcp_f32_e32 v12, v3
	v_rcp_f32_e32 v13, v11
	v_div_scale_f32 v10, vcc, v9, v1, v9
	v_fma_f32 v15, -v3, v12, 1.0
	v_fma_f32 v16, -v11, v13, 1.0
	v_fmac_f32_e32 v12, v15, v12
	v_div_scale_f32 v14, s[0:1], v8, v0, v8
	v_fmac_f32_e32 v13, v16, v13
	v_mul_f32_e32 v15, v10, v12
	v_mul_f32_e32 v16, v14, v13
	v_fma_f32 v17, -v3, v15, v10
	v_fma_f32 v18, -v11, v16, v14
	v_fmac_f32_e32 v15, v17, v12
	v_fmac_f32_e32 v16, v18, v13
	v_fma_f32 v3, -v3, v15, v10
	v_fma_f32 v10, -v11, v16, v14
	v_div_fmas_f32 v3, v3, v12, v15
	s_mov_b64 vcc, s[0:1]
	v_div_fixup_f32 v9, v3, v1, v9
	v_div_fmas_f32 v3, v10, v13, v16
	v_div_fixup_f32 v8, v3, v0, v8
	global_store_dwordx2 v[6:7], v[8:9], off
	s_cbranch_scc1 .LBB113_15
; %bb.16:
	s_cmp_lg_u32 s2, s8
	s_cselect_b64 s[0:1], -1, 0
.LBB113_17:
	s_and_b64 vcc, exec, s[0:1]
	s_cbranch_vccz .LBB113_20
; %bb.18:
	v_ashrrev_i32_e32 v1, 31, v4
	v_add_co_u32_e32 v2, vcc, s2, v4
	v_addc_co_u32_e32 v3, vcc, 0, v1, vcc
	v_lshlrev_b64 v[2:3], 2, v[2:3]
	v_mov_b32_e32 v1, s13
	v_add_co_u32_e32 v2, vcc, s12, v2
	s_sub_i32 s0, s8, s2
	v_addc_co_u32_e32 v3, vcc, v1, v3, vcc
.LBB113_19:                             ; =>This Inner Loop Header: Depth=1
	global_load_dword v1, v[2:3], off
	s_add_i32 s0, s0, -1
	s_cmp_lg_u32 s0, 0
	s_waitcnt vmcnt(0)
	v_div_scale_f32 v4, s[2:3], v0, v0, v1
	v_rcp_f32_e32 v5, v4
	v_div_scale_f32 v6, vcc, v1, v0, v1
	v_fma_f32 v7, -v4, v5, 1.0
	v_fmac_f32_e32 v5, v7, v5
	v_mul_f32_e32 v7, v6, v5
	v_fma_f32 v8, -v4, v7, v6
	v_fmac_f32_e32 v7, v8, v5
	v_fma_f32 v4, -v4, v7, v6
	v_div_fmas_f32 v4, v4, v5, v7
	v_div_fixup_f32 v1, v4, v0, v1
	global_store_dword v[2:3], v1, off
	v_add_co_u32_e32 v2, vcc, 4, v2
	v_addc_co_u32_e32 v3, vcc, 0, v3, vcc
	s_cbranch_scc1 .LBB113_19
.LBB113_20:
	s_endpgm
	.section	.rodata,"a",@progbits
	.p2align	6, 0x0
	.amdhsa_kernel _ZN4vllm3moe10topkGatingILi8ELi8ELi4ELi16ELi64El6__halfLNS0_11ScoringFuncE0EEEvPKT5_PKbPfiPT4_PiiiibPKf
		.amdhsa_group_segment_fixed_size 0
		.amdhsa_private_segment_fixed_size 0
		.amdhsa_kernarg_size 72
		.amdhsa_user_sgpr_count 6
		.amdhsa_user_sgpr_private_segment_buffer 1
		.amdhsa_user_sgpr_dispatch_ptr 0
		.amdhsa_user_sgpr_queue_ptr 0
		.amdhsa_user_sgpr_kernarg_segment_ptr 1
		.amdhsa_user_sgpr_dispatch_id 0
		.amdhsa_user_sgpr_flat_scratch_init 0
		.amdhsa_user_sgpr_kernarg_preload_length 0
		.amdhsa_user_sgpr_kernarg_preload_offset 0
		.amdhsa_user_sgpr_private_segment_size 0
		.amdhsa_uses_dynamic_stack 0
		.amdhsa_system_sgpr_private_segment_wavefront_offset 0
		.amdhsa_system_sgpr_workgroup_id_x 1
		.amdhsa_system_sgpr_workgroup_id_y 0
		.amdhsa_system_sgpr_workgroup_id_z 0
		.amdhsa_system_sgpr_workgroup_info 0
		.amdhsa_system_vgpr_workitem_id 1
		.amdhsa_next_free_vgpr 32
		.amdhsa_next_free_sgpr 28
		.amdhsa_accum_offset 32
		.amdhsa_reserve_vcc 1
		.amdhsa_reserve_flat_scratch 0
		.amdhsa_float_round_mode_32 0
		.amdhsa_float_round_mode_16_64 0
		.amdhsa_float_denorm_mode_32 3
		.amdhsa_float_denorm_mode_16_64 3
		.amdhsa_dx10_clamp 1
		.amdhsa_ieee_mode 1
		.amdhsa_fp16_overflow 0
		.amdhsa_tg_split 0
		.amdhsa_exception_fp_ieee_invalid_op 0
		.amdhsa_exception_fp_denorm_src 0
		.amdhsa_exception_fp_ieee_div_zero 0
		.amdhsa_exception_fp_ieee_overflow 0
		.amdhsa_exception_fp_ieee_underflow 0
		.amdhsa_exception_fp_ieee_inexact 0
		.amdhsa_exception_int_div_zero 0
	.end_amdhsa_kernel
	.section	.text._ZN4vllm3moe10topkGatingILi8ELi8ELi4ELi16ELi64El6__halfLNS0_11ScoringFuncE0EEEvPKT5_PKbPfiPT4_PiiiibPKf,"axG",@progbits,_ZN4vllm3moe10topkGatingILi8ELi8ELi4ELi16ELi64El6__halfLNS0_11ScoringFuncE0EEEvPKT5_PKbPfiPT4_PiiiibPKf,comdat
.Lfunc_end113:
	.size	_ZN4vllm3moe10topkGatingILi8ELi8ELi4ELi16ELi64El6__halfLNS0_11ScoringFuncE0EEEvPKT5_PKbPfiPT4_PiiiibPKf, .Lfunc_end113-_ZN4vllm3moe10topkGatingILi8ELi8ELi4ELi16ELi64El6__halfLNS0_11ScoringFuncE0EEEvPKT5_PKbPfiPT4_PiiiibPKf
                                        ; -- End function
	.section	.AMDGPU.csdata,"",@progbits
; Kernel info:
; codeLenInByte = 2340
; NumSgprs: 32
; NumVgprs: 32
; NumAgprs: 0
; TotalNumVgprs: 32
; ScratchSize: 0
; MemoryBound: 1
; FloatMode: 240
; IeeeMode: 1
; LDSByteSize: 0 bytes/workgroup (compile time only)
; SGPRBlocks: 3
; VGPRBlocks: 3
; NumSGPRsForWavesPerEU: 32
; NumVGPRsForWavesPerEU: 32
; AccumOffset: 32
; Occupancy: 8
; WaveLimiterHint : 0
; COMPUTE_PGM_RSRC2:SCRATCH_EN: 0
; COMPUTE_PGM_RSRC2:USER_SGPR: 6
; COMPUTE_PGM_RSRC2:TRAP_HANDLER: 0
; COMPUTE_PGM_RSRC2:TGID_X_EN: 1
; COMPUTE_PGM_RSRC2:TGID_Y_EN: 0
; COMPUTE_PGM_RSRC2:TGID_Z_EN: 0
; COMPUTE_PGM_RSRC2:TIDIG_COMP_CNT: 1
; COMPUTE_PGM_RSRC3_GFX90A:ACCUM_OFFSET: 7
; COMPUTE_PGM_RSRC3_GFX90A:TG_SPLIT: 0
	.section	.text._ZN4vllm3moe10topkGatingILi8ELi8ELi4ELi16ELi32El6__halfLNS0_11ScoringFuncE0EEEvPKT5_PKbPfiPT4_PiiiibPKf,"axG",@progbits,_ZN4vllm3moe10topkGatingILi8ELi8ELi4ELi16ELi32El6__halfLNS0_11ScoringFuncE0EEEvPKT5_PKbPfiPT4_PiiiibPKf,comdat
	.protected	_ZN4vllm3moe10topkGatingILi8ELi8ELi4ELi16ELi32El6__halfLNS0_11ScoringFuncE0EEEvPKT5_PKbPfiPT4_PiiiibPKf ; -- Begin function _ZN4vllm3moe10topkGatingILi8ELi8ELi4ELi16ELi32El6__halfLNS0_11ScoringFuncE0EEEvPKT5_PKbPfiPT4_PiiiibPKf
	.globl	_ZN4vllm3moe10topkGatingILi8ELi8ELi4ELi16ELi32El6__halfLNS0_11ScoringFuncE0EEEvPKT5_PKbPfiPT4_PiiiibPKf
	.p2align	8
	.type	_ZN4vllm3moe10topkGatingILi8ELi8ELi4ELi16ELi32El6__halfLNS0_11ScoringFuncE0EEEvPKT5_PKbPfiPT4_PiiiibPKf,@function
_ZN4vllm3moe10topkGatingILi8ELi8ELi4ELi16ELi32El6__halfLNS0_11ScoringFuncE0EEEvPKT5_PKbPfiPT4_PiiiibPKf: ; @_ZN4vllm3moe10topkGatingILi8ELi8ELi4ELi16ELi32El6__halfLNS0_11ScoringFuncE0EEEvPKT5_PKbPfiPT4_PiiiibPKf
; %bb.0:
	s_load_dword s18, s[4:5], 0x18
	v_bfe_u32 v1, v0, 10, 10
	s_lshl_b32 s0, s6, 7
	v_lshlrev_b32_e32 v1, 5, v1
	v_and_b32_e32 v0, 0x3ff, v0
	v_add3_u32 v16, v1, v0, s0
	s_waitcnt lgkmcnt(0)
	v_cmp_gt_i32_e32 vcc, s18, v16
	s_and_saveexec_b64 s[0:1], vcc
	s_cbranch_execz .LBB114_20
; %bb.1:
	s_load_dwordx4 s[0:3], s[4:5], 0x0
	s_load_dwordx2 s[12:13], s[4:5], 0x10
	s_mov_b64 s[6:7], -1
	s_mov_b64 s[14:15], -1
	s_waitcnt lgkmcnt(0)
	s_cmp_eq_u64 s[2:3], 0
	s_cbranch_scc1 .LBB114_3
; %bb.2:
	v_ashrrev_i32_e32 v1, 31, v16
	v_mov_b32_e32 v2, s3
	v_add_co_u32_e32 v0, vcc, s2, v16
	v_addc_co_u32_e32 v1, vcc, v2, v1, vcc
	global_load_ubyte v0, v[0:1], off
	s_waitcnt vmcnt(0)
	v_and_b32_e32 v0, 1, v0
	v_cmp_eq_u32_e32 vcc, 1, v0
	s_xor_b64 s[2:3], vcc, -1
	s_orn2_b64 s[14:15], s[2:3], exec
.LBB114_3:
	v_lshlrev_b32_e32 v0, 3, v16
	v_ashrrev_i32_e32 v1, 31, v0
	v_lshlrev_b64 v[0:1], 1, v[0:1]
	v_mov_b32_e32 v2, s1
	v_add_co_u32_e32 v0, vcc, s0, v0
	v_addc_co_u32_e32 v1, vcc, v2, v1, vcc
	global_load_dwordx4 v[0:3], v[0:1], off
	v_mov_b32_e32 v9, 0x7f800000
	s_mov_b32 s2, 0x3fb8aa3b
	s_mov_b32 s0, 0xc2ce8ed0
	;; [unrolled: 1-line block ×3, first 2 shown]
	s_waitcnt vmcnt(0)
	v_cvt_f32_f16_e32 v4, v0
	v_cvt_f32_f16_sdwa v5, v0 dst_sel:DWORD dst_unused:UNUSED_PAD src0_sel:WORD_1
	v_cvt_f32_f16_e32 v0, v1
	v_cvt_f32_f16_sdwa v1, v1 dst_sel:DWORD dst_unused:UNUSED_PAD src0_sel:WORD_1
	;; [unrolled: 2-line block ×4, first 2 shown]
	v_max_f32_e32 v8, v4, v5
	v_max3_f32 v8, v8, v0, v1
	v_max3_f32 v8, v8, v6, v7
	;; [unrolled: 1-line block ×3, first 2 shown]
	v_pk_add_f32 v[4:5], v[4:5], v[8:9] op_sel_hi:[1,0] neg_lo:[0,1] neg_hi:[0,1]
	v_pk_add_f32 v[0:1], v[0:1], v[8:9] op_sel_hi:[1,0] neg_lo:[0,1] neg_hi:[0,1]
	;; [unrolled: 1-line block ×4, first 2 shown]
	v_mul_f32_e32 v8, 0x3fb8aa3b, v5
	v_mul_f32_e32 v10, 0x3fb8aa3b, v4
	v_fma_f32 v17, v5, s2, -v8
	v_rndne_f32_e32 v18, v8
	v_mul_f32_e32 v11, 0x3fb8aa3b, v1
	v_fma_f32 v19, v4, s2, -v10
	v_rndne_f32_e32 v20, v10
	v_fmac_f32_e32 v17, 0x32a5705f, v5
	v_sub_f32_e32 v8, v8, v18
	v_mul_f32_e32 v12, 0x3fb8aa3b, v0
	v_fma_f32 v21, v1, s2, -v11
	v_rndne_f32_e32 v22, v11
	v_fmac_f32_e32 v19, 0x32a5705f, v4
	v_sub_f32_e32 v10, v10, v20
	v_add_f32_e32 v8, v8, v17
	v_mul_f32_e32 v13, 0x3fb8aa3b, v7
	v_fma_f32 v23, v0, s2, -v12
	v_rndne_f32_e32 v24, v12
	v_cvt_i32_f32_e32 v18, v18
	v_fmac_f32_e32 v21, 0x32a5705f, v1
	v_sub_f32_e32 v11, v11, v22
	v_add_f32_e32 v10, v10, v19
	v_exp_f32_e32 v8, v8
	v_fma_f32 v25, v7, s2, -v13
	v_rndne_f32_e32 v26, v13
	v_cvt_i32_f32_e32 v20, v20
	v_fmac_f32_e32 v23, 0x32a5705f, v0
	v_sub_f32_e32 v12, v12, v24
	v_add_f32_e32 v11, v11, v21
	v_exp_f32_e32 v10, v10
	v_cvt_i32_f32_e32 v22, v22
	v_fmac_f32_e32 v25, 0x32a5705f, v7
	v_sub_f32_e32 v13, v13, v26
	v_add_f32_e32 v12, v12, v23
	v_exp_f32_e32 v11, v11
	v_cvt_i32_f32_e32 v24, v24
	v_add_f32_e32 v13, v13, v25
	v_exp_f32_e32 v12, v12
	v_cvt_i32_f32_e32 v26, v26
	v_exp_f32_e32 v13, v13
	v_ldexp_f32 v8, v8, v18
	v_cmp_ngt_f32_e32 vcc, s0, v5
	v_ldexp_f32 v10, v10, v20
	v_cndmask_b32_e32 v8, 0, v8, vcc
	v_cmp_ngt_f32_e32 vcc, s0, v4
	v_ldexp_f32 v11, v11, v22
	v_cndmask_b32_e32 v10, 0, v10, vcc
	;; [unrolled: 3-line block ×4, first 2 shown]
	v_cmp_ngt_f32_e32 vcc, s0, v7
	v_mul_f32_e32 v14, 0x3fb8aa3b, v6
	v_cndmask_b32_e32 v13, 0, v13, vcc
	v_cmp_nlt_f32_e32 vcc, s1, v5
	v_mul_f32_e32 v15, 0x3fb8aa3b, v3
	v_fma_f32 v27, v6, s2, -v14
	v_rndne_f32_e32 v28, v14
	v_cndmask_b32_e32 v5, v9, v8, vcc
	v_cmp_nlt_f32_e32 vcc, s1, v4
	v_fmac_f32_e32 v27, 0x32a5705f, v6
	v_sub_f32_e32 v14, v14, v28
	v_cndmask_b32_e32 v4, v9, v10, vcc
	v_cmp_nlt_f32_e32 vcc, s1, v1
	v_fma_f32 v8, v3, s2, -v15
	v_rndne_f32_e32 v10, v15
	v_add_f32_e32 v14, v14, v27
	v_cndmask_b32_e32 v1, v9, v11, vcc
	v_fmac_f32_e32 v8, 0x32a5705f, v3
	v_sub_f32_e32 v11, v15, v10
	v_cvt_i32_f32_e32 v28, v28
	v_exp_f32_e32 v14, v14
	v_add_f32_e32 v8, v11, v8
	v_exp_f32_e32 v8, v8
	v_cvt_i32_f32_e32 v10, v10
	v_cmp_nlt_f32_e32 vcc, s1, v0
	v_cndmask_b32_e32 v0, v9, v12, vcc
	v_cmp_nlt_f32_e32 vcc, s1, v7
	v_ldexp_f32 v14, v14, v28
	v_cndmask_b32_e32 v7, v9, v13, vcc
	v_cmp_ngt_f32_e32 vcc, s0, v6
	v_cndmask_b32_e32 v11, 0, v14, vcc
	v_cmp_nlt_f32_e32 vcc, s1, v6
	v_ldexp_f32 v8, v8, v10
	v_mul_f32_e32 v10, 0x3fb8aa3b, v2
	v_cndmask_b32_e32 v6, v9, v11, vcc
	v_fma_f32 v11, v2, s2, -v10
	v_rndne_f32_e32 v12, v10
	v_fmac_f32_e32 v11, 0x32a5705f, v2
	v_sub_f32_e32 v10, v10, v12
	v_add_f32_e32 v10, v10, v11
	v_exp_f32_e32 v10, v10
	v_cvt_i32_f32_e32 v11, v12
	v_cmp_ngt_f32_e32 vcc, s0, v3
	v_cndmask_b32_e32 v8, 0, v8, vcc
	v_cmp_nlt_f32_e32 vcc, s1, v3
	v_cndmask_b32_e32 v3, v9, v8, vcc
	v_ldexp_f32 v8, v10, v11
	v_cmp_ngt_f32_e32 vcc, s0, v2
	v_cndmask_b32_e32 v8, 0, v8, vcc
	v_cmp_nlt_f32_e32 vcc, s1, v2
	v_cndmask_b32_e32 v2, v9, v8, vcc
	v_add_f32_e32 v8, v4, v5
	v_add_f32_e32 v8, v8, v0
	;; [unrolled: 1-line block ×7, first 2 shown]
	v_div_scale_f32 v9, s[0:1], v8, v8, 1.0
	v_rcp_f32_e32 v10, v9
	s_load_dwordx2 s[0:1], s[4:5], 0x40
	v_fma_f32 v11, -v9, v10, 1.0
	v_fmac_f32_e32 v10, v11, v10
	v_div_scale_f32 v11, vcc, 1.0, v8, 1.0
	v_mul_f32_e32 v12, v11, v10
	v_fma_f32 v13, -v9, v12, v11
	v_fmac_f32_e32 v12, v13, v10
	v_fma_f32 v9, -v9, v12, v11
	v_div_fmas_f32 v9, v9, v10, v12
	v_div_fixup_f32 v8, v9, v8, 1.0
	v_pk_mul_f32 v[4:5], v[8:9], v[4:5] op_sel_hi:[0,1]
	v_mov_b32_e32 v12, 0x207
	v_cmp_class_f32_e32 vcc, v5, v12
	v_pk_mul_f32 v[10:11], v[8:9], v[0:1] op_sel_hi:[0,1]
	v_cndmask_b32_e64 v1, v5, 0, vcc
	v_cmp_class_f32_e32 vcc, v4, v12
	v_cndmask_b32_e64 v0, v4, 0, vcc
	v_cmp_class_f32_e32 vcc, v11, v12
	v_pk_mul_f32 v[6:7], v[8:9], v[6:7] op_sel_hi:[0,1]
	v_pk_mul_f32 v[8:9], v[8:9], v[2:3] op_sel_hi:[0,1]
	v_cndmask_b32_e64 v3, v11, 0, vcc
	v_cmp_class_f32_e32 vcc, v10, v12
	v_cndmask_b32_e64 v2, v10, 0, vcc
	v_cmp_class_f32_e32 vcc, v7, v12
	;; [unrolled: 2-line block ×5, first 2 shown]
	s_waitcnt lgkmcnt(0)
	s_cmp_eq_u64 s[0:1], 0
	v_cndmask_b32_e64 v6, v8, 0, vcc
	s_cbranch_scc1 .LBB114_10
; %bb.4:
	s_load_dwordx8 s[20:27], s[0:1], 0x0
	s_waitcnt lgkmcnt(0)
	v_pk_add_f32 v[8:9], s[20:21], v[0:1]
	v_pk_add_f32 v[10:11], s[22:23], v[2:3]
	;; [unrolled: 1-line block ×4, first 2 shown]
	s_cbranch_execnz .LBB114_6
.LBB114_5:
	v_pk_mov_b32 v[14:15], v[6:7], v[6:7] op_sel:[0,1]
	v_pk_mov_b32 v[12:13], v[4:5], v[4:5] op_sel:[0,1]
	;; [unrolled: 1-line block ×4, first 2 shown]
.LBB114_6:
	s_load_dwordx4 s[8:11], s[4:5], 0x30
	s_waitcnt lgkmcnt(0)
	s_bitcmp1_b32 s11, 0
	s_cselect_b64 vcc, -1, 0
	s_cmp_gt_i32 s8, 0
	s_cselect_b64 s[16:17], -1, 0
	s_cmp_lt_i32 s8, 1
	s_mov_b32 s11, 0
	s_cbranch_scc1 .LBB114_11
; %bb.7:
	s_load_dwordx4 s[4:7], s[4:5], 0x20
	v_mul_lo_u32 v18, v16, s8
	v_mov_b32_e32 v17, 0
	v_mov_b32_e32 v19, s13
	;; [unrolled: 1-line block ×3, first 2 shown]
	s_waitcnt lgkmcnt(0)
	v_mov_b32_e32 v20, s5
	v_mov_b32_e32 v21, s7
	;; [unrolled: 1-line block ×3, first 2 shown]
.LBB114_8:                              ; =>This Inner Loop Header: Depth=1
	v_cmp_gt_f32_e64 s[0:1], v9, v8
	v_cndmask_b32_e64 v24, v8, v9, s[0:1]
	v_cndmask_b32_e64 v25, v0, v1, s[0:1]
	v_cndmask_b32_e64 v26, 0, 1, s[0:1]
	v_cmp_gt_f32_e64 s[0:1], v10, v24
	v_cndmask_b32_e64 v24, v24, v10, s[0:1]
	v_cndmask_b32_e64 v25, v25, v2, s[0:1]
	v_cndmask_b32_e64 v26, v26, 2, s[0:1]
	;; [unrolled: 4-line block ×6, first 2 shown]
	v_cmp_gt_f32_e64 s[0:1], v15, v24
	v_add_u32_e32 v24, s11, v18
	v_cndmask_b32_e64 v30, v25, v7, s[0:1]
	v_cndmask_b32_e64 v31, v26, 7, s[0:1]
	v_ashrrev_i32_e32 v25, 31, v24
	v_cmp_le_i32_e64 s[0:1], s9, v31
	v_cmp_gt_i32_e64 s[2:3], s10, v31
	v_lshlrev_b64 v[26:27], 2, v[24:25]
	s_and_b64 s[2:3], s[0:1], s[2:3]
	v_add_co_u32_e64 v28, s[0:1], s12, v26
	v_addc_co_u32_e64 v29, s[0:1], v19, v27, s[0:1]
	global_store_dword v[28:29], v30, off
	v_subrev_u32_e32 v28, s9, v31
	v_ashrrev_i32_e32 v29, 31, v28
	s_and_b64 s[0:1], s[14:15], s[2:3]
	v_lshlrev_b64 v[24:25], 3, v[24:25]
	v_cndmask_b32_e64 v29, 0, v29, s[0:1]
	v_cndmask_b32_e64 v28, 8, v28, s[0:1]
	v_add_co_u32_e64 v24, s[0:1], s4, v24
	v_addc_co_u32_e64 v25, s[0:1], v20, v25, s[0:1]
	global_store_dwordx2 v[24:25], v[28:29], off
	v_add_co_u32_e64 v24, s[0:1], s6, v26
	v_addc_co_u32_e64 v25, s[0:1], v21, v27, s[0:1]
	global_store_dword v[24:25], v23, off
	v_add_f32_e32 v24, v17, v30
	v_cmp_ne_u32_e64 s[0:1], 0, v31
	v_cndmask_b32_e32 v17, v17, v24, vcc
	v_cndmask_b32_e64 v24, v22, v8, s[0:1]
	v_cmp_ne_u32_e64 s[0:1], 1, v31
	v_cndmask_b32_e64 v25, v22, v9, s[0:1]
	v_cmp_ne_u32_e64 s[0:1], 2, v31
	v_cndmask_b32_e64 v26, v22, v10, s[0:1]
	v_cmp_ne_u32_e64 s[0:1], 3, v31
	v_cndmask_b32_e64 v27, v22, v11, s[0:1]
	v_cmp_ne_u32_e64 s[0:1], 4, v31
	v_cndmask_b32_e64 v28, v22, v12, s[0:1]
	v_cmp_ne_u32_e64 s[0:1], 5, v31
	s_add_i32 s11, s11, 1
	v_cndmask_b32_e64 v29, v22, v13, s[0:1]
	v_cmp_ne_u32_e64 s[0:1], 6, v31
	s_cmp_lt_i32 s11, s8
	v_cndmask_b32_e64 v30, v22, v14, s[0:1]
	v_cmp_ne_u32_e64 s[0:1], 7, v31
	v_cndmask_b32_e64 v31, v22, v15, s[0:1]
	s_cselect_b64 s[0:1], -1, 0
	v_cndmask_b32_e64 v15, v15, v31, s[0:1]
	v_cndmask_b32_e64 v14, v14, v30, s[0:1]
	;; [unrolled: 1-line block ×8, first 2 shown]
	s_cmp_eq_u32 s8, s11
	v_add_u32_e32 v23, s18, v23
	s_cbranch_scc0 .LBB114_8
; %bb.9:
	s_and_b64 vcc, exec, vcc
	s_cbranch_vccnz .LBB114_12
	s_branch .LBB114_20
.LBB114_10:
                                        ; implicit-def: $vgpr8_vgpr9_vgpr10_vgpr11_vgpr12_vgpr13_vgpr14_vgpr15
	s_andn2_b64 vcc, exec, s[6:7]
	s_cbranch_vccz .LBB114_5
	s_branch .LBB114_6
.LBB114_11:
	v_mov_b32_e32 v17, 0
	s_and_b64 vcc, exec, vcc
	s_cbranch_vccz .LBB114_20
.LBB114_12:
	s_andn2_b64 vcc, exec, s[16:17]
	s_cbranch_vccnz .LBB114_20
; %bb.13:
	v_cmp_lt_f32_e32 vcc, 0, v17
	s_mov_b32 s2, 0
	v_cndmask_b32_e32 v0, 1.0, v17, vcc
	v_mul_lo_u32 v4, v16, s8
	s_cmp_eq_u32 s8, 1
	s_mov_b64 s[0:1], -1
	s_cbranch_scc1 .LBB114_17
; %bb.14:
	s_and_b32 s2, s8, 0x7ffffffe
	v_mov_b32_e32 v1, v0
	v_mov_b32_e32 v5, s13
	s_mov_b32 s3, s2
	v_mov_b32_e32 v2, v4
.LBB114_15:                             ; =>This Inner Loop Header: Depth=1
	v_ashrrev_i32_e32 v3, 31, v2
	v_lshlrev_b64 v[6:7], 2, v[2:3]
	v_add_co_u32_e32 v6, vcc, s12, v6
	v_addc_co_u32_e32 v7, vcc, v5, v7, vcc
	global_load_dwordx2 v[8:9], v[6:7], off
	s_add_i32 s3, s3, -2
	s_cmp_lg_u32 s3, 0
	v_add_u32_e32 v2, 2, v2
	s_waitcnt vmcnt(0)
	v_div_scale_f32 v3, s[0:1], v1, v1, v9
	v_div_scale_f32 v11, s[0:1], v0, v0, v8
	v_rcp_f32_e32 v12, v3
	v_rcp_f32_e32 v13, v11
	v_div_scale_f32 v10, vcc, v9, v1, v9
	v_fma_f32 v15, -v3, v12, 1.0
	v_fma_f32 v16, -v11, v13, 1.0
	v_fmac_f32_e32 v12, v15, v12
	v_div_scale_f32 v14, s[0:1], v8, v0, v8
	v_fmac_f32_e32 v13, v16, v13
	v_mul_f32_e32 v15, v10, v12
	v_mul_f32_e32 v16, v14, v13
	v_fma_f32 v17, -v3, v15, v10
	v_fma_f32 v18, -v11, v16, v14
	v_fmac_f32_e32 v15, v17, v12
	v_fmac_f32_e32 v16, v18, v13
	v_fma_f32 v3, -v3, v15, v10
	v_fma_f32 v10, -v11, v16, v14
	v_div_fmas_f32 v3, v3, v12, v15
	s_mov_b64 vcc, s[0:1]
	v_div_fixup_f32 v9, v3, v1, v9
	v_div_fmas_f32 v3, v10, v13, v16
	v_div_fixup_f32 v8, v3, v0, v8
	global_store_dwordx2 v[6:7], v[8:9], off
	s_cbranch_scc1 .LBB114_15
; %bb.16:
	s_cmp_lg_u32 s2, s8
	s_cselect_b64 s[0:1], -1, 0
.LBB114_17:
	s_and_b64 vcc, exec, s[0:1]
	s_cbranch_vccz .LBB114_20
; %bb.18:
	v_ashrrev_i32_e32 v1, 31, v4
	v_add_co_u32_e32 v2, vcc, s2, v4
	v_addc_co_u32_e32 v3, vcc, 0, v1, vcc
	v_lshlrev_b64 v[2:3], 2, v[2:3]
	v_mov_b32_e32 v1, s13
	v_add_co_u32_e32 v2, vcc, s12, v2
	s_sub_i32 s0, s8, s2
	v_addc_co_u32_e32 v3, vcc, v1, v3, vcc
.LBB114_19:                             ; =>This Inner Loop Header: Depth=1
	global_load_dword v1, v[2:3], off
	s_add_i32 s0, s0, -1
	s_cmp_lg_u32 s0, 0
	s_waitcnt vmcnt(0)
	v_div_scale_f32 v4, s[2:3], v0, v0, v1
	v_rcp_f32_e32 v5, v4
	v_div_scale_f32 v6, vcc, v1, v0, v1
	v_fma_f32 v7, -v4, v5, 1.0
	v_fmac_f32_e32 v5, v7, v5
	v_mul_f32_e32 v7, v6, v5
	v_fma_f32 v8, -v4, v7, v6
	v_fmac_f32_e32 v7, v8, v5
	v_fma_f32 v4, -v4, v7, v6
	v_div_fmas_f32 v4, v4, v5, v7
	v_div_fixup_f32 v1, v4, v0, v1
	global_store_dword v[2:3], v1, off
	v_add_co_u32_e32 v2, vcc, 4, v2
	v_addc_co_u32_e32 v3, vcc, 0, v3, vcc
	s_cbranch_scc1 .LBB114_19
.LBB114_20:
	s_endpgm
	.section	.rodata,"a",@progbits
	.p2align	6, 0x0
	.amdhsa_kernel _ZN4vllm3moe10topkGatingILi8ELi8ELi4ELi16ELi32El6__halfLNS0_11ScoringFuncE0EEEvPKT5_PKbPfiPT4_PiiiibPKf
		.amdhsa_group_segment_fixed_size 0
		.amdhsa_private_segment_fixed_size 0
		.amdhsa_kernarg_size 72
		.amdhsa_user_sgpr_count 6
		.amdhsa_user_sgpr_private_segment_buffer 1
		.amdhsa_user_sgpr_dispatch_ptr 0
		.amdhsa_user_sgpr_queue_ptr 0
		.amdhsa_user_sgpr_kernarg_segment_ptr 1
		.amdhsa_user_sgpr_dispatch_id 0
		.amdhsa_user_sgpr_flat_scratch_init 0
		.amdhsa_user_sgpr_kernarg_preload_length 0
		.amdhsa_user_sgpr_kernarg_preload_offset 0
		.amdhsa_user_sgpr_private_segment_size 0
		.amdhsa_uses_dynamic_stack 0
		.amdhsa_system_sgpr_private_segment_wavefront_offset 0
		.amdhsa_system_sgpr_workgroup_id_x 1
		.amdhsa_system_sgpr_workgroup_id_y 0
		.amdhsa_system_sgpr_workgroup_id_z 0
		.amdhsa_system_sgpr_workgroup_info 0
		.amdhsa_system_vgpr_workitem_id 1
		.amdhsa_next_free_vgpr 32
		.amdhsa_next_free_sgpr 28
		.amdhsa_accum_offset 32
		.amdhsa_reserve_vcc 1
		.amdhsa_reserve_flat_scratch 0
		.amdhsa_float_round_mode_32 0
		.amdhsa_float_round_mode_16_64 0
		.amdhsa_float_denorm_mode_32 3
		.amdhsa_float_denorm_mode_16_64 3
		.amdhsa_dx10_clamp 1
		.amdhsa_ieee_mode 1
		.amdhsa_fp16_overflow 0
		.amdhsa_tg_split 0
		.amdhsa_exception_fp_ieee_invalid_op 0
		.amdhsa_exception_fp_denorm_src 0
		.amdhsa_exception_fp_ieee_div_zero 0
		.amdhsa_exception_fp_ieee_overflow 0
		.amdhsa_exception_fp_ieee_underflow 0
		.amdhsa_exception_fp_ieee_inexact 0
		.amdhsa_exception_int_div_zero 0
	.end_amdhsa_kernel
	.section	.text._ZN4vllm3moe10topkGatingILi8ELi8ELi4ELi16ELi32El6__halfLNS0_11ScoringFuncE0EEEvPKT5_PKbPfiPT4_PiiiibPKf,"axG",@progbits,_ZN4vllm3moe10topkGatingILi8ELi8ELi4ELi16ELi32El6__halfLNS0_11ScoringFuncE0EEEvPKT5_PKbPfiPT4_PiiiibPKf,comdat
.Lfunc_end114:
	.size	_ZN4vllm3moe10topkGatingILi8ELi8ELi4ELi16ELi32El6__halfLNS0_11ScoringFuncE0EEEvPKT5_PKbPfiPT4_PiiiibPKf, .Lfunc_end114-_ZN4vllm3moe10topkGatingILi8ELi8ELi4ELi16ELi32El6__halfLNS0_11ScoringFuncE0EEEvPKT5_PKbPfiPT4_PiiiibPKf
                                        ; -- End function
	.section	.AMDGPU.csdata,"",@progbits
; Kernel info:
; codeLenInByte = 2340
; NumSgprs: 32
; NumVgprs: 32
; NumAgprs: 0
; TotalNumVgprs: 32
; ScratchSize: 0
; MemoryBound: 1
; FloatMode: 240
; IeeeMode: 1
; LDSByteSize: 0 bytes/workgroup (compile time only)
; SGPRBlocks: 3
; VGPRBlocks: 3
; NumSGPRsForWavesPerEU: 32
; NumVGPRsForWavesPerEU: 32
; AccumOffset: 32
; Occupancy: 8
; WaveLimiterHint : 0
; COMPUTE_PGM_RSRC2:SCRATCH_EN: 0
; COMPUTE_PGM_RSRC2:USER_SGPR: 6
; COMPUTE_PGM_RSRC2:TRAP_HANDLER: 0
; COMPUTE_PGM_RSRC2:TGID_X_EN: 1
; COMPUTE_PGM_RSRC2:TGID_Y_EN: 0
; COMPUTE_PGM_RSRC2:TGID_Z_EN: 0
; COMPUTE_PGM_RSRC2:TIDIG_COMP_CNT: 1
; COMPUTE_PGM_RSRC3_GFX90A:ACCUM_OFFSET: 7
; COMPUTE_PGM_RSRC3_GFX90A:TG_SPLIT: 0
	.section	.text._ZN4vllm3moe10topkGatingILi8ELi16ELi4ELi16ELi64El6__halfLNS0_11ScoringFuncE0EEEvPKT5_PKbPfiPT4_PiiiibPKf,"axG",@progbits,_ZN4vllm3moe10topkGatingILi8ELi16ELi4ELi16ELi64El6__halfLNS0_11ScoringFuncE0EEEvPKT5_PKbPfiPT4_PiiiibPKf,comdat
	.protected	_ZN4vllm3moe10topkGatingILi8ELi16ELi4ELi16ELi64El6__halfLNS0_11ScoringFuncE0EEEvPKT5_PKbPfiPT4_PiiiibPKf ; -- Begin function _ZN4vllm3moe10topkGatingILi8ELi16ELi4ELi16ELi64El6__halfLNS0_11ScoringFuncE0EEEvPKT5_PKbPfiPT4_PiiiibPKf
	.globl	_ZN4vllm3moe10topkGatingILi8ELi16ELi4ELi16ELi64El6__halfLNS0_11ScoringFuncE0EEEvPKT5_PKbPfiPT4_PiiiibPKf
	.p2align	8
	.type	_ZN4vllm3moe10topkGatingILi8ELi16ELi4ELi16ELi64El6__halfLNS0_11ScoringFuncE0EEEvPKT5_PKbPfiPT4_PiiiibPKf,@function
_ZN4vllm3moe10topkGatingILi8ELi16ELi4ELi16ELi64El6__halfLNS0_11ScoringFuncE0EEEvPKT5_PKbPfiPT4_PiiiibPKf: ; @_ZN4vllm3moe10topkGatingILi8ELi16ELi4ELi16ELi64El6__halfLNS0_11ScoringFuncE0EEEvPKT5_PKbPfiPT4_PiiiibPKf
; %bb.0:
	s_load_dword s24, s[4:5], 0x18
	v_bfe_u32 v1, v0, 10, 10
	v_and_b32_e32 v0, 0x3ff, v0
	s_lshl_b32 s0, s6, 7
	v_lshlrev_b32_e32 v1, 5, v1
	v_lshrrev_b32_e32 v2, 1, v0
	v_add3_u32 v16, s0, v1, v2
	s_waitcnt lgkmcnt(0)
	v_cmp_gt_i32_e32 vcc, s24, v16
	s_and_saveexec_b64 s[0:1], vcc
	s_cbranch_execz .LBB115_30
; %bb.1:
	s_load_dwordx4 s[0:3], s[4:5], 0x0
	s_load_dwordx2 s[6:7], s[4:5], 0x10
	s_mov_b64 s[8:9], -1
	s_mov_b64 s[16:17], -1
	s_waitcnt lgkmcnt(0)
	s_cmp_eq_u64 s[2:3], 0
	s_cbranch_scc1 .LBB115_3
; %bb.2:
	v_ashrrev_i32_e32 v1, 31, v16
	v_mov_b32_e32 v3, s3
	v_add_co_u32_e32 v2, vcc, s2, v16
	v_addc_co_u32_e32 v3, vcc, v3, v1, vcc
	global_load_ubyte v1, v[2:3], off
	s_waitcnt vmcnt(0)
	v_and_b32_e32 v1, 1, v1
	v_cmp_eq_u32_e32 vcc, 1, v1
	s_xor_b64 s[2:3], vcc, -1
	s_orn2_b64 s[16:17], s[2:3], exec
.LBB115_3:
	v_lshlrev_b32_e32 v2, 4, v16
	v_ashrrev_i32_e32 v3, 31, v2
	v_lshlrev_b64 v[2:3], 1, v[2:3]
	v_mov_b32_e32 v1, s1
	v_add_co_u32_e32 v2, vcc, s0, v2
	v_and_b32_e32 v17, 1, v0
	v_addc_co_u32_e32 v1, vcc, v1, v3, vcc
	v_lshlrev_b32_e32 v0, 4, v17
	v_add_co_u32_e32 v0, vcc, v2, v0
	v_addc_co_u32_e32 v1, vcc, 0, v1, vcc
	global_load_dwordx4 v[0:3], v[0:1], off
	v_mbcnt_lo_u32_b32 v4, -1, 0
	v_mbcnt_hi_u32_b32 v4, -1, v4
	v_and_b32_e32 v6, 0x7e, v4
	v_xor_b32_e32 v5, 1, v4
	v_add_u32_e32 v6, 2, v6
	v_cmp_lt_i32_e32 vcc, v5, v6
	v_cndmask_b32_e32 v4, v4, v5, vcc
	v_lshlrev_b32_e32 v18, 2, v4
	s_mov_b32 s2, 0x3fb8aa3b
	s_mov_b32 s0, 0xc2ce8ed0
	;; [unrolled: 1-line block ×3, first 2 shown]
	v_mov_b32_e32 v10, 0x7f800000
	s_waitcnt vmcnt(0)
	v_cvt_f32_f16_e32 v6, v0
	v_cvt_f32_f16_sdwa v7, v0 dst_sel:DWORD dst_unused:UNUSED_PAD src0_sel:WORD_1
	v_cvt_f32_f16_e32 v8, v1
	v_cvt_f32_f16_sdwa v4, v1 dst_sel:DWORD dst_unused:UNUSED_PAD src0_sel:WORD_1
	;; [unrolled: 2-line block ×3, first 2 shown]
	v_cvt_f32_f16_sdwa v9, v3 dst_sel:DWORD dst_unused:UNUSED_PAD src0_sel:WORD_1
	v_cvt_f32_f16_e32 v1, v3
	v_max_f32_e32 v2, v6, v7
	v_max3_f32 v2, v2, v8, v4
	v_max3_f32 v2, v2, v5, v0
	;; [unrolled: 1-line block ×3, first 2 shown]
	ds_bpermute_b32 v3, v18, v2
	s_waitcnt lgkmcnt(0)
	v_max_f32_e32 v3, v3, v3
	v_max_f32_e32 v2, v2, v3
	v_pk_add_f32 v[6:7], v[6:7], v[2:3] op_sel_hi:[1,0] neg_lo:[0,1] neg_hi:[0,1]
	v_sub_f32_e32 v3, v8, v2
	v_mul_f32_e32 v8, 0x3fb8aa3b, v7
	v_mul_f32_e32 v11, 0x3fb8aa3b, v6
	v_fma_f32 v19, v7, s2, -v8
	v_rndne_f32_e32 v20, v8
	v_pk_add_f32 v[4:5], v[4:5], v[2:3] op_sel_hi:[1,0] neg_lo:[0,1] neg_hi:[0,1]
	v_mul_f32_e32 v12, 0x3fb8aa3b, v3
	v_fma_f32 v21, v6, s2, -v11
	v_rndne_f32_e32 v22, v11
	v_fmac_f32_e32 v19, 0x32a5705f, v7
	v_sub_f32_e32 v8, v8, v20
	v_mul_f32_e32 v13, 0x3fb8aa3b, v5
	v_fma_f32 v23, v3, s2, -v12
	v_rndne_f32_e32 v24, v12
	v_fmac_f32_e32 v21, 0x32a5705f, v6
	v_sub_f32_e32 v11, v11, v22
	v_add_f32_e32 v8, v8, v19
	v_mul_f32_e32 v14, 0x3fb8aa3b, v4
	v_fma_f32 v25, v5, s2, -v13
	v_rndne_f32_e32 v26, v13
	v_cvt_i32_f32_e32 v20, v20
	v_fmac_f32_e32 v23, 0x32a5705f, v3
	v_sub_f32_e32 v12, v12, v24
	v_add_f32_e32 v11, v11, v21
	v_exp_f32_e32 v8, v8
	v_fma_f32 v27, v4, s2, -v14
	v_rndne_f32_e32 v28, v14
	v_cvt_i32_f32_e32 v22, v22
	v_fmac_f32_e32 v25, 0x32a5705f, v5
	v_sub_f32_e32 v13, v13, v26
	v_add_f32_e32 v12, v12, v23
	v_exp_f32_e32 v11, v11
	v_cvt_i32_f32_e32 v24, v24
	v_fmac_f32_e32 v27, 0x32a5705f, v4
	v_sub_f32_e32 v14, v14, v28
	v_add_f32_e32 v13, v13, v25
	v_exp_f32_e32 v12, v12
	v_cvt_i32_f32_e32 v26, v26
	v_add_f32_e32 v14, v14, v27
	v_exp_f32_e32 v13, v13
	v_cvt_i32_f32_e32 v28, v28
	v_exp_f32_e32 v14, v14
	v_ldexp_f32 v8, v8, v20
	v_cmp_ngt_f32_e32 vcc, s0, v7
	v_ldexp_f32 v11, v11, v22
	v_cndmask_b32_e32 v8, 0, v8, vcc
	v_cmp_ngt_f32_e32 vcc, s0, v6
	v_ldexp_f32 v12, v12, v24
	v_cndmask_b32_e32 v11, 0, v11, vcc
	;; [unrolled: 3-line block ×4, first 2 shown]
	v_cmp_ngt_f32_e32 vcc, s0, v4
	v_pk_add_f32 v[0:1], v[0:1], v[2:3] op_sel_hi:[1,0] neg_lo:[0,1] neg_hi:[0,1]
	v_cndmask_b32_e32 v14, 0, v14, vcc
	v_cmp_nlt_f32_e32 vcc, s1, v7
	v_mul_f32_e32 v15, 0x3fb8aa3b, v1
	v_cndmask_b32_e32 v7, v10, v8, vcc
	v_cmp_nlt_f32_e32 vcc, s1, v6
	v_fma_f32 v29, v1, s2, -v15
	v_cndmask_b32_e32 v6, v10, v11, vcc
	v_cmp_nlt_f32_e32 vcc, s1, v3
	v_rndne_f32_e32 v11, v15
	v_fmac_f32_e32 v29, 0x32a5705f, v1
	v_cndmask_b32_e32 v3, v10, v12, vcc
	v_sub_f32_e32 v12, v15, v11
	v_add_f32_e32 v12, v12, v29
	v_exp_f32_e32 v12, v12
	v_cvt_i32_f32_e32 v11, v11
	v_cmp_nlt_f32_e32 vcc, s1, v5
	v_cndmask_b32_e32 v5, v10, v13, vcc
	v_cmp_nlt_f32_e32 vcc, s1, v4
	v_ldexp_f32 v11, v12, v11
	v_mul_f32_e32 v12, 0x3fb8aa3b, v0
	v_cndmask_b32_e32 v4, v10, v14, vcc
	v_fma_f32 v13, v0, s2, -v12
	v_rndne_f32_e32 v14, v12
	v_fmac_f32_e32 v13, 0x32a5705f, v0
	v_sub_f32_e32 v12, v12, v14
	v_add_f32_e32 v12, v12, v13
	v_exp_f32_e32 v12, v12
	v_cvt_i32_f32_e32 v13, v14
	v_cmp_ngt_f32_e32 vcc, s0, v1
	v_sub_f32_e32 v2, v9, v2
	v_cndmask_b32_e32 v11, 0, v11, vcc
	v_cmp_nlt_f32_e32 vcc, s1, v1
	v_mul_f32_e32 v9, 0x3fb8aa3b, v2
	v_cndmask_b32_e32 v1, v10, v11, vcc
	v_ldexp_f32 v11, v12, v13
	v_fma_f32 v12, v2, s2, -v9
	v_rndne_f32_e32 v13, v9
	v_fmac_f32_e32 v12, 0x32a5705f, v2
	v_sub_f32_e32 v9, v9, v13
	v_add_f32_e32 v9, v9, v12
	v_exp_f32_e32 v9, v9
	v_cvt_i32_f32_e32 v12, v13
	v_add_f32_e32 v8, v6, v7
	v_add_f32_e32 v8, v8, v3
	v_cmp_ngt_f32_e32 vcc, s0, v0
	v_add_f32_e32 v8, v8, v4
	v_cndmask_b32_e32 v11, 0, v11, vcc
	v_cmp_nlt_f32_e32 vcc, s1, v0
	v_add_f32_e32 v8, v8, v5
	v_cndmask_b32_e32 v0, v10, v11, vcc
	v_ldexp_f32 v9, v9, v12
	v_cmp_ngt_f32_e32 vcc, s0, v2
	v_add_f32_e32 v8, v8, v0
	v_cndmask_b32_e32 v9, 0, v9, vcc
	v_cmp_nlt_f32_e32 vcc, s1, v2
	v_add_f32_e32 v8, v8, v1
	v_cndmask_b32_e32 v10, v10, v9, vcc
	v_add_f32_e32 v2, v8, v10
	ds_bpermute_b32 v8, v18, v2
	s_movk_i32 s2, 0x1f8
	v_lshlrev_b32_e32 v19, 3, v17
	s_waitcnt lgkmcnt(0)
	v_add_f32_e32 v2, v2, v8
	v_div_scale_f32 v8, s[0:1], v2, v2, 1.0
	v_rcp_f32_e32 v9, v8
	s_load_dwordx2 s[0:1], s[4:5], 0x40
	v_fma_f32 v11, -v8, v9, 1.0
	v_fmac_f32_e32 v9, v11, v9
	v_div_scale_f32 v11, vcc, 1.0, v2, 1.0
	v_mul_f32_e32 v12, v11, v9
	v_fma_f32 v13, -v8, v12, v11
	v_fmac_f32_e32 v12, v13, v9
	v_fma_f32 v8, -v8, v12, v11
	v_div_fmas_f32 v8, v8, v9, v12
	v_div_fixup_f32 v2, v8, v2, 1.0
	v_mul_f32_e32 v11, v2, v6
	v_mul_f32_e32 v12, v2, v7
	v_mul_f32_e32 v3, v2, v3
	v_cmp_class_f32_e64 vcc, v11, s2
	v_pk_mul_f32 v[8:9], v[2:3], v[0:1] op_sel_hi:[0,1]
	v_cndmask_b32_e32 v0, 0, v11, vcc
	v_cmp_class_f32_e64 vcc, v12, s2
	v_pk_mul_f32 v[6:7], v[2:3], v[4:5] op_sel_hi:[0,1]
	v_cndmask_b32_e32 v1, 0, v12, vcc
	v_cmp_class_f32_e64 vcc, v3, s2
	v_mov_b32_e32 v5, 0x207
	v_mul_f32_e32 v10, v2, v10
	v_cndmask_b32_e32 v2, 0, v3, vcc
	v_cmp_class_f32_e32 vcc, v7, v5
	v_cndmask_b32_e64 v4, v7, 0, vcc
	v_cmp_class_f32_e32 vcc, v6, v5
	v_cndmask_b32_e64 v3, v6, 0, vcc
	;; [unrolled: 2-line block ×4, first 2 shown]
	v_cmp_class_f32_e64 vcc, v10, s2
	s_waitcnt lgkmcnt(0)
	s_cmp_eq_u64 s[0:1], 0
	v_cndmask_b32_e32 v7, 0, v10, vcc
	s_cbranch_scc1 .LBB115_19
; %bb.4:
	v_lshlrev_b32_e32 v20, 2, v19
	global_load_dwordx4 v[8:11], v20, s[0:1]
	global_load_dwordx4 v[12:15], v20, s[0:1] offset:16
	s_waitcnt vmcnt(1)
	v_pk_add_f32 v[8:9], v[8:9], v[0:1]
	v_pk_add_f32 v[10:11], v[10:11], v[2:3]
	s_waitcnt vmcnt(0)
	v_pk_add_f32 v[12:13], v[12:13], v[4:5]
	v_pk_add_f32 v[14:15], v[14:15], v[6:7]
	s_cbranch_execnz .LBB115_6
.LBB115_5:
	v_pk_mov_b32 v[14:15], v[6:7], v[6:7] op_sel:[0,1]
	v_pk_mov_b32 v[12:13], v[4:5], v[4:5] op_sel:[0,1]
	;; [unrolled: 1-line block ×4, first 2 shown]
.LBB115_6:
	s_load_dwordx4 s[8:11], s[4:5], 0x30
	s_mov_b32 s25, 0
	v_cmp_eq_u32_e64 s[0:1], 0, v17
	s_waitcnt lgkmcnt(0)
	s_bitcmp1_b32 s11, 0
	s_cselect_b64 vcc, -1, 0
	s_cmp_gt_i32 s8, 0
	s_cselect_b64 s[18:19], -1, 0
	s_cmp_lt_i32 s8, 1
	s_cbranch_scc1 .LBB115_20
; %bb.7:
	s_load_dwordx4 s[12:15], s[4:5], 0x20
	v_mul_lo_u32 v21, v16, s8
	v_mov_b32_e32 v20, 0
	v_mov_b32_e32 v22, 0xc61c4000
	;; [unrolled: 1-line block ×3, first 2 shown]
	s_branch .LBB115_10
.LBB115_8:                              ;   in Loop: Header=BB115_10 Depth=1
	s_or_b64 exec, exec, s[4:5]
.LBB115_9:                              ;   in Loop: Header=BB115_10 Depth=1
	s_cmp_eq_u32 s8, s25
	v_add_u32_e32 v23, s24, v23
	s_cbranch_scc1 .LBB115_21
.LBB115_10:                             ; =>This Inner Loop Header: Depth=1
	v_cmp_gt_f32_e64 s[2:3], v9, v8
	v_cndmask_b32_e64 v24, v8, v9, s[2:3]
	v_cndmask_b32_e64 v25, v0, v1, s[2:3]
	v_cndmask_b32_e64 v26, 0, 1, s[2:3]
	v_cmp_gt_f32_e64 s[2:3], v10, v24
	v_cndmask_b32_e64 v24, v24, v10, s[2:3]
	v_cndmask_b32_e64 v25, v25, v2, s[2:3]
	v_cndmask_b32_e64 v26, v26, 2, s[2:3]
	v_cmp_gt_f32_e64 s[2:3], v11, v24
	v_cndmask_b32_e64 v24, v24, v11, s[2:3]
	v_cndmask_b32_e64 v25, v25, v3, s[2:3]
	v_cndmask_b32_e64 v26, v26, 3, s[2:3]
	v_cmp_gt_f32_e64 s[2:3], v12, v24
	v_cndmask_b32_e64 v24, v24, v12, s[2:3]
	v_cndmask_b32_e64 v25, v25, v4, s[2:3]
	v_cndmask_b32_e64 v26, v26, 4, s[2:3]
	v_cmp_gt_f32_e64 s[2:3], v13, v24
	v_cndmask_b32_e64 v24, v24, v13, s[2:3]
	v_cndmask_b32_e64 v25, v25, v5, s[2:3]
	v_cndmask_b32_e64 v26, v26, 5, s[2:3]
	v_cmp_gt_f32_e64 s[2:3], v14, v24
	v_cndmask_b32_e64 v24, v24, v14, s[2:3]
	v_cndmask_b32_e64 v25, v25, v6, s[2:3]
	v_cndmask_b32_e64 v26, v26, 6, s[2:3]
	v_cmp_gt_f32_e64 s[2:3], v15, v24
	v_cndmask_b32_e64 v28, v24, v15, s[2:3]
	v_cndmask_b32_e64 v24, v26, 7, s[2:3]
	v_cndmask_b32_e64 v25, v25, v7, s[2:3]
	v_or_b32_e32 v24, v19, v24
	ds_bpermute_b32 v29, v18, v28
	ds_bpermute_b32 v27, v18, v25
	;; [unrolled: 1-line block ×3, first 2 shown]
	s_waitcnt lgkmcnt(0)
	v_cmp_lt_f32_e64 s[20:21], v28, v29
	v_cmp_nlt_f32_e64 s[2:3], v28, v29
	s_and_saveexec_b64 s[22:23], s[2:3]
	s_cbranch_execnz .LBB115_14
; %bb.11:                               ;   in Loop: Header=BB115_10 Depth=1
	s_or_b64 exec, exec, s[22:23]
	s_and_saveexec_b64 s[2:3], s[20:21]
	s_cbranch_execnz .LBB115_15
.LBB115_12:                             ;   in Loop: Header=BB115_10 Depth=1
	s_or_b64 exec, exec, s[2:3]
	s_and_saveexec_b64 s[20:21], s[0:1]
	s_cbranch_execnz .LBB115_16
.LBB115_13:                             ;   in Loop: Header=BB115_10 Depth=1
	s_or_b64 exec, exec, s[20:21]
	s_add_i32 s25, s25, 1
	s_cmp_ge_i32 s25, s8
	s_cbranch_scc1 .LBB115_9
	s_branch .LBB115_17
.LBB115_14:                             ;   in Loop: Header=BB115_10 Depth=1
	v_cmp_eq_f32_e64 s[2:3], v28, v29
	v_cmp_lt_i32_e64 s[4:5], v26, v24
	s_and_b64 s[2:3], s[2:3], s[4:5]
	s_andn2_b64 s[4:5], s[20:21], exec
	s_and_b64 s[2:3], s[2:3], exec
	s_or_b64 s[20:21], s[4:5], s[2:3]
	s_or_b64 exec, exec, s[22:23]
	s_and_saveexec_b64 s[2:3], s[20:21]
	s_cbranch_execz .LBB115_12
.LBB115_15:                             ;   in Loop: Header=BB115_10 Depth=1
	v_mov_b32_e32 v25, v27
	v_mov_b32_e32 v24, v26
	s_or_b64 exec, exec, s[2:3]
	s_and_saveexec_b64 s[20:21], s[0:1]
	s_cbranch_execz .LBB115_13
.LBB115_16:                             ;   in Loop: Header=BB115_10 Depth=1
	v_add_u32_e32 v26, s25, v21
	v_ashrrev_i32_e32 v27, 31, v26
	v_cmp_le_i32_e64 s[2:3], s9, v24
	v_cmp_gt_i32_e64 s[4:5], s10, v24
	v_lshlrev_b64 v[28:29], 2, v[26:27]
	s_and_b64 s[4:5], s[2:3], s[4:5]
	v_mov_b32_e32 v31, s7
	v_add_co_u32_e64 v30, s[2:3], s6, v28
	v_addc_co_u32_e64 v31, s[2:3], v31, v29, s[2:3]
	global_store_dword v[30:31], v25, off
	v_subrev_u32_e32 v30, s9, v24
	v_ashrrev_i32_e32 v31, 31, v30
	s_and_b64 s[2:3], s[16:17], s[4:5]
	v_lshlrev_b64 v[26:27], 3, v[26:27]
	v_cndmask_b32_e64 v31, 0, v31, s[2:3]
	v_cndmask_b32_e64 v30, 16, v30, s[2:3]
	v_mov_b32_e32 v32, s13
	v_add_co_u32_e64 v26, s[2:3], s12, v26
	v_addc_co_u32_e64 v27, s[2:3], v32, v27, s[2:3]
	global_store_dwordx2 v[26:27], v[30:31], off
	v_mov_b32_e32 v27, s15
	v_add_co_u32_e64 v26, s[2:3], s14, v28
	v_add_f32_e32 v25, v20, v25
	v_addc_co_u32_e64 v27, s[2:3], v27, v29, s[2:3]
	v_cndmask_b32_e32 v20, v20, v25, vcc
	global_store_dword v[26:27], v23, off
	s_or_b64 exec, exec, s[20:21]
	s_add_i32 s25, s25, 1
	s_cmp_ge_i32 s25, s8
	s_cbranch_scc1 .LBB115_9
.LBB115_17:                             ;   in Loop: Header=BB115_10 Depth=1
	v_ashrrev_i32_e32 v26, 31, v24
	v_lshrrev_b32_e32 v25, 29, v26
	v_add_u32_e32 v27, v24, v25
	v_ashrrev_i32_e32 v25, 3, v27
	v_lshrrev_b32_e32 v27, 31, v27
	v_add_u32_e32 v27, v25, v27
	v_and_b32_e32 v27, -2, v27
	v_sub_u32_e32 v27, v25, v27
	v_cmp_eq_u32_e64 s[2:3], v17, v27
	s_and_saveexec_b64 s[4:5], s[2:3]
	s_cbranch_execz .LBB115_8
; %bb.18:                               ;   in Loop: Header=BB115_10 Depth=1
	v_lshrrev_b32_e32 v26, 28, v26
	v_add_u32_e32 v26, v24, v26
	v_lshlrev_b32_e32 v25, 3, v25
	v_ashrrev_i32_e32 v26, 4, v26
	v_sub_u32_e32 v24, v24, v25
	v_lshl_add_u32 v24, v26, 3, v24
	v_cmp_ne_u32_e64 s[2:3], 7, v24
	v_cndmask_b32_e64 v15, v22, v15, s[2:3]
	v_cmp_ne_u32_e64 s[2:3], 6, v24
	v_cndmask_b32_e64 v14, v22, v14, s[2:3]
	;; [unrolled: 2-line block ×8, first 2 shown]
	s_branch .LBB115_8
.LBB115_19:
                                        ; implicit-def: $vgpr8_vgpr9_vgpr10_vgpr11_vgpr12_vgpr13_vgpr14_vgpr15
	s_andn2_b64 vcc, exec, s[8:9]
	s_cbranch_vccz .LBB115_5
	s_branch .LBB115_6
.LBB115_20:
	v_mov_b32_e32 v20, 0
.LBB115_21:
	v_cmp_eq_u32_e64 s[0:1], 0, v17
	s_and_b64 s[0:1], s[0:1], vcc
	s_and_b64 exec, exec, s[0:1]
	s_cbranch_execz .LBB115_30
; %bb.22:
	s_andn2_b64 vcc, exec, s[18:19]
	s_cbranch_vccnz .LBB115_30
; %bb.23:
	v_cmp_lt_f32_e32 vcc, 0, v20
	s_mov_b32 s2, 0
	v_cndmask_b32_e32 v0, 1.0, v20, vcc
	v_mul_lo_u32 v4, v16, s8
	s_cmp_eq_u32 s8, 1
	s_mov_b64 s[0:1], -1
	s_cbranch_scc1 .LBB115_27
; %bb.24:
	s_and_b32 s2, s8, 0x7ffffffe
	v_mov_b32_e32 v1, v0
	v_mov_b32_e32 v5, s7
	s_mov_b32 s3, s2
	v_mov_b32_e32 v2, v4
.LBB115_25:                             ; =>This Inner Loop Header: Depth=1
	v_ashrrev_i32_e32 v3, 31, v2
	v_lshlrev_b64 v[6:7], 2, v[2:3]
	v_add_co_u32_e32 v6, vcc, s6, v6
	v_addc_co_u32_e32 v7, vcc, v5, v7, vcc
	global_load_dwordx2 v[8:9], v[6:7], off
	s_add_i32 s3, s3, -2
	s_cmp_lg_u32 s3, 0
	v_add_u32_e32 v2, 2, v2
	s_waitcnt vmcnt(0)
	v_div_scale_f32 v3, s[0:1], v1, v1, v9
	v_div_scale_f32 v11, s[0:1], v0, v0, v8
	v_rcp_f32_e32 v12, v3
	v_rcp_f32_e32 v13, v11
	v_div_scale_f32 v10, vcc, v9, v1, v9
	v_fma_f32 v15, -v3, v12, 1.0
	v_fma_f32 v16, -v11, v13, 1.0
	v_fmac_f32_e32 v12, v15, v12
	v_div_scale_f32 v14, s[0:1], v8, v0, v8
	v_fmac_f32_e32 v13, v16, v13
	v_mul_f32_e32 v15, v10, v12
	v_mul_f32_e32 v16, v14, v13
	v_fma_f32 v17, -v3, v15, v10
	v_fma_f32 v18, -v11, v16, v14
	v_fmac_f32_e32 v15, v17, v12
	v_fmac_f32_e32 v16, v18, v13
	v_fma_f32 v3, -v3, v15, v10
	v_fma_f32 v10, -v11, v16, v14
	v_div_fmas_f32 v3, v3, v12, v15
	s_mov_b64 vcc, s[0:1]
	v_div_fixup_f32 v9, v3, v1, v9
	v_div_fmas_f32 v3, v10, v13, v16
	v_div_fixup_f32 v8, v3, v0, v8
	global_store_dwordx2 v[6:7], v[8:9], off
	s_cbranch_scc1 .LBB115_25
; %bb.26:
	s_cmp_lg_u32 s2, s8
	s_cselect_b64 s[0:1], -1, 0
.LBB115_27:
	s_and_b64 vcc, exec, s[0:1]
	s_cbranch_vccz .LBB115_30
; %bb.28:
	v_ashrrev_i32_e32 v1, 31, v4
	v_add_co_u32_e32 v2, vcc, s2, v4
	v_addc_co_u32_e32 v3, vcc, 0, v1, vcc
	v_lshlrev_b64 v[2:3], 2, v[2:3]
	v_mov_b32_e32 v1, s7
	v_add_co_u32_e32 v2, vcc, s6, v2
	s_sub_i32 s0, s8, s2
	v_addc_co_u32_e32 v3, vcc, v1, v3, vcc
.LBB115_29:                             ; =>This Inner Loop Header: Depth=1
	global_load_dword v1, v[2:3], off
	s_add_i32 s0, s0, -1
	s_cmp_lg_u32 s0, 0
	s_waitcnt vmcnt(0)
	v_div_scale_f32 v4, s[2:3], v0, v0, v1
	v_rcp_f32_e32 v5, v4
	v_div_scale_f32 v6, vcc, v1, v0, v1
	v_fma_f32 v7, -v4, v5, 1.0
	v_fmac_f32_e32 v5, v7, v5
	v_mul_f32_e32 v7, v6, v5
	v_fma_f32 v8, -v4, v7, v6
	v_fmac_f32_e32 v7, v8, v5
	v_fma_f32 v4, -v4, v7, v6
	v_div_fmas_f32 v4, v4, v5, v7
	v_div_fixup_f32 v1, v4, v0, v1
	global_store_dword v[2:3], v1, off
	v_add_co_u32_e32 v2, vcc, 4, v2
	v_addc_co_u32_e32 v3, vcc, 0, v3, vcc
	s_cbranch_scc1 .LBB115_29
.LBB115_30:
	s_endpgm
	.section	.rodata,"a",@progbits
	.p2align	6, 0x0
	.amdhsa_kernel _ZN4vllm3moe10topkGatingILi8ELi16ELi4ELi16ELi64El6__halfLNS0_11ScoringFuncE0EEEvPKT5_PKbPfiPT4_PiiiibPKf
		.amdhsa_group_segment_fixed_size 0
		.amdhsa_private_segment_fixed_size 0
		.amdhsa_kernarg_size 72
		.amdhsa_user_sgpr_count 6
		.amdhsa_user_sgpr_private_segment_buffer 1
		.amdhsa_user_sgpr_dispatch_ptr 0
		.amdhsa_user_sgpr_queue_ptr 0
		.amdhsa_user_sgpr_kernarg_segment_ptr 1
		.amdhsa_user_sgpr_dispatch_id 0
		.amdhsa_user_sgpr_flat_scratch_init 0
		.amdhsa_user_sgpr_kernarg_preload_length 0
		.amdhsa_user_sgpr_kernarg_preload_offset 0
		.amdhsa_user_sgpr_private_segment_size 0
		.amdhsa_uses_dynamic_stack 0
		.amdhsa_system_sgpr_private_segment_wavefront_offset 0
		.amdhsa_system_sgpr_workgroup_id_x 1
		.amdhsa_system_sgpr_workgroup_id_y 0
		.amdhsa_system_sgpr_workgroup_id_z 0
		.amdhsa_system_sgpr_workgroup_info 0
		.amdhsa_system_vgpr_workitem_id 1
		.amdhsa_next_free_vgpr 33
		.amdhsa_next_free_sgpr 26
		.amdhsa_accum_offset 36
		.amdhsa_reserve_vcc 1
		.amdhsa_reserve_flat_scratch 0
		.amdhsa_float_round_mode_32 0
		.amdhsa_float_round_mode_16_64 0
		.amdhsa_float_denorm_mode_32 3
		.amdhsa_float_denorm_mode_16_64 3
		.amdhsa_dx10_clamp 1
		.amdhsa_ieee_mode 1
		.amdhsa_fp16_overflow 0
		.amdhsa_tg_split 0
		.amdhsa_exception_fp_ieee_invalid_op 0
		.amdhsa_exception_fp_denorm_src 0
		.amdhsa_exception_fp_ieee_div_zero 0
		.amdhsa_exception_fp_ieee_overflow 0
		.amdhsa_exception_fp_ieee_underflow 0
		.amdhsa_exception_fp_ieee_inexact 0
		.amdhsa_exception_int_div_zero 0
	.end_amdhsa_kernel
	.section	.text._ZN4vllm3moe10topkGatingILi8ELi16ELi4ELi16ELi64El6__halfLNS0_11ScoringFuncE0EEEvPKT5_PKbPfiPT4_PiiiibPKf,"axG",@progbits,_ZN4vllm3moe10topkGatingILi8ELi16ELi4ELi16ELi64El6__halfLNS0_11ScoringFuncE0EEEvPKT5_PKbPfiPT4_PiiiibPKf,comdat
.Lfunc_end115:
	.size	_ZN4vllm3moe10topkGatingILi8ELi16ELi4ELi16ELi64El6__halfLNS0_11ScoringFuncE0EEEvPKT5_PKbPfiPT4_PiiiibPKf, .Lfunc_end115-_ZN4vllm3moe10topkGatingILi8ELi16ELi4ELi16ELi64El6__halfLNS0_11ScoringFuncE0EEEvPKT5_PKbPfiPT4_PiiiibPKf
                                        ; -- End function
	.section	.AMDGPU.csdata,"",@progbits
; Kernel info:
; codeLenInByte = 2668
; NumSgprs: 30
; NumVgprs: 33
; NumAgprs: 0
; TotalNumVgprs: 33
; ScratchSize: 0
; MemoryBound: 0
; FloatMode: 240
; IeeeMode: 1
; LDSByteSize: 0 bytes/workgroup (compile time only)
; SGPRBlocks: 3
; VGPRBlocks: 4
; NumSGPRsForWavesPerEU: 30
; NumVGPRsForWavesPerEU: 33
; AccumOffset: 36
; Occupancy: 8
; WaveLimiterHint : 0
; COMPUTE_PGM_RSRC2:SCRATCH_EN: 0
; COMPUTE_PGM_RSRC2:USER_SGPR: 6
; COMPUTE_PGM_RSRC2:TRAP_HANDLER: 0
; COMPUTE_PGM_RSRC2:TGID_X_EN: 1
; COMPUTE_PGM_RSRC2:TGID_Y_EN: 0
; COMPUTE_PGM_RSRC2:TGID_Z_EN: 0
; COMPUTE_PGM_RSRC2:TIDIG_COMP_CNT: 1
; COMPUTE_PGM_RSRC3_GFX90A:ACCUM_OFFSET: 8
; COMPUTE_PGM_RSRC3_GFX90A:TG_SPLIT: 0
	.section	.text._ZN4vllm3moe10topkGatingILi8ELi16ELi4ELi16ELi32El6__halfLNS0_11ScoringFuncE0EEEvPKT5_PKbPfiPT4_PiiiibPKf,"axG",@progbits,_ZN4vllm3moe10topkGatingILi8ELi16ELi4ELi16ELi32El6__halfLNS0_11ScoringFuncE0EEEvPKT5_PKbPfiPT4_PiiiibPKf,comdat
	.protected	_ZN4vllm3moe10topkGatingILi8ELi16ELi4ELi16ELi32El6__halfLNS0_11ScoringFuncE0EEEvPKT5_PKbPfiPT4_PiiiibPKf ; -- Begin function _ZN4vllm3moe10topkGatingILi8ELi16ELi4ELi16ELi32El6__halfLNS0_11ScoringFuncE0EEEvPKT5_PKbPfiPT4_PiiiibPKf
	.globl	_ZN4vllm3moe10topkGatingILi8ELi16ELi4ELi16ELi32El6__halfLNS0_11ScoringFuncE0EEEvPKT5_PKbPfiPT4_PiiiibPKf
	.p2align	8
	.type	_ZN4vllm3moe10topkGatingILi8ELi16ELi4ELi16ELi32El6__halfLNS0_11ScoringFuncE0EEEvPKT5_PKbPfiPT4_PiiiibPKf,@function
_ZN4vllm3moe10topkGatingILi8ELi16ELi4ELi16ELi32El6__halfLNS0_11ScoringFuncE0EEEvPKT5_PKbPfiPT4_PiiiibPKf: ; @_ZN4vllm3moe10topkGatingILi8ELi16ELi4ELi16ELi32El6__halfLNS0_11ScoringFuncE0EEEvPKT5_PKbPfiPT4_PiiiibPKf
; %bb.0:
	s_load_dword s24, s[4:5], 0x18
	v_bfe_u32 v1, v0, 10, 10
	v_and_b32_e32 v0, 0x3ff, v0
	s_lshl_b32 s0, s6, 6
	v_lshlrev_b32_e32 v1, 4, v1
	v_lshrrev_b32_e32 v2, 1, v0
	v_add3_u32 v16, s0, v1, v2
	s_waitcnt lgkmcnt(0)
	v_cmp_gt_i32_e32 vcc, s24, v16
	s_and_saveexec_b64 s[0:1], vcc
	s_cbranch_execz .LBB116_30
; %bb.1:
	s_load_dwordx4 s[0:3], s[4:5], 0x0
	s_load_dwordx2 s[6:7], s[4:5], 0x10
	s_mov_b64 s[8:9], -1
	s_mov_b64 s[16:17], -1
	s_waitcnt lgkmcnt(0)
	s_cmp_eq_u64 s[2:3], 0
	s_cbranch_scc1 .LBB116_3
; %bb.2:
	v_ashrrev_i32_e32 v1, 31, v16
	v_mov_b32_e32 v3, s3
	v_add_co_u32_e32 v2, vcc, s2, v16
	v_addc_co_u32_e32 v3, vcc, v3, v1, vcc
	global_load_ubyte v1, v[2:3], off
	s_waitcnt vmcnt(0)
	v_and_b32_e32 v1, 1, v1
	v_cmp_eq_u32_e32 vcc, 1, v1
	s_xor_b64 s[2:3], vcc, -1
	s_orn2_b64 s[16:17], s[2:3], exec
.LBB116_3:
	v_lshlrev_b32_e32 v2, 4, v16
	v_ashrrev_i32_e32 v3, 31, v2
	v_lshlrev_b64 v[2:3], 1, v[2:3]
	v_mov_b32_e32 v1, s1
	v_add_co_u32_e32 v2, vcc, s0, v2
	v_and_b32_e32 v17, 1, v0
	v_addc_co_u32_e32 v1, vcc, v1, v3, vcc
	v_lshlrev_b32_e32 v0, 4, v17
	v_add_co_u32_e32 v0, vcc, v2, v0
	v_addc_co_u32_e32 v1, vcc, 0, v1, vcc
	global_load_dwordx4 v[0:3], v[0:1], off
	v_mbcnt_lo_u32_b32 v4, -1, 0
	v_mbcnt_hi_u32_b32 v4, -1, v4
	v_and_b32_e32 v6, 0x7e, v4
	v_xor_b32_e32 v5, 1, v4
	v_add_u32_e32 v6, 2, v6
	v_cmp_lt_i32_e32 vcc, v5, v6
	v_cndmask_b32_e32 v4, v4, v5, vcc
	v_lshlrev_b32_e32 v18, 2, v4
	s_mov_b32 s2, 0x3fb8aa3b
	s_mov_b32 s0, 0xc2ce8ed0
	;; [unrolled: 1-line block ×3, first 2 shown]
	v_mov_b32_e32 v10, 0x7f800000
	s_waitcnt vmcnt(0)
	v_cvt_f32_f16_e32 v6, v0
	v_cvt_f32_f16_sdwa v7, v0 dst_sel:DWORD dst_unused:UNUSED_PAD src0_sel:WORD_1
	v_cvt_f32_f16_e32 v8, v1
	v_cvt_f32_f16_sdwa v4, v1 dst_sel:DWORD dst_unused:UNUSED_PAD src0_sel:WORD_1
	;; [unrolled: 2-line block ×3, first 2 shown]
	v_cvt_f32_f16_sdwa v9, v3 dst_sel:DWORD dst_unused:UNUSED_PAD src0_sel:WORD_1
	v_cvt_f32_f16_e32 v1, v3
	v_max_f32_e32 v2, v6, v7
	v_max3_f32 v2, v2, v8, v4
	v_max3_f32 v2, v2, v5, v0
	;; [unrolled: 1-line block ×3, first 2 shown]
	ds_bpermute_b32 v3, v18, v2
	s_waitcnt lgkmcnt(0)
	v_max_f32_e32 v3, v3, v3
	v_max_f32_e32 v2, v2, v3
	v_pk_add_f32 v[6:7], v[6:7], v[2:3] op_sel_hi:[1,0] neg_lo:[0,1] neg_hi:[0,1]
	v_sub_f32_e32 v3, v8, v2
	v_mul_f32_e32 v8, 0x3fb8aa3b, v7
	v_mul_f32_e32 v11, 0x3fb8aa3b, v6
	v_fma_f32 v19, v7, s2, -v8
	v_rndne_f32_e32 v20, v8
	v_pk_add_f32 v[4:5], v[4:5], v[2:3] op_sel_hi:[1,0] neg_lo:[0,1] neg_hi:[0,1]
	v_mul_f32_e32 v12, 0x3fb8aa3b, v3
	v_fma_f32 v21, v6, s2, -v11
	v_rndne_f32_e32 v22, v11
	v_fmac_f32_e32 v19, 0x32a5705f, v7
	v_sub_f32_e32 v8, v8, v20
	v_mul_f32_e32 v13, 0x3fb8aa3b, v5
	v_fma_f32 v23, v3, s2, -v12
	v_rndne_f32_e32 v24, v12
	v_fmac_f32_e32 v21, 0x32a5705f, v6
	v_sub_f32_e32 v11, v11, v22
	v_add_f32_e32 v8, v8, v19
	v_mul_f32_e32 v14, 0x3fb8aa3b, v4
	v_fma_f32 v25, v5, s2, -v13
	v_rndne_f32_e32 v26, v13
	v_cvt_i32_f32_e32 v20, v20
	v_fmac_f32_e32 v23, 0x32a5705f, v3
	v_sub_f32_e32 v12, v12, v24
	v_add_f32_e32 v11, v11, v21
	v_exp_f32_e32 v8, v8
	v_fma_f32 v27, v4, s2, -v14
	v_rndne_f32_e32 v28, v14
	v_cvt_i32_f32_e32 v22, v22
	v_fmac_f32_e32 v25, 0x32a5705f, v5
	v_sub_f32_e32 v13, v13, v26
	v_add_f32_e32 v12, v12, v23
	v_exp_f32_e32 v11, v11
	v_cvt_i32_f32_e32 v24, v24
	v_fmac_f32_e32 v27, 0x32a5705f, v4
	v_sub_f32_e32 v14, v14, v28
	v_add_f32_e32 v13, v13, v25
	v_exp_f32_e32 v12, v12
	v_cvt_i32_f32_e32 v26, v26
	v_add_f32_e32 v14, v14, v27
	v_exp_f32_e32 v13, v13
	v_cvt_i32_f32_e32 v28, v28
	v_exp_f32_e32 v14, v14
	v_ldexp_f32 v8, v8, v20
	v_cmp_ngt_f32_e32 vcc, s0, v7
	v_ldexp_f32 v11, v11, v22
	v_cndmask_b32_e32 v8, 0, v8, vcc
	v_cmp_ngt_f32_e32 vcc, s0, v6
	v_ldexp_f32 v12, v12, v24
	v_cndmask_b32_e32 v11, 0, v11, vcc
	;; [unrolled: 3-line block ×4, first 2 shown]
	v_cmp_ngt_f32_e32 vcc, s0, v4
	v_pk_add_f32 v[0:1], v[0:1], v[2:3] op_sel_hi:[1,0] neg_lo:[0,1] neg_hi:[0,1]
	v_cndmask_b32_e32 v14, 0, v14, vcc
	v_cmp_nlt_f32_e32 vcc, s1, v7
	v_mul_f32_e32 v15, 0x3fb8aa3b, v1
	v_cndmask_b32_e32 v7, v10, v8, vcc
	v_cmp_nlt_f32_e32 vcc, s1, v6
	v_fma_f32 v29, v1, s2, -v15
	v_cndmask_b32_e32 v6, v10, v11, vcc
	v_cmp_nlt_f32_e32 vcc, s1, v3
	v_rndne_f32_e32 v11, v15
	v_fmac_f32_e32 v29, 0x32a5705f, v1
	v_cndmask_b32_e32 v3, v10, v12, vcc
	v_sub_f32_e32 v12, v15, v11
	v_add_f32_e32 v12, v12, v29
	v_exp_f32_e32 v12, v12
	v_cvt_i32_f32_e32 v11, v11
	v_cmp_nlt_f32_e32 vcc, s1, v5
	v_cndmask_b32_e32 v5, v10, v13, vcc
	v_cmp_nlt_f32_e32 vcc, s1, v4
	v_ldexp_f32 v11, v12, v11
	v_mul_f32_e32 v12, 0x3fb8aa3b, v0
	v_cndmask_b32_e32 v4, v10, v14, vcc
	v_fma_f32 v13, v0, s2, -v12
	v_rndne_f32_e32 v14, v12
	v_fmac_f32_e32 v13, 0x32a5705f, v0
	v_sub_f32_e32 v12, v12, v14
	v_add_f32_e32 v12, v12, v13
	v_exp_f32_e32 v12, v12
	v_cvt_i32_f32_e32 v13, v14
	v_cmp_ngt_f32_e32 vcc, s0, v1
	v_sub_f32_e32 v2, v9, v2
	v_cndmask_b32_e32 v11, 0, v11, vcc
	v_cmp_nlt_f32_e32 vcc, s1, v1
	v_mul_f32_e32 v9, 0x3fb8aa3b, v2
	v_cndmask_b32_e32 v1, v10, v11, vcc
	v_ldexp_f32 v11, v12, v13
	v_fma_f32 v12, v2, s2, -v9
	v_rndne_f32_e32 v13, v9
	v_fmac_f32_e32 v12, 0x32a5705f, v2
	v_sub_f32_e32 v9, v9, v13
	v_add_f32_e32 v9, v9, v12
	v_exp_f32_e32 v9, v9
	v_cvt_i32_f32_e32 v12, v13
	v_add_f32_e32 v8, v6, v7
	v_add_f32_e32 v8, v8, v3
	v_cmp_ngt_f32_e32 vcc, s0, v0
	v_add_f32_e32 v8, v8, v4
	v_cndmask_b32_e32 v11, 0, v11, vcc
	v_cmp_nlt_f32_e32 vcc, s1, v0
	v_add_f32_e32 v8, v8, v5
	v_cndmask_b32_e32 v0, v10, v11, vcc
	v_ldexp_f32 v9, v9, v12
	v_cmp_ngt_f32_e32 vcc, s0, v2
	v_add_f32_e32 v8, v8, v0
	v_cndmask_b32_e32 v9, 0, v9, vcc
	v_cmp_nlt_f32_e32 vcc, s1, v2
	v_add_f32_e32 v8, v8, v1
	v_cndmask_b32_e32 v10, v10, v9, vcc
	v_add_f32_e32 v2, v8, v10
	ds_bpermute_b32 v8, v18, v2
	s_movk_i32 s2, 0x1f8
	v_lshlrev_b32_e32 v19, 3, v17
	s_waitcnt lgkmcnt(0)
	v_add_f32_e32 v2, v2, v8
	v_div_scale_f32 v8, s[0:1], v2, v2, 1.0
	v_rcp_f32_e32 v9, v8
	s_load_dwordx2 s[0:1], s[4:5], 0x40
	v_fma_f32 v11, -v8, v9, 1.0
	v_fmac_f32_e32 v9, v11, v9
	v_div_scale_f32 v11, vcc, 1.0, v2, 1.0
	v_mul_f32_e32 v12, v11, v9
	v_fma_f32 v13, -v8, v12, v11
	v_fmac_f32_e32 v12, v13, v9
	v_fma_f32 v8, -v8, v12, v11
	v_div_fmas_f32 v8, v8, v9, v12
	v_div_fixup_f32 v2, v8, v2, 1.0
	v_mul_f32_e32 v11, v2, v6
	v_mul_f32_e32 v12, v2, v7
	;; [unrolled: 1-line block ×3, first 2 shown]
	v_cmp_class_f32_e64 vcc, v11, s2
	v_pk_mul_f32 v[8:9], v[2:3], v[0:1] op_sel_hi:[0,1]
	v_cndmask_b32_e32 v0, 0, v11, vcc
	v_cmp_class_f32_e64 vcc, v12, s2
	v_pk_mul_f32 v[6:7], v[2:3], v[4:5] op_sel_hi:[0,1]
	v_cndmask_b32_e32 v1, 0, v12, vcc
	v_cmp_class_f32_e64 vcc, v3, s2
	v_mov_b32_e32 v5, 0x207
	v_mul_f32_e32 v10, v2, v10
	v_cndmask_b32_e32 v2, 0, v3, vcc
	v_cmp_class_f32_e32 vcc, v7, v5
	v_cndmask_b32_e64 v4, v7, 0, vcc
	v_cmp_class_f32_e32 vcc, v6, v5
	v_cndmask_b32_e64 v3, v6, 0, vcc
	;; [unrolled: 2-line block ×4, first 2 shown]
	v_cmp_class_f32_e64 vcc, v10, s2
	s_waitcnt lgkmcnt(0)
	s_cmp_eq_u64 s[0:1], 0
	v_cndmask_b32_e32 v7, 0, v10, vcc
	s_cbranch_scc1 .LBB116_19
; %bb.4:
	v_lshlrev_b32_e32 v20, 2, v19
	global_load_dwordx4 v[8:11], v20, s[0:1]
	global_load_dwordx4 v[12:15], v20, s[0:1] offset:16
	s_waitcnt vmcnt(1)
	v_pk_add_f32 v[8:9], v[8:9], v[0:1]
	v_pk_add_f32 v[10:11], v[10:11], v[2:3]
	s_waitcnt vmcnt(0)
	v_pk_add_f32 v[12:13], v[12:13], v[4:5]
	v_pk_add_f32 v[14:15], v[14:15], v[6:7]
	s_cbranch_execnz .LBB116_6
.LBB116_5:
	v_pk_mov_b32 v[14:15], v[6:7], v[6:7] op_sel:[0,1]
	v_pk_mov_b32 v[12:13], v[4:5], v[4:5] op_sel:[0,1]
	;; [unrolled: 1-line block ×4, first 2 shown]
.LBB116_6:
	s_load_dwordx4 s[8:11], s[4:5], 0x30
	s_mov_b32 s25, 0
	v_cmp_eq_u32_e64 s[0:1], 0, v17
	s_waitcnt lgkmcnt(0)
	s_bitcmp1_b32 s11, 0
	s_cselect_b64 vcc, -1, 0
	s_cmp_gt_i32 s8, 0
	s_cselect_b64 s[18:19], -1, 0
	s_cmp_lt_i32 s8, 1
	s_cbranch_scc1 .LBB116_20
; %bb.7:
	s_load_dwordx4 s[12:15], s[4:5], 0x20
	v_mul_lo_u32 v21, v16, s8
	v_mov_b32_e32 v20, 0
	v_mov_b32_e32 v22, 0xc61c4000
	;; [unrolled: 1-line block ×3, first 2 shown]
	s_branch .LBB116_10
.LBB116_8:                              ;   in Loop: Header=BB116_10 Depth=1
	s_or_b64 exec, exec, s[4:5]
.LBB116_9:                              ;   in Loop: Header=BB116_10 Depth=1
	s_cmp_eq_u32 s8, s25
	v_add_u32_e32 v23, s24, v23
	s_cbranch_scc1 .LBB116_21
.LBB116_10:                             ; =>This Inner Loop Header: Depth=1
	v_cmp_gt_f32_e64 s[2:3], v9, v8
	v_cndmask_b32_e64 v24, v8, v9, s[2:3]
	v_cndmask_b32_e64 v25, v0, v1, s[2:3]
	v_cndmask_b32_e64 v26, 0, 1, s[2:3]
	v_cmp_gt_f32_e64 s[2:3], v10, v24
	v_cndmask_b32_e64 v24, v24, v10, s[2:3]
	v_cndmask_b32_e64 v25, v25, v2, s[2:3]
	v_cndmask_b32_e64 v26, v26, 2, s[2:3]
	;; [unrolled: 4-line block ×7, first 2 shown]
	v_or_b32_e32 v24, v19, v24
	ds_bpermute_b32 v29, v18, v28
	ds_bpermute_b32 v27, v18, v25
	;; [unrolled: 1-line block ×3, first 2 shown]
	s_waitcnt lgkmcnt(0)
	v_cmp_lt_f32_e64 s[20:21], v28, v29
	v_cmp_nlt_f32_e64 s[2:3], v28, v29
	s_and_saveexec_b64 s[22:23], s[2:3]
	s_cbranch_execnz .LBB116_14
; %bb.11:                               ;   in Loop: Header=BB116_10 Depth=1
	s_or_b64 exec, exec, s[22:23]
	s_and_saveexec_b64 s[2:3], s[20:21]
	s_cbranch_execnz .LBB116_15
.LBB116_12:                             ;   in Loop: Header=BB116_10 Depth=1
	s_or_b64 exec, exec, s[2:3]
	s_and_saveexec_b64 s[20:21], s[0:1]
	s_cbranch_execnz .LBB116_16
.LBB116_13:                             ;   in Loop: Header=BB116_10 Depth=1
	s_or_b64 exec, exec, s[20:21]
	s_add_i32 s25, s25, 1
	s_cmp_ge_i32 s25, s8
	s_cbranch_scc1 .LBB116_9
	s_branch .LBB116_17
.LBB116_14:                             ;   in Loop: Header=BB116_10 Depth=1
	v_cmp_eq_f32_e64 s[2:3], v28, v29
	v_cmp_lt_i32_e64 s[4:5], v26, v24
	s_and_b64 s[2:3], s[2:3], s[4:5]
	s_andn2_b64 s[4:5], s[20:21], exec
	s_and_b64 s[2:3], s[2:3], exec
	s_or_b64 s[20:21], s[4:5], s[2:3]
	s_or_b64 exec, exec, s[22:23]
	s_and_saveexec_b64 s[2:3], s[20:21]
	s_cbranch_execz .LBB116_12
.LBB116_15:                             ;   in Loop: Header=BB116_10 Depth=1
	v_mov_b32_e32 v25, v27
	v_mov_b32_e32 v24, v26
	s_or_b64 exec, exec, s[2:3]
	s_and_saveexec_b64 s[20:21], s[0:1]
	s_cbranch_execz .LBB116_13
.LBB116_16:                             ;   in Loop: Header=BB116_10 Depth=1
	v_add_u32_e32 v26, s25, v21
	v_ashrrev_i32_e32 v27, 31, v26
	v_cmp_le_i32_e64 s[2:3], s9, v24
	v_cmp_gt_i32_e64 s[4:5], s10, v24
	v_lshlrev_b64 v[28:29], 2, v[26:27]
	s_and_b64 s[4:5], s[2:3], s[4:5]
	v_mov_b32_e32 v31, s7
	v_add_co_u32_e64 v30, s[2:3], s6, v28
	v_addc_co_u32_e64 v31, s[2:3], v31, v29, s[2:3]
	global_store_dword v[30:31], v25, off
	v_subrev_u32_e32 v30, s9, v24
	v_ashrrev_i32_e32 v31, 31, v30
	s_and_b64 s[2:3], s[16:17], s[4:5]
	v_lshlrev_b64 v[26:27], 3, v[26:27]
	v_cndmask_b32_e64 v31, 0, v31, s[2:3]
	v_cndmask_b32_e64 v30, 16, v30, s[2:3]
	v_mov_b32_e32 v32, s13
	v_add_co_u32_e64 v26, s[2:3], s12, v26
	v_addc_co_u32_e64 v27, s[2:3], v32, v27, s[2:3]
	global_store_dwordx2 v[26:27], v[30:31], off
	v_mov_b32_e32 v27, s15
	v_add_co_u32_e64 v26, s[2:3], s14, v28
	v_add_f32_e32 v25, v20, v25
	v_addc_co_u32_e64 v27, s[2:3], v27, v29, s[2:3]
	v_cndmask_b32_e32 v20, v20, v25, vcc
	global_store_dword v[26:27], v23, off
	s_or_b64 exec, exec, s[20:21]
	s_add_i32 s25, s25, 1
	s_cmp_ge_i32 s25, s8
	s_cbranch_scc1 .LBB116_9
.LBB116_17:                             ;   in Loop: Header=BB116_10 Depth=1
	v_ashrrev_i32_e32 v26, 31, v24
	v_lshrrev_b32_e32 v25, 29, v26
	v_add_u32_e32 v27, v24, v25
	v_ashrrev_i32_e32 v25, 3, v27
	v_lshrrev_b32_e32 v27, 31, v27
	v_add_u32_e32 v27, v25, v27
	v_and_b32_e32 v27, -2, v27
	v_sub_u32_e32 v27, v25, v27
	v_cmp_eq_u32_e64 s[2:3], v17, v27
	s_and_saveexec_b64 s[4:5], s[2:3]
	s_cbranch_execz .LBB116_8
; %bb.18:                               ;   in Loop: Header=BB116_10 Depth=1
	v_lshrrev_b32_e32 v26, 28, v26
	v_add_u32_e32 v26, v24, v26
	v_lshlrev_b32_e32 v25, 3, v25
	v_ashrrev_i32_e32 v26, 4, v26
	v_sub_u32_e32 v24, v24, v25
	v_lshl_add_u32 v24, v26, 3, v24
	v_cmp_ne_u32_e64 s[2:3], 7, v24
	v_cndmask_b32_e64 v15, v22, v15, s[2:3]
	v_cmp_ne_u32_e64 s[2:3], 6, v24
	v_cndmask_b32_e64 v14, v22, v14, s[2:3]
	;; [unrolled: 2-line block ×8, first 2 shown]
	s_branch .LBB116_8
.LBB116_19:
                                        ; implicit-def: $vgpr8_vgpr9_vgpr10_vgpr11_vgpr12_vgpr13_vgpr14_vgpr15
	s_andn2_b64 vcc, exec, s[8:9]
	s_cbranch_vccz .LBB116_5
	s_branch .LBB116_6
.LBB116_20:
	v_mov_b32_e32 v20, 0
.LBB116_21:
	v_cmp_eq_u32_e64 s[0:1], 0, v17
	s_and_b64 s[0:1], s[0:1], vcc
	s_and_b64 exec, exec, s[0:1]
	s_cbranch_execz .LBB116_30
; %bb.22:
	s_andn2_b64 vcc, exec, s[18:19]
	s_cbranch_vccnz .LBB116_30
; %bb.23:
	v_cmp_lt_f32_e32 vcc, 0, v20
	s_mov_b32 s2, 0
	v_cndmask_b32_e32 v0, 1.0, v20, vcc
	v_mul_lo_u32 v4, v16, s8
	s_cmp_eq_u32 s8, 1
	s_mov_b64 s[0:1], -1
	s_cbranch_scc1 .LBB116_27
; %bb.24:
	s_and_b32 s2, s8, 0x7ffffffe
	v_mov_b32_e32 v1, v0
	v_mov_b32_e32 v5, s7
	s_mov_b32 s3, s2
	v_mov_b32_e32 v2, v4
.LBB116_25:                             ; =>This Inner Loop Header: Depth=1
	v_ashrrev_i32_e32 v3, 31, v2
	v_lshlrev_b64 v[6:7], 2, v[2:3]
	v_add_co_u32_e32 v6, vcc, s6, v6
	v_addc_co_u32_e32 v7, vcc, v5, v7, vcc
	global_load_dwordx2 v[8:9], v[6:7], off
	s_add_i32 s3, s3, -2
	s_cmp_lg_u32 s3, 0
	v_add_u32_e32 v2, 2, v2
	s_waitcnt vmcnt(0)
	v_div_scale_f32 v3, s[0:1], v1, v1, v9
	v_div_scale_f32 v11, s[0:1], v0, v0, v8
	v_rcp_f32_e32 v12, v3
	v_rcp_f32_e32 v13, v11
	v_div_scale_f32 v10, vcc, v9, v1, v9
	v_fma_f32 v15, -v3, v12, 1.0
	v_fma_f32 v16, -v11, v13, 1.0
	v_fmac_f32_e32 v12, v15, v12
	v_div_scale_f32 v14, s[0:1], v8, v0, v8
	v_fmac_f32_e32 v13, v16, v13
	v_mul_f32_e32 v15, v10, v12
	v_mul_f32_e32 v16, v14, v13
	v_fma_f32 v17, -v3, v15, v10
	v_fma_f32 v18, -v11, v16, v14
	v_fmac_f32_e32 v15, v17, v12
	v_fmac_f32_e32 v16, v18, v13
	v_fma_f32 v3, -v3, v15, v10
	v_fma_f32 v10, -v11, v16, v14
	v_div_fmas_f32 v3, v3, v12, v15
	s_mov_b64 vcc, s[0:1]
	v_div_fixup_f32 v9, v3, v1, v9
	v_div_fmas_f32 v3, v10, v13, v16
	v_div_fixup_f32 v8, v3, v0, v8
	global_store_dwordx2 v[6:7], v[8:9], off
	s_cbranch_scc1 .LBB116_25
; %bb.26:
	s_cmp_lg_u32 s2, s8
	s_cselect_b64 s[0:1], -1, 0
.LBB116_27:
	s_and_b64 vcc, exec, s[0:1]
	s_cbranch_vccz .LBB116_30
; %bb.28:
	v_ashrrev_i32_e32 v1, 31, v4
	v_add_co_u32_e32 v2, vcc, s2, v4
	v_addc_co_u32_e32 v3, vcc, 0, v1, vcc
	v_lshlrev_b64 v[2:3], 2, v[2:3]
	v_mov_b32_e32 v1, s7
	v_add_co_u32_e32 v2, vcc, s6, v2
	s_sub_i32 s0, s8, s2
	v_addc_co_u32_e32 v3, vcc, v1, v3, vcc
.LBB116_29:                             ; =>This Inner Loop Header: Depth=1
	global_load_dword v1, v[2:3], off
	s_add_i32 s0, s0, -1
	s_cmp_lg_u32 s0, 0
	s_waitcnt vmcnt(0)
	v_div_scale_f32 v4, s[2:3], v0, v0, v1
	v_rcp_f32_e32 v5, v4
	v_div_scale_f32 v6, vcc, v1, v0, v1
	v_fma_f32 v7, -v4, v5, 1.0
	v_fmac_f32_e32 v5, v7, v5
	v_mul_f32_e32 v7, v6, v5
	v_fma_f32 v8, -v4, v7, v6
	v_fmac_f32_e32 v7, v8, v5
	v_fma_f32 v4, -v4, v7, v6
	v_div_fmas_f32 v4, v4, v5, v7
	v_div_fixup_f32 v1, v4, v0, v1
	global_store_dword v[2:3], v1, off
	v_add_co_u32_e32 v2, vcc, 4, v2
	v_addc_co_u32_e32 v3, vcc, 0, v3, vcc
	s_cbranch_scc1 .LBB116_29
.LBB116_30:
	s_endpgm
	.section	.rodata,"a",@progbits
	.p2align	6, 0x0
	.amdhsa_kernel _ZN4vllm3moe10topkGatingILi8ELi16ELi4ELi16ELi32El6__halfLNS0_11ScoringFuncE0EEEvPKT5_PKbPfiPT4_PiiiibPKf
		.amdhsa_group_segment_fixed_size 0
		.amdhsa_private_segment_fixed_size 0
		.amdhsa_kernarg_size 72
		.amdhsa_user_sgpr_count 6
		.amdhsa_user_sgpr_private_segment_buffer 1
		.amdhsa_user_sgpr_dispatch_ptr 0
		.amdhsa_user_sgpr_queue_ptr 0
		.amdhsa_user_sgpr_kernarg_segment_ptr 1
		.amdhsa_user_sgpr_dispatch_id 0
		.amdhsa_user_sgpr_flat_scratch_init 0
		.amdhsa_user_sgpr_kernarg_preload_length 0
		.amdhsa_user_sgpr_kernarg_preload_offset 0
		.amdhsa_user_sgpr_private_segment_size 0
		.amdhsa_uses_dynamic_stack 0
		.amdhsa_system_sgpr_private_segment_wavefront_offset 0
		.amdhsa_system_sgpr_workgroup_id_x 1
		.amdhsa_system_sgpr_workgroup_id_y 0
		.amdhsa_system_sgpr_workgroup_id_z 0
		.amdhsa_system_sgpr_workgroup_info 0
		.amdhsa_system_vgpr_workitem_id 1
		.amdhsa_next_free_vgpr 33
		.amdhsa_next_free_sgpr 26
		.amdhsa_accum_offset 36
		.amdhsa_reserve_vcc 1
		.amdhsa_reserve_flat_scratch 0
		.amdhsa_float_round_mode_32 0
		.amdhsa_float_round_mode_16_64 0
		.amdhsa_float_denorm_mode_32 3
		.amdhsa_float_denorm_mode_16_64 3
		.amdhsa_dx10_clamp 1
		.amdhsa_ieee_mode 1
		.amdhsa_fp16_overflow 0
		.amdhsa_tg_split 0
		.amdhsa_exception_fp_ieee_invalid_op 0
		.amdhsa_exception_fp_denorm_src 0
		.amdhsa_exception_fp_ieee_div_zero 0
		.amdhsa_exception_fp_ieee_overflow 0
		.amdhsa_exception_fp_ieee_underflow 0
		.amdhsa_exception_fp_ieee_inexact 0
		.amdhsa_exception_int_div_zero 0
	.end_amdhsa_kernel
	.section	.text._ZN4vllm3moe10topkGatingILi8ELi16ELi4ELi16ELi32El6__halfLNS0_11ScoringFuncE0EEEvPKT5_PKbPfiPT4_PiiiibPKf,"axG",@progbits,_ZN4vllm3moe10topkGatingILi8ELi16ELi4ELi16ELi32El6__halfLNS0_11ScoringFuncE0EEEvPKT5_PKbPfiPT4_PiiiibPKf,comdat
.Lfunc_end116:
	.size	_ZN4vllm3moe10topkGatingILi8ELi16ELi4ELi16ELi32El6__halfLNS0_11ScoringFuncE0EEEvPKT5_PKbPfiPT4_PiiiibPKf, .Lfunc_end116-_ZN4vllm3moe10topkGatingILi8ELi16ELi4ELi16ELi32El6__halfLNS0_11ScoringFuncE0EEEvPKT5_PKbPfiPT4_PiiiibPKf
                                        ; -- End function
	.section	.AMDGPU.csdata,"",@progbits
; Kernel info:
; codeLenInByte = 2668
; NumSgprs: 30
; NumVgprs: 33
; NumAgprs: 0
; TotalNumVgprs: 33
; ScratchSize: 0
; MemoryBound: 0
; FloatMode: 240
; IeeeMode: 1
; LDSByteSize: 0 bytes/workgroup (compile time only)
; SGPRBlocks: 3
; VGPRBlocks: 4
; NumSGPRsForWavesPerEU: 30
; NumVGPRsForWavesPerEU: 33
; AccumOffset: 36
; Occupancy: 8
; WaveLimiterHint : 0
; COMPUTE_PGM_RSRC2:SCRATCH_EN: 0
; COMPUTE_PGM_RSRC2:USER_SGPR: 6
; COMPUTE_PGM_RSRC2:TRAP_HANDLER: 0
; COMPUTE_PGM_RSRC2:TGID_X_EN: 1
; COMPUTE_PGM_RSRC2:TGID_Y_EN: 0
; COMPUTE_PGM_RSRC2:TGID_Z_EN: 0
; COMPUTE_PGM_RSRC2:TIDIG_COMP_CNT: 1
; COMPUTE_PGM_RSRC3_GFX90A:ACCUM_OFFSET: 8
; COMPUTE_PGM_RSRC3_GFX90A:TG_SPLIT: 0
	.section	.text._ZN4vllm3moe10topkGatingILi8ELi32ELi4ELi16ELi64El6__halfLNS0_11ScoringFuncE0EEEvPKT5_PKbPfiPT4_PiiiibPKf,"axG",@progbits,_ZN4vllm3moe10topkGatingILi8ELi32ELi4ELi16ELi64El6__halfLNS0_11ScoringFuncE0EEEvPKT5_PKbPfiPT4_PiiiibPKf,comdat
	.protected	_ZN4vllm3moe10topkGatingILi8ELi32ELi4ELi16ELi64El6__halfLNS0_11ScoringFuncE0EEEvPKT5_PKbPfiPT4_PiiiibPKf ; -- Begin function _ZN4vllm3moe10topkGatingILi8ELi32ELi4ELi16ELi64El6__halfLNS0_11ScoringFuncE0EEEvPKT5_PKbPfiPT4_PiiiibPKf
	.globl	_ZN4vllm3moe10topkGatingILi8ELi32ELi4ELi16ELi64El6__halfLNS0_11ScoringFuncE0EEEvPKT5_PKbPfiPT4_PiiiibPKf
	.p2align	8
	.type	_ZN4vllm3moe10topkGatingILi8ELi32ELi4ELi16ELi64El6__halfLNS0_11ScoringFuncE0EEEvPKT5_PKbPfiPT4_PiiiibPKf,@function
_ZN4vllm3moe10topkGatingILi8ELi32ELi4ELi16ELi64El6__halfLNS0_11ScoringFuncE0EEEvPKT5_PKbPfiPT4_PiiiibPKf: ; @_ZN4vllm3moe10topkGatingILi8ELi32ELi4ELi16ELi64El6__halfLNS0_11ScoringFuncE0EEEvPKT5_PKbPfiPT4_PiiiibPKf
; %bb.0:
	s_load_dword s22, s[4:5], 0x18
	v_bfe_u32 v1, v0, 10, 10
	v_and_b32_e32 v0, 0x3ff, v0
	s_lshl_b32 s0, s6, 6
	v_lshlrev_b32_e32 v1, 4, v1
	v_lshrrev_b32_e32 v2, 2, v0
	v_add3_u32 v16, s0, v1, v2
	s_waitcnt lgkmcnt(0)
	v_cmp_gt_i32_e32 vcc, s22, v16
	s_and_saveexec_b64 s[0:1], vcc
	s_cbranch_execz .LBB117_26
; %bb.1:
	s_load_dwordx4 s[0:3], s[4:5], 0x0
	s_load_dwordx2 s[16:17], s[4:5], 0x10
	s_mov_b64 s[6:7], -1
	s_mov_b64 s[18:19], -1
	s_waitcnt lgkmcnt(0)
	s_cmp_eq_u64 s[2:3], 0
	s_cbranch_scc1 .LBB117_3
; %bb.2:
	v_ashrrev_i32_e32 v1, 31, v16
	v_mov_b32_e32 v3, s3
	v_add_co_u32_e32 v2, vcc, s2, v16
	v_addc_co_u32_e32 v3, vcc, v3, v1, vcc
	global_load_ubyte v1, v[2:3], off
	s_waitcnt vmcnt(0)
	v_and_b32_e32 v1, 1, v1
	v_cmp_eq_u32_e32 vcc, 1, v1
	s_xor_b64 s[2:3], vcc, -1
	s_orn2_b64 s[18:19], s[2:3], exec
.LBB117_3:
	v_lshlrev_b32_e32 v2, 5, v16
	v_ashrrev_i32_e32 v3, 31, v2
	v_lshlrev_b64 v[2:3], 1, v[2:3]
	v_mov_b32_e32 v1, s1
	v_add_co_u32_e32 v2, vcc, s0, v2
	v_and_b32_e32 v17, 3, v0
	v_addc_co_u32_e32 v1, vcc, v1, v3, vcc
	v_lshlrev_b32_e32 v0, 4, v17
	v_add_co_u32_e32 v0, vcc, v2, v0
	v_addc_co_u32_e32 v1, vcc, 0, v1, vcc
	global_load_dwordx4 v[0:3], v[0:1], off
	v_mbcnt_lo_u32_b32 v4, -1, 0
	v_mbcnt_hi_u32_b32 v8, -1, v4
	v_and_b32_e32 v4, 0x7c, v8
	v_xor_b32_e32 v5, 2, v8
	v_add_u32_e32 v9, 4, v4
	v_cmp_lt_i32_e32 vcc, v5, v9
	v_cndmask_b32_e32 v4, v8, v5, vcc
	v_lshlrev_b32_e32 v18, 2, v4
	v_xor_b32_e32 v12, 1, v8
	v_cmp_lt_i32_e32 vcc, v12, v9
	v_cndmask_b32_e32 v8, v8, v12, vcc
	v_lshlrev_b32_e32 v19, 2, v8
	s_mov_b32 s2, 0x3fb8aa3b
	s_mov_b32 s0, 0xc2ce8ed0
	;; [unrolled: 1-line block ×3, first 2 shown]
	v_mov_b32_e32 v8, 0x7f800000
	s_waitcnt vmcnt(0)
	v_cvt_f32_f16_e32 v6, v0
	v_cvt_f32_f16_sdwa v7, v0 dst_sel:DWORD dst_unused:UNUSED_PAD src0_sel:WORD_1
	v_cvt_f32_f16_e32 v10, v1
	v_cvt_f32_f16_sdwa v4, v1 dst_sel:DWORD dst_unused:UNUSED_PAD src0_sel:WORD_1
	;; [unrolled: 2-line block ×3, first 2 shown]
	v_cvt_f32_f16_sdwa v11, v3 dst_sel:DWORD dst_unused:UNUSED_PAD src0_sel:WORD_1
	v_cvt_f32_f16_e32 v1, v3
	v_max_f32_e32 v2, v6, v7
	v_max3_f32 v2, v2, v10, v4
	v_max3_f32 v2, v2, v5, v0
	;; [unrolled: 1-line block ×3, first 2 shown]
	ds_bpermute_b32 v3, v18, v2
	s_waitcnt lgkmcnt(0)
	v_max_f32_e32 v3, v3, v3
	v_max_f32_e32 v2, v2, v3
	ds_bpermute_b32 v3, v19, v2
	s_waitcnt lgkmcnt(0)
	v_max_f32_e32 v3, v3, v3
	v_max_f32_e32 v2, v2, v3
	v_pk_add_f32 v[6:7], v[6:7], v[2:3] op_sel_hi:[1,0] neg_lo:[0,1] neg_hi:[0,1]
	v_mul_f32_e32 v9, 0x3fb8aa3b, v7
	v_sub_f32_e32 v3, v10, v2
	v_mul_f32_e32 v10, 0x3fb8aa3b, v6
	v_fma_f32 v20, v7, s2, -v9
	v_rndne_f32_e32 v21, v9
	v_pk_add_f32 v[4:5], v[4:5], v[2:3] op_sel_hi:[1,0] neg_lo:[0,1] neg_hi:[0,1]
	v_mul_f32_e32 v12, 0x3fb8aa3b, v3
	v_fma_f32 v22, v6, s2, -v10
	v_rndne_f32_e32 v23, v10
	v_fmac_f32_e32 v20, 0x32a5705f, v7
	v_sub_f32_e32 v9, v9, v21
	v_mul_f32_e32 v13, 0x3fb8aa3b, v5
	v_fma_f32 v24, v3, s2, -v12
	v_rndne_f32_e32 v25, v12
	v_fmac_f32_e32 v22, 0x32a5705f, v6
	v_sub_f32_e32 v10, v10, v23
	v_add_f32_e32 v9, v9, v20
	v_mul_f32_e32 v14, 0x3fb8aa3b, v4
	v_fma_f32 v26, v5, s2, -v13
	v_rndne_f32_e32 v27, v13
	v_cvt_i32_f32_e32 v21, v21
	v_fmac_f32_e32 v24, 0x32a5705f, v3
	v_sub_f32_e32 v12, v12, v25
	v_add_f32_e32 v10, v10, v22
	v_exp_f32_e32 v9, v9
	v_fma_f32 v28, v4, s2, -v14
	v_rndne_f32_e32 v29, v14
	v_cvt_i32_f32_e32 v23, v23
	v_fmac_f32_e32 v26, 0x32a5705f, v5
	v_sub_f32_e32 v13, v13, v27
	v_add_f32_e32 v12, v12, v24
	v_exp_f32_e32 v10, v10
	v_cvt_i32_f32_e32 v25, v25
	v_fmac_f32_e32 v28, 0x32a5705f, v4
	v_sub_f32_e32 v14, v14, v29
	v_add_f32_e32 v13, v13, v26
	v_exp_f32_e32 v12, v12
	v_cvt_i32_f32_e32 v27, v27
	v_add_f32_e32 v14, v14, v28
	v_exp_f32_e32 v13, v13
	v_cvt_i32_f32_e32 v29, v29
	v_exp_f32_e32 v14, v14
	v_ldexp_f32 v9, v9, v21
	v_cmp_ngt_f32_e32 vcc, s0, v7
	v_ldexp_f32 v10, v10, v23
	v_cndmask_b32_e32 v9, 0, v9, vcc
	v_cmp_ngt_f32_e32 vcc, s0, v6
	v_ldexp_f32 v12, v12, v25
	v_cndmask_b32_e32 v10, 0, v10, vcc
	;; [unrolled: 3-line block ×4, first 2 shown]
	v_cmp_ngt_f32_e32 vcc, s0, v4
	v_pk_add_f32 v[0:1], v[0:1], v[2:3] op_sel_hi:[1,0] neg_lo:[0,1] neg_hi:[0,1]
	v_cndmask_b32_e32 v14, 0, v14, vcc
	v_cmp_nlt_f32_e32 vcc, s1, v7
	v_mul_f32_e32 v15, 0x3fb8aa3b, v1
	v_cndmask_b32_e32 v7, v8, v9, vcc
	v_cmp_nlt_f32_e32 vcc, s1, v6
	v_fma_f32 v30, v1, s2, -v15
	v_cndmask_b32_e32 v6, v8, v10, vcc
	v_cmp_nlt_f32_e32 vcc, s1, v3
	v_rndne_f32_e32 v10, v15
	v_fmac_f32_e32 v30, 0x32a5705f, v1
	v_cndmask_b32_e32 v3, v8, v12, vcc
	v_sub_f32_e32 v12, v15, v10
	v_add_f32_e32 v12, v12, v30
	v_exp_f32_e32 v12, v12
	v_cvt_i32_f32_e32 v10, v10
	v_cmp_nlt_f32_e32 vcc, s1, v5
	v_cndmask_b32_e32 v5, v8, v13, vcc
	v_cmp_nlt_f32_e32 vcc, s1, v4
	v_ldexp_f32 v10, v12, v10
	v_mul_f32_e32 v12, 0x3fb8aa3b, v0
	v_cndmask_b32_e32 v4, v8, v14, vcc
	v_fma_f32 v13, v0, s2, -v12
	v_rndne_f32_e32 v14, v12
	v_fmac_f32_e32 v13, 0x32a5705f, v0
	v_sub_f32_e32 v12, v12, v14
	v_add_f32_e32 v12, v12, v13
	v_exp_f32_e32 v12, v12
	v_cvt_i32_f32_e32 v13, v14
	v_cmp_ngt_f32_e32 vcc, s0, v1
	v_sub_f32_e32 v2, v11, v2
	v_cndmask_b32_e32 v10, 0, v10, vcc
	v_cmp_nlt_f32_e32 vcc, s1, v1
	v_mul_f32_e32 v11, 0x3fb8aa3b, v2
	v_cndmask_b32_e32 v1, v8, v10, vcc
	v_ldexp_f32 v10, v12, v13
	v_fma_f32 v12, v2, s2, -v11
	v_rndne_f32_e32 v13, v11
	v_fmac_f32_e32 v12, 0x32a5705f, v2
	v_sub_f32_e32 v11, v11, v13
	v_add_f32_e32 v11, v11, v12
	v_exp_f32_e32 v11, v11
	v_cvt_i32_f32_e32 v12, v13
	v_add_f32_e32 v9, v6, v7
	v_add_f32_e32 v9, v9, v3
	v_cmp_ngt_f32_e32 vcc, s0, v0
	v_add_f32_e32 v9, v9, v4
	v_cndmask_b32_e32 v10, 0, v10, vcc
	v_cmp_nlt_f32_e32 vcc, s1, v0
	v_add_f32_e32 v9, v9, v5
	v_cndmask_b32_e32 v0, v8, v10, vcc
	v_ldexp_f32 v10, v11, v12
	v_cmp_ngt_f32_e32 vcc, s0, v2
	v_add_f32_e32 v9, v9, v0
	v_cndmask_b32_e32 v10, 0, v10, vcc
	v_cmp_nlt_f32_e32 vcc, s1, v2
	v_add_f32_e32 v9, v9, v1
	v_cndmask_b32_e32 v10, v8, v10, vcc
	v_add_f32_e32 v2, v9, v10
	ds_bpermute_b32 v8, v18, v2
	s_movk_i32 s2, 0x1f8
	v_lshlrev_b32_e32 v20, 3, v17
	s_waitcnt lgkmcnt(0)
	v_add_f32_e32 v2, v2, v8
	ds_bpermute_b32 v8, v19, v2
	s_waitcnt lgkmcnt(0)
	v_add_f32_e32 v2, v2, v8
	v_div_scale_f32 v8, s[0:1], v2, v2, 1.0
	v_rcp_f32_e32 v9, v8
	s_load_dwordx2 s[0:1], s[4:5], 0x40
	v_fma_f32 v11, -v8, v9, 1.0
	v_fmac_f32_e32 v9, v11, v9
	v_div_scale_f32 v11, vcc, 1.0, v2, 1.0
	v_mul_f32_e32 v12, v11, v9
	v_fma_f32 v13, -v8, v12, v11
	v_fmac_f32_e32 v12, v13, v9
	v_fma_f32 v8, -v8, v12, v11
	v_div_fmas_f32 v8, v8, v9, v12
	v_div_fixup_f32 v2, v8, v2, 1.0
	v_mul_f32_e32 v11, v2, v6
	v_mul_f32_e32 v12, v2, v7
	v_mul_f32_e32 v3, v2, v3
	v_cmp_class_f32_e64 vcc, v11, s2
	v_pk_mul_f32 v[8:9], v[2:3], v[0:1] op_sel_hi:[0,1]
	v_cndmask_b32_e32 v0, 0, v11, vcc
	v_cmp_class_f32_e64 vcc, v12, s2
	v_pk_mul_f32 v[6:7], v[2:3], v[4:5] op_sel_hi:[0,1]
	v_cndmask_b32_e32 v1, 0, v12, vcc
	v_cmp_class_f32_e64 vcc, v3, s2
	v_mov_b32_e32 v5, 0x207
	v_mul_f32_e32 v10, v2, v10
	v_cndmask_b32_e32 v2, 0, v3, vcc
	v_cmp_class_f32_e32 vcc, v7, v5
	v_cndmask_b32_e64 v4, v7, 0, vcc
	v_cmp_class_f32_e32 vcc, v6, v5
	v_cndmask_b32_e64 v3, v6, 0, vcc
	;; [unrolled: 2-line block ×4, first 2 shown]
	v_cmp_class_f32_e64 vcc, v10, s2
	s_waitcnt lgkmcnt(0)
	s_cmp_eq_u64 s[0:1], 0
	v_cndmask_b32_e32 v7, 0, v10, vcc
	s_cbranch_scc1 .LBB117_15
; %bb.4:
	v_lshlrev_b32_e32 v21, 2, v20
	global_load_dwordx4 v[8:11], v21, s[0:1]
	global_load_dwordx4 v[12:15], v21, s[0:1] offset:16
	s_waitcnt vmcnt(1)
	v_pk_add_f32 v[8:9], v[8:9], v[0:1]
	v_pk_add_f32 v[10:11], v[10:11], v[2:3]
	s_waitcnt vmcnt(0)
	v_pk_add_f32 v[12:13], v[12:13], v[4:5]
	v_pk_add_f32 v[14:15], v[14:15], v[6:7]
	s_cbranch_execnz .LBB117_6
.LBB117_5:
	v_pk_mov_b32 v[14:15], v[6:7], v[6:7] op_sel:[0,1]
	v_pk_mov_b32 v[12:13], v[4:5], v[4:5] op_sel:[0,1]
	;; [unrolled: 1-line block ×4, first 2 shown]
.LBB117_6:
	s_load_dwordx4 s[8:11], s[4:5], 0x30
	s_mov_b32 s23, 0
	v_cmp_eq_u32_e64 s[0:1], 0, v17
	s_waitcnt lgkmcnt(0)
	s_bitcmp1_b32 s11, 0
	s_cselect_b64 vcc, -1, 0
	s_cmp_gt_i32 s8, 0
	s_cselect_b64 s[20:21], -1, 0
	s_cmp_lt_i32 s8, 1
	s_cbranch_scc1 .LBB117_16
; %bb.7:
	s_load_dwordx4 s[12:15], s[4:5], 0x20
	v_mul_lo_u32 v22, v16, s8
	v_mov_b32_e32 v21, 0
	v_mov_b32_e32 v23, 0xc61c4000
	;; [unrolled: 1-line block ×3, first 2 shown]
	s_branch .LBB117_10
.LBB117_8:                              ;   in Loop: Header=BB117_10 Depth=1
	s_or_b64 exec, exec, s[4:5]
.LBB117_9:                              ;   in Loop: Header=BB117_10 Depth=1
	s_cmp_eq_u32 s8, s23
	v_add_u32_e32 v24, s22, v24
	s_cbranch_scc1 .LBB117_17
.LBB117_10:                             ; =>This Inner Loop Header: Depth=1
	v_cmp_gt_f32_e64 s[2:3], v9, v8
	v_cndmask_b32_e64 v25, v8, v9, s[2:3]
	v_cndmask_b32_e64 v26, v0, v1, s[2:3]
	s_waitcnt lgkmcnt(0)
	v_cndmask_b32_e64 v27, 0, 1, s[2:3]
	v_cmp_gt_f32_e64 s[2:3], v10, v25
	v_cndmask_b32_e64 v25, v25, v10, s[2:3]
	v_cndmask_b32_e64 v26, v26, v2, s[2:3]
	v_cndmask_b32_e64 v27, v27, 2, s[2:3]
	v_cmp_gt_f32_e64 s[2:3], v11, v25
	v_cndmask_b32_e64 v25, v25, v11, s[2:3]
	v_cndmask_b32_e64 v26, v26, v3, s[2:3]
	;; [unrolled: 4-line block ×6, first 2 shown]
	v_or_b32_e32 v27, v20, v27
	ds_bpermute_b32 v28, v18, v25
	ds_bpermute_b32 v29, v18, v27
	v_cndmask_b32_e64 v26, v26, v7, s[2:3]
	ds_bpermute_b32 v30, v18, v26
	s_waitcnt lgkmcnt(0)
	v_cmp_eq_f32_e64 s[4:5], v25, v28
	v_cmp_lt_i32_e64 s[6:7], v29, v27
	v_cmp_lt_f32_e64 s[2:3], v25, v28
	s_and_b64 s[4:5], s[4:5], s[6:7]
	s_or_b64 s[2:3], s[2:3], s[4:5]
	v_cndmask_b32_e64 v29, v27, v29, s[2:3]
	v_cndmask_b32_e64 v25, v25, v28, s[2:3]
	ds_bpermute_b32 v28, v19, v25
	ds_bpermute_b32 v31, v19, v29
	v_cndmask_b32_e64 v26, v26, v30, s[2:3]
	ds_bpermute_b32 v27, v19, v26
	s_waitcnt lgkmcnt(2)
	v_cmp_eq_f32_e64 s[4:5], v25, v28
	s_waitcnt lgkmcnt(1)
	v_cmp_lt_i32_e64 s[6:7], v31, v29
	v_cmp_lt_f32_e64 s[2:3], v25, v28
	s_and_b64 s[4:5], s[4:5], s[6:7]
	s_or_b64 s[2:3], s[2:3], s[4:5]
	v_cndmask_b32_e64 v25, v29, v31, s[2:3]
	s_and_saveexec_b64 s[6:7], s[0:1]
	s_cbranch_execnz .LBB117_12
; %bb.11:                               ;   in Loop: Header=BB117_10 Depth=1
	s_or_b64 exec, exec, s[6:7]
	s_add_i32 s23, s23, 1
	s_cmp_ge_i32 s23, s8
	s_cbranch_scc1 .LBB117_9
	s_branch .LBB117_13
.LBB117_12:                             ;   in Loop: Header=BB117_10 Depth=1
	s_waitcnt lgkmcnt(0)
	v_cndmask_b32_e64 v32, v26, v27, s[2:3]
	v_add_u32_e32 v26, s23, v22
	v_ashrrev_i32_e32 v27, 31, v26
	v_cmp_le_i32_e64 s[2:3], s9, v25
	v_cmp_gt_i32_e64 s[4:5], s10, v25
	v_lshlrev_b64 v[28:29], 2, v[26:27]
	s_and_b64 s[4:5], s[2:3], s[4:5]
	v_mov_b32_e32 v31, s17
	v_add_co_u32_e64 v30, s[2:3], s16, v28
	v_addc_co_u32_e64 v31, s[2:3], v31, v29, s[2:3]
	global_store_dword v[30:31], v32, off
	v_subrev_u32_e32 v30, s9, v25
	v_ashrrev_i32_e32 v31, 31, v30
	s_and_b64 s[2:3], s[18:19], s[4:5]
	v_lshlrev_b64 v[26:27], 3, v[26:27]
	v_cndmask_b32_e64 v31, 0, v31, s[2:3]
	v_cndmask_b32_e64 v30, 32, v30, s[2:3]
	v_mov_b32_e32 v33, s13
	v_add_co_u32_e64 v26, s[2:3], s12, v26
	v_addc_co_u32_e64 v27, s[2:3], v33, v27, s[2:3]
	global_store_dwordx2 v[26:27], v[30:31], off
	v_mov_b32_e32 v27, s15
	v_add_co_u32_e64 v26, s[2:3], s14, v28
	v_addc_co_u32_e64 v27, s[2:3], v27, v29, s[2:3]
	global_store_dword v[26:27], v24, off
	v_add_f32_e32 v26, v21, v32
	v_cndmask_b32_e32 v21, v21, v26, vcc
	s_or_b64 exec, exec, s[6:7]
	s_add_i32 s23, s23, 1
	s_cmp_ge_i32 s23, s8
	s_cbranch_scc1 .LBB117_9
.LBB117_13:                             ;   in Loop: Header=BB117_10 Depth=1
	s_waitcnt lgkmcnt(0)
	v_ashrrev_i32_e32 v27, 31, v25
	v_lshrrev_b32_e32 v26, 29, v27
	v_add_u32_e32 v26, v25, v26
	v_ashrrev_i32_e32 v26, 3, v26
	v_lshrrev_b32_e32 v28, 30, v26
	v_add_u32_e32 v28, v26, v28
	v_and_b32_e32 v28, -4, v28
	v_sub_u32_e32 v28, v26, v28
	v_cmp_eq_u32_e64 s[2:3], v17, v28
	s_and_saveexec_b64 s[4:5], s[2:3]
	s_cbranch_execz .LBB117_8
; %bb.14:                               ;   in Loop: Header=BB117_10 Depth=1
	v_lshrrev_b32_e32 v27, 27, v27
	v_add_u32_e32 v27, v25, v27
	v_lshlrev_b32_e32 v26, 3, v26
	v_ashrrev_i32_e32 v27, 5, v27
	v_sub_u32_e32 v25, v25, v26
	v_lshl_add_u32 v25, v27, 3, v25
	v_cmp_ne_u32_e64 s[2:3], 7, v25
	v_cndmask_b32_e64 v15, v23, v15, s[2:3]
	v_cmp_ne_u32_e64 s[2:3], 6, v25
	v_cndmask_b32_e64 v14, v23, v14, s[2:3]
	;; [unrolled: 2-line block ×8, first 2 shown]
	s_branch .LBB117_8
.LBB117_15:
                                        ; implicit-def: $vgpr8_vgpr9_vgpr10_vgpr11_vgpr12_vgpr13_vgpr14_vgpr15
	s_andn2_b64 vcc, exec, s[6:7]
	s_cbranch_vccz .LBB117_5
	s_branch .LBB117_6
.LBB117_16:
	v_mov_b32_e32 v21, 0
.LBB117_17:
	v_cmp_eq_u32_e64 s[0:1], 0, v17
	s_and_b64 s[0:1], s[0:1], vcc
	s_and_b64 exec, exec, s[0:1]
	s_cbranch_execz .LBB117_26
; %bb.18:
	s_andn2_b64 vcc, exec, s[20:21]
	s_cbranch_vccnz .LBB117_26
; %bb.19:
	v_cmp_lt_f32_e32 vcc, 0, v21
	s_mov_b32 s2, 0
	v_cndmask_b32_e32 v0, 1.0, v21, vcc
	v_mul_lo_u32 v4, v16, s8
	s_cmp_eq_u32 s8, 1
	s_mov_b64 s[0:1], -1
	s_cbranch_scc1 .LBB117_23
; %bb.20:
	s_and_b32 s2, s8, 0x7ffffffe
	v_mov_b32_e32 v1, v0
	v_mov_b32_e32 v5, s17
	s_mov_b32 s3, s2
	v_mov_b32_e32 v2, v4
.LBB117_21:                             ; =>This Inner Loop Header: Depth=1
	v_ashrrev_i32_e32 v3, 31, v2
	v_lshlrev_b64 v[6:7], 2, v[2:3]
	v_add_co_u32_e32 v6, vcc, s16, v6
	v_addc_co_u32_e32 v7, vcc, v5, v7, vcc
	global_load_dwordx2 v[8:9], v[6:7], off
	s_add_i32 s3, s3, -2
	s_cmp_lg_u32 s3, 0
	v_add_u32_e32 v2, 2, v2
	s_waitcnt vmcnt(0)
	v_div_scale_f32 v3, s[0:1], v1, v1, v9
	v_div_scale_f32 v11, s[0:1], v0, v0, v8
	v_rcp_f32_e32 v12, v3
	v_rcp_f32_e32 v13, v11
	v_div_scale_f32 v10, vcc, v9, v1, v9
	v_fma_f32 v15, -v3, v12, 1.0
	v_fma_f32 v16, -v11, v13, 1.0
	v_fmac_f32_e32 v12, v15, v12
	v_div_scale_f32 v14, s[0:1], v8, v0, v8
	v_fmac_f32_e32 v13, v16, v13
	v_mul_f32_e32 v15, v10, v12
	v_mul_f32_e32 v16, v14, v13
	v_fma_f32 v17, -v3, v15, v10
	v_fma_f32 v18, -v11, v16, v14
	v_fmac_f32_e32 v15, v17, v12
	v_fmac_f32_e32 v16, v18, v13
	v_fma_f32 v3, -v3, v15, v10
	v_fma_f32 v10, -v11, v16, v14
	v_div_fmas_f32 v3, v3, v12, v15
	s_mov_b64 vcc, s[0:1]
	v_div_fixup_f32 v9, v3, v1, v9
	v_div_fmas_f32 v3, v10, v13, v16
	v_div_fixup_f32 v8, v3, v0, v8
	global_store_dwordx2 v[6:7], v[8:9], off
	s_cbranch_scc1 .LBB117_21
; %bb.22:
	s_cmp_lg_u32 s2, s8
	s_cselect_b64 s[0:1], -1, 0
.LBB117_23:
	s_and_b64 vcc, exec, s[0:1]
	s_cbranch_vccz .LBB117_26
; %bb.24:
	v_ashrrev_i32_e32 v1, 31, v4
	v_add_co_u32_e32 v2, vcc, s2, v4
	v_addc_co_u32_e32 v3, vcc, 0, v1, vcc
	v_lshlrev_b64 v[2:3], 2, v[2:3]
	v_mov_b32_e32 v1, s17
	v_add_co_u32_e32 v2, vcc, s16, v2
	s_sub_i32 s0, s8, s2
	v_addc_co_u32_e32 v3, vcc, v1, v3, vcc
.LBB117_25:                             ; =>This Inner Loop Header: Depth=1
	global_load_dword v1, v[2:3], off
	s_add_i32 s0, s0, -1
	s_cmp_lg_u32 s0, 0
	s_waitcnt vmcnt(0)
	v_div_scale_f32 v4, s[2:3], v0, v0, v1
	v_rcp_f32_e32 v5, v4
	v_div_scale_f32 v6, vcc, v1, v0, v1
	v_fma_f32 v7, -v4, v5, 1.0
	v_fmac_f32_e32 v5, v7, v5
	v_mul_f32_e32 v7, v6, v5
	v_fma_f32 v8, -v4, v7, v6
	v_fmac_f32_e32 v7, v8, v5
	v_fma_f32 v4, -v4, v7, v6
	v_div_fmas_f32 v4, v4, v5, v7
	v_div_fixup_f32 v1, v4, v0, v1
	global_store_dword v[2:3], v1, off
	v_add_co_u32_e32 v2, vcc, 4, v2
	v_addc_co_u32_e32 v3, vcc, 0, v3, vcc
	s_cbranch_scc1 .LBB117_25
.LBB117_26:
	s_endpgm
	.section	.rodata,"a",@progbits
	.p2align	6, 0x0
	.amdhsa_kernel _ZN4vllm3moe10topkGatingILi8ELi32ELi4ELi16ELi64El6__halfLNS0_11ScoringFuncE0EEEvPKT5_PKbPfiPT4_PiiiibPKf
		.amdhsa_group_segment_fixed_size 0
		.amdhsa_private_segment_fixed_size 0
		.amdhsa_kernarg_size 72
		.amdhsa_user_sgpr_count 6
		.amdhsa_user_sgpr_private_segment_buffer 1
		.amdhsa_user_sgpr_dispatch_ptr 0
		.amdhsa_user_sgpr_queue_ptr 0
		.amdhsa_user_sgpr_kernarg_segment_ptr 1
		.amdhsa_user_sgpr_dispatch_id 0
		.amdhsa_user_sgpr_flat_scratch_init 0
		.amdhsa_user_sgpr_kernarg_preload_length 0
		.amdhsa_user_sgpr_kernarg_preload_offset 0
		.amdhsa_user_sgpr_private_segment_size 0
		.amdhsa_uses_dynamic_stack 0
		.amdhsa_system_sgpr_private_segment_wavefront_offset 0
		.amdhsa_system_sgpr_workgroup_id_x 1
		.amdhsa_system_sgpr_workgroup_id_y 0
		.amdhsa_system_sgpr_workgroup_id_z 0
		.amdhsa_system_sgpr_workgroup_info 0
		.amdhsa_system_vgpr_workitem_id 1
		.amdhsa_next_free_vgpr 34
		.amdhsa_next_free_sgpr 24
		.amdhsa_accum_offset 36
		.amdhsa_reserve_vcc 1
		.amdhsa_reserve_flat_scratch 0
		.amdhsa_float_round_mode_32 0
		.amdhsa_float_round_mode_16_64 0
		.amdhsa_float_denorm_mode_32 3
		.amdhsa_float_denorm_mode_16_64 3
		.amdhsa_dx10_clamp 1
		.amdhsa_ieee_mode 1
		.amdhsa_fp16_overflow 0
		.amdhsa_tg_split 0
		.amdhsa_exception_fp_ieee_invalid_op 0
		.amdhsa_exception_fp_denorm_src 0
		.amdhsa_exception_fp_ieee_div_zero 0
		.amdhsa_exception_fp_ieee_overflow 0
		.amdhsa_exception_fp_ieee_underflow 0
		.amdhsa_exception_fp_ieee_inexact 0
		.amdhsa_exception_int_div_zero 0
	.end_amdhsa_kernel
	.section	.text._ZN4vllm3moe10topkGatingILi8ELi32ELi4ELi16ELi64El6__halfLNS0_11ScoringFuncE0EEEvPKT5_PKbPfiPT4_PiiiibPKf,"axG",@progbits,_ZN4vllm3moe10topkGatingILi8ELi32ELi4ELi16ELi64El6__halfLNS0_11ScoringFuncE0EEEvPKT5_PKbPfiPT4_PiiiibPKf,comdat
.Lfunc_end117:
	.size	_ZN4vllm3moe10topkGatingILi8ELi32ELi4ELi16ELi64El6__halfLNS0_11ScoringFuncE0EEEvPKT5_PKbPfiPT4_PiiiibPKf, .Lfunc_end117-_ZN4vllm3moe10topkGatingILi8ELi32ELi4ELi16ELi64El6__halfLNS0_11ScoringFuncE0EEEvPKT5_PKbPfiPT4_PiiiibPKf
                                        ; -- End function
	.section	.AMDGPU.csdata,"",@progbits
; Kernel info:
; codeLenInByte = 2764
; NumSgprs: 28
; NumVgprs: 34
; NumAgprs: 0
; TotalNumVgprs: 34
; ScratchSize: 0
; MemoryBound: 0
; FloatMode: 240
; IeeeMode: 1
; LDSByteSize: 0 bytes/workgroup (compile time only)
; SGPRBlocks: 3
; VGPRBlocks: 4
; NumSGPRsForWavesPerEU: 28
; NumVGPRsForWavesPerEU: 34
; AccumOffset: 36
; Occupancy: 8
; WaveLimiterHint : 0
; COMPUTE_PGM_RSRC2:SCRATCH_EN: 0
; COMPUTE_PGM_RSRC2:USER_SGPR: 6
; COMPUTE_PGM_RSRC2:TRAP_HANDLER: 0
; COMPUTE_PGM_RSRC2:TGID_X_EN: 1
; COMPUTE_PGM_RSRC2:TGID_Y_EN: 0
; COMPUTE_PGM_RSRC2:TGID_Z_EN: 0
; COMPUTE_PGM_RSRC2:TIDIG_COMP_CNT: 1
; COMPUTE_PGM_RSRC3_GFX90A:ACCUM_OFFSET: 8
; COMPUTE_PGM_RSRC3_GFX90A:TG_SPLIT: 0
	.section	.text._ZN4vllm3moe10topkGatingILi8ELi32ELi4ELi16ELi32El6__halfLNS0_11ScoringFuncE0EEEvPKT5_PKbPfiPT4_PiiiibPKf,"axG",@progbits,_ZN4vllm3moe10topkGatingILi8ELi32ELi4ELi16ELi32El6__halfLNS0_11ScoringFuncE0EEEvPKT5_PKbPfiPT4_PiiiibPKf,comdat
	.protected	_ZN4vllm3moe10topkGatingILi8ELi32ELi4ELi16ELi32El6__halfLNS0_11ScoringFuncE0EEEvPKT5_PKbPfiPT4_PiiiibPKf ; -- Begin function _ZN4vllm3moe10topkGatingILi8ELi32ELi4ELi16ELi32El6__halfLNS0_11ScoringFuncE0EEEvPKT5_PKbPfiPT4_PiiiibPKf
	.globl	_ZN4vllm3moe10topkGatingILi8ELi32ELi4ELi16ELi32El6__halfLNS0_11ScoringFuncE0EEEvPKT5_PKbPfiPT4_PiiiibPKf
	.p2align	8
	.type	_ZN4vllm3moe10topkGatingILi8ELi32ELi4ELi16ELi32El6__halfLNS0_11ScoringFuncE0EEEvPKT5_PKbPfiPT4_PiiiibPKf,@function
_ZN4vllm3moe10topkGatingILi8ELi32ELi4ELi16ELi32El6__halfLNS0_11ScoringFuncE0EEEvPKT5_PKbPfiPT4_PiiiibPKf: ; @_ZN4vllm3moe10topkGatingILi8ELi32ELi4ELi16ELi32El6__halfLNS0_11ScoringFuncE0EEEvPKT5_PKbPfiPT4_PiiiibPKf
; %bb.0:
	s_load_dword s22, s[4:5], 0x18
	v_bfe_u32 v1, v0, 10, 10
	v_and_b32_e32 v0, 0x3ff, v0
	s_lshl_b32 s0, s6, 5
	v_lshlrev_b32_e32 v1, 3, v1
	v_lshrrev_b32_e32 v2, 2, v0
	v_add3_u32 v16, s0, v1, v2
	s_waitcnt lgkmcnt(0)
	v_cmp_gt_i32_e32 vcc, s22, v16
	s_and_saveexec_b64 s[0:1], vcc
	s_cbranch_execz .LBB118_26
; %bb.1:
	s_load_dwordx4 s[0:3], s[4:5], 0x0
	s_load_dwordx2 s[16:17], s[4:5], 0x10
	s_mov_b64 s[6:7], -1
	s_mov_b64 s[18:19], -1
	s_waitcnt lgkmcnt(0)
	s_cmp_eq_u64 s[2:3], 0
	s_cbranch_scc1 .LBB118_3
; %bb.2:
	v_ashrrev_i32_e32 v1, 31, v16
	v_mov_b32_e32 v3, s3
	v_add_co_u32_e32 v2, vcc, s2, v16
	v_addc_co_u32_e32 v3, vcc, v3, v1, vcc
	global_load_ubyte v1, v[2:3], off
	s_waitcnt vmcnt(0)
	v_and_b32_e32 v1, 1, v1
	v_cmp_eq_u32_e32 vcc, 1, v1
	s_xor_b64 s[2:3], vcc, -1
	s_orn2_b64 s[18:19], s[2:3], exec
.LBB118_3:
	v_lshlrev_b32_e32 v2, 5, v16
	v_ashrrev_i32_e32 v3, 31, v2
	v_lshlrev_b64 v[2:3], 1, v[2:3]
	v_mov_b32_e32 v1, s1
	v_add_co_u32_e32 v2, vcc, s0, v2
	v_and_b32_e32 v17, 3, v0
	v_addc_co_u32_e32 v1, vcc, v1, v3, vcc
	v_lshlrev_b32_e32 v0, 4, v17
	v_add_co_u32_e32 v0, vcc, v2, v0
	v_addc_co_u32_e32 v1, vcc, 0, v1, vcc
	global_load_dwordx4 v[0:3], v[0:1], off
	v_mbcnt_lo_u32_b32 v4, -1, 0
	v_mbcnt_hi_u32_b32 v8, -1, v4
	v_and_b32_e32 v4, 0x7c, v8
	v_xor_b32_e32 v5, 2, v8
	v_add_u32_e32 v9, 4, v4
	v_cmp_lt_i32_e32 vcc, v5, v9
	v_cndmask_b32_e32 v4, v8, v5, vcc
	v_lshlrev_b32_e32 v18, 2, v4
	v_xor_b32_e32 v12, 1, v8
	v_cmp_lt_i32_e32 vcc, v12, v9
	v_cndmask_b32_e32 v8, v8, v12, vcc
	v_lshlrev_b32_e32 v19, 2, v8
	s_mov_b32 s2, 0x3fb8aa3b
	s_mov_b32 s0, 0xc2ce8ed0
	;; [unrolled: 1-line block ×3, first 2 shown]
	v_mov_b32_e32 v8, 0x7f800000
	s_waitcnt vmcnt(0)
	v_cvt_f32_f16_e32 v6, v0
	v_cvt_f32_f16_sdwa v7, v0 dst_sel:DWORD dst_unused:UNUSED_PAD src0_sel:WORD_1
	v_cvt_f32_f16_e32 v10, v1
	v_cvt_f32_f16_sdwa v4, v1 dst_sel:DWORD dst_unused:UNUSED_PAD src0_sel:WORD_1
	;; [unrolled: 2-line block ×3, first 2 shown]
	v_cvt_f32_f16_sdwa v11, v3 dst_sel:DWORD dst_unused:UNUSED_PAD src0_sel:WORD_1
	v_cvt_f32_f16_e32 v1, v3
	v_max_f32_e32 v2, v6, v7
	v_max3_f32 v2, v2, v10, v4
	v_max3_f32 v2, v2, v5, v0
	;; [unrolled: 1-line block ×3, first 2 shown]
	ds_bpermute_b32 v3, v18, v2
	s_waitcnt lgkmcnt(0)
	v_max_f32_e32 v3, v3, v3
	v_max_f32_e32 v2, v2, v3
	ds_bpermute_b32 v3, v19, v2
	s_waitcnt lgkmcnt(0)
	v_max_f32_e32 v3, v3, v3
	v_max_f32_e32 v2, v2, v3
	v_pk_add_f32 v[6:7], v[6:7], v[2:3] op_sel_hi:[1,0] neg_lo:[0,1] neg_hi:[0,1]
	v_mul_f32_e32 v9, 0x3fb8aa3b, v7
	v_sub_f32_e32 v3, v10, v2
	v_mul_f32_e32 v10, 0x3fb8aa3b, v6
	v_fma_f32 v20, v7, s2, -v9
	v_rndne_f32_e32 v21, v9
	v_pk_add_f32 v[4:5], v[4:5], v[2:3] op_sel_hi:[1,0] neg_lo:[0,1] neg_hi:[0,1]
	v_mul_f32_e32 v12, 0x3fb8aa3b, v3
	v_fma_f32 v22, v6, s2, -v10
	v_rndne_f32_e32 v23, v10
	v_fmac_f32_e32 v20, 0x32a5705f, v7
	v_sub_f32_e32 v9, v9, v21
	v_mul_f32_e32 v13, 0x3fb8aa3b, v5
	v_fma_f32 v24, v3, s2, -v12
	v_rndne_f32_e32 v25, v12
	v_fmac_f32_e32 v22, 0x32a5705f, v6
	v_sub_f32_e32 v10, v10, v23
	v_add_f32_e32 v9, v9, v20
	v_mul_f32_e32 v14, 0x3fb8aa3b, v4
	v_fma_f32 v26, v5, s2, -v13
	v_rndne_f32_e32 v27, v13
	v_cvt_i32_f32_e32 v21, v21
	v_fmac_f32_e32 v24, 0x32a5705f, v3
	v_sub_f32_e32 v12, v12, v25
	v_add_f32_e32 v10, v10, v22
	v_exp_f32_e32 v9, v9
	v_fma_f32 v28, v4, s2, -v14
	v_rndne_f32_e32 v29, v14
	v_cvt_i32_f32_e32 v23, v23
	v_fmac_f32_e32 v26, 0x32a5705f, v5
	v_sub_f32_e32 v13, v13, v27
	v_add_f32_e32 v12, v12, v24
	v_exp_f32_e32 v10, v10
	v_cvt_i32_f32_e32 v25, v25
	v_fmac_f32_e32 v28, 0x32a5705f, v4
	v_sub_f32_e32 v14, v14, v29
	v_add_f32_e32 v13, v13, v26
	v_exp_f32_e32 v12, v12
	v_cvt_i32_f32_e32 v27, v27
	v_add_f32_e32 v14, v14, v28
	v_exp_f32_e32 v13, v13
	v_cvt_i32_f32_e32 v29, v29
	v_exp_f32_e32 v14, v14
	v_ldexp_f32 v9, v9, v21
	v_cmp_ngt_f32_e32 vcc, s0, v7
	v_ldexp_f32 v10, v10, v23
	v_cndmask_b32_e32 v9, 0, v9, vcc
	v_cmp_ngt_f32_e32 vcc, s0, v6
	v_ldexp_f32 v12, v12, v25
	v_cndmask_b32_e32 v10, 0, v10, vcc
	;; [unrolled: 3-line block ×4, first 2 shown]
	v_cmp_ngt_f32_e32 vcc, s0, v4
	v_pk_add_f32 v[0:1], v[0:1], v[2:3] op_sel_hi:[1,0] neg_lo:[0,1] neg_hi:[0,1]
	v_cndmask_b32_e32 v14, 0, v14, vcc
	v_cmp_nlt_f32_e32 vcc, s1, v7
	v_mul_f32_e32 v15, 0x3fb8aa3b, v1
	v_cndmask_b32_e32 v7, v8, v9, vcc
	v_cmp_nlt_f32_e32 vcc, s1, v6
	v_fma_f32 v30, v1, s2, -v15
	v_cndmask_b32_e32 v6, v8, v10, vcc
	v_cmp_nlt_f32_e32 vcc, s1, v3
	v_rndne_f32_e32 v10, v15
	v_fmac_f32_e32 v30, 0x32a5705f, v1
	v_cndmask_b32_e32 v3, v8, v12, vcc
	v_sub_f32_e32 v12, v15, v10
	v_add_f32_e32 v12, v12, v30
	v_exp_f32_e32 v12, v12
	v_cvt_i32_f32_e32 v10, v10
	v_cmp_nlt_f32_e32 vcc, s1, v5
	v_cndmask_b32_e32 v5, v8, v13, vcc
	v_cmp_nlt_f32_e32 vcc, s1, v4
	v_ldexp_f32 v10, v12, v10
	v_mul_f32_e32 v12, 0x3fb8aa3b, v0
	v_cndmask_b32_e32 v4, v8, v14, vcc
	v_fma_f32 v13, v0, s2, -v12
	v_rndne_f32_e32 v14, v12
	v_fmac_f32_e32 v13, 0x32a5705f, v0
	v_sub_f32_e32 v12, v12, v14
	v_add_f32_e32 v12, v12, v13
	v_exp_f32_e32 v12, v12
	v_cvt_i32_f32_e32 v13, v14
	v_cmp_ngt_f32_e32 vcc, s0, v1
	v_sub_f32_e32 v2, v11, v2
	v_cndmask_b32_e32 v10, 0, v10, vcc
	v_cmp_nlt_f32_e32 vcc, s1, v1
	v_mul_f32_e32 v11, 0x3fb8aa3b, v2
	v_cndmask_b32_e32 v1, v8, v10, vcc
	v_ldexp_f32 v10, v12, v13
	v_fma_f32 v12, v2, s2, -v11
	v_rndne_f32_e32 v13, v11
	v_fmac_f32_e32 v12, 0x32a5705f, v2
	v_sub_f32_e32 v11, v11, v13
	v_add_f32_e32 v11, v11, v12
	v_exp_f32_e32 v11, v11
	v_cvt_i32_f32_e32 v12, v13
	v_add_f32_e32 v9, v6, v7
	v_add_f32_e32 v9, v9, v3
	v_cmp_ngt_f32_e32 vcc, s0, v0
	v_add_f32_e32 v9, v9, v4
	v_cndmask_b32_e32 v10, 0, v10, vcc
	v_cmp_nlt_f32_e32 vcc, s1, v0
	v_add_f32_e32 v9, v9, v5
	v_cndmask_b32_e32 v0, v8, v10, vcc
	v_ldexp_f32 v10, v11, v12
	v_cmp_ngt_f32_e32 vcc, s0, v2
	v_add_f32_e32 v9, v9, v0
	v_cndmask_b32_e32 v10, 0, v10, vcc
	v_cmp_nlt_f32_e32 vcc, s1, v2
	v_add_f32_e32 v9, v9, v1
	v_cndmask_b32_e32 v10, v8, v10, vcc
	v_add_f32_e32 v2, v9, v10
	ds_bpermute_b32 v8, v18, v2
	s_movk_i32 s2, 0x1f8
	v_lshlrev_b32_e32 v20, 3, v17
	s_waitcnt lgkmcnt(0)
	v_add_f32_e32 v2, v2, v8
	ds_bpermute_b32 v8, v19, v2
	s_waitcnt lgkmcnt(0)
	v_add_f32_e32 v2, v2, v8
	v_div_scale_f32 v8, s[0:1], v2, v2, 1.0
	v_rcp_f32_e32 v9, v8
	s_load_dwordx2 s[0:1], s[4:5], 0x40
	v_fma_f32 v11, -v8, v9, 1.0
	v_fmac_f32_e32 v9, v11, v9
	v_div_scale_f32 v11, vcc, 1.0, v2, 1.0
	v_mul_f32_e32 v12, v11, v9
	v_fma_f32 v13, -v8, v12, v11
	v_fmac_f32_e32 v12, v13, v9
	v_fma_f32 v8, -v8, v12, v11
	v_div_fmas_f32 v8, v8, v9, v12
	v_div_fixup_f32 v2, v8, v2, 1.0
	v_mul_f32_e32 v11, v2, v6
	v_mul_f32_e32 v12, v2, v7
	v_mul_f32_e32 v3, v2, v3
	v_cmp_class_f32_e64 vcc, v11, s2
	v_pk_mul_f32 v[8:9], v[2:3], v[0:1] op_sel_hi:[0,1]
	v_cndmask_b32_e32 v0, 0, v11, vcc
	v_cmp_class_f32_e64 vcc, v12, s2
	v_pk_mul_f32 v[6:7], v[2:3], v[4:5] op_sel_hi:[0,1]
	v_cndmask_b32_e32 v1, 0, v12, vcc
	v_cmp_class_f32_e64 vcc, v3, s2
	v_mov_b32_e32 v5, 0x207
	v_mul_f32_e32 v10, v2, v10
	v_cndmask_b32_e32 v2, 0, v3, vcc
	v_cmp_class_f32_e32 vcc, v7, v5
	v_cndmask_b32_e64 v4, v7, 0, vcc
	v_cmp_class_f32_e32 vcc, v6, v5
	v_cndmask_b32_e64 v3, v6, 0, vcc
	;; [unrolled: 2-line block ×4, first 2 shown]
	v_cmp_class_f32_e64 vcc, v10, s2
	s_waitcnt lgkmcnt(0)
	s_cmp_eq_u64 s[0:1], 0
	v_cndmask_b32_e32 v7, 0, v10, vcc
	s_cbranch_scc1 .LBB118_15
; %bb.4:
	v_lshlrev_b32_e32 v21, 2, v20
	global_load_dwordx4 v[8:11], v21, s[0:1]
	global_load_dwordx4 v[12:15], v21, s[0:1] offset:16
	s_waitcnt vmcnt(1)
	v_pk_add_f32 v[8:9], v[8:9], v[0:1]
	v_pk_add_f32 v[10:11], v[10:11], v[2:3]
	s_waitcnt vmcnt(0)
	v_pk_add_f32 v[12:13], v[12:13], v[4:5]
	v_pk_add_f32 v[14:15], v[14:15], v[6:7]
	s_cbranch_execnz .LBB118_6
.LBB118_5:
	v_pk_mov_b32 v[14:15], v[6:7], v[6:7] op_sel:[0,1]
	v_pk_mov_b32 v[12:13], v[4:5], v[4:5] op_sel:[0,1]
	;; [unrolled: 1-line block ×4, first 2 shown]
.LBB118_6:
	s_load_dwordx4 s[8:11], s[4:5], 0x30
	s_mov_b32 s23, 0
	v_cmp_eq_u32_e64 s[0:1], 0, v17
	s_waitcnt lgkmcnt(0)
	s_bitcmp1_b32 s11, 0
	s_cselect_b64 vcc, -1, 0
	s_cmp_gt_i32 s8, 0
	s_cselect_b64 s[20:21], -1, 0
	s_cmp_lt_i32 s8, 1
	s_cbranch_scc1 .LBB118_16
; %bb.7:
	s_load_dwordx4 s[12:15], s[4:5], 0x20
	v_mul_lo_u32 v22, v16, s8
	v_mov_b32_e32 v21, 0
	v_mov_b32_e32 v23, 0xc61c4000
	v_mov_b32_e32 v24, v16
	s_branch .LBB118_10
.LBB118_8:                              ;   in Loop: Header=BB118_10 Depth=1
	s_or_b64 exec, exec, s[4:5]
.LBB118_9:                              ;   in Loop: Header=BB118_10 Depth=1
	s_cmp_eq_u32 s8, s23
	v_add_u32_e32 v24, s22, v24
	s_cbranch_scc1 .LBB118_17
.LBB118_10:                             ; =>This Inner Loop Header: Depth=1
	v_cmp_gt_f32_e64 s[2:3], v9, v8
	v_cndmask_b32_e64 v25, v8, v9, s[2:3]
	v_cndmask_b32_e64 v26, v0, v1, s[2:3]
	s_waitcnt lgkmcnt(0)
	v_cndmask_b32_e64 v27, 0, 1, s[2:3]
	v_cmp_gt_f32_e64 s[2:3], v10, v25
	v_cndmask_b32_e64 v25, v25, v10, s[2:3]
	v_cndmask_b32_e64 v26, v26, v2, s[2:3]
	v_cndmask_b32_e64 v27, v27, 2, s[2:3]
	v_cmp_gt_f32_e64 s[2:3], v11, v25
	v_cndmask_b32_e64 v25, v25, v11, s[2:3]
	v_cndmask_b32_e64 v26, v26, v3, s[2:3]
	;; [unrolled: 4-line block ×6, first 2 shown]
	v_or_b32_e32 v27, v20, v27
	ds_bpermute_b32 v28, v18, v25
	ds_bpermute_b32 v29, v18, v27
	v_cndmask_b32_e64 v26, v26, v7, s[2:3]
	ds_bpermute_b32 v30, v18, v26
	s_waitcnt lgkmcnt(0)
	v_cmp_eq_f32_e64 s[4:5], v25, v28
	v_cmp_lt_i32_e64 s[6:7], v29, v27
	v_cmp_lt_f32_e64 s[2:3], v25, v28
	s_and_b64 s[4:5], s[4:5], s[6:7]
	s_or_b64 s[2:3], s[2:3], s[4:5]
	v_cndmask_b32_e64 v29, v27, v29, s[2:3]
	v_cndmask_b32_e64 v25, v25, v28, s[2:3]
	ds_bpermute_b32 v28, v19, v25
	ds_bpermute_b32 v31, v19, v29
	v_cndmask_b32_e64 v26, v26, v30, s[2:3]
	ds_bpermute_b32 v27, v19, v26
	s_waitcnt lgkmcnt(2)
	v_cmp_eq_f32_e64 s[4:5], v25, v28
	s_waitcnt lgkmcnt(1)
	v_cmp_lt_i32_e64 s[6:7], v31, v29
	v_cmp_lt_f32_e64 s[2:3], v25, v28
	s_and_b64 s[4:5], s[4:5], s[6:7]
	s_or_b64 s[2:3], s[2:3], s[4:5]
	v_cndmask_b32_e64 v25, v29, v31, s[2:3]
	s_and_saveexec_b64 s[6:7], s[0:1]
	s_cbranch_execnz .LBB118_12
; %bb.11:                               ;   in Loop: Header=BB118_10 Depth=1
	s_or_b64 exec, exec, s[6:7]
	s_add_i32 s23, s23, 1
	s_cmp_ge_i32 s23, s8
	s_cbranch_scc1 .LBB118_9
	s_branch .LBB118_13
.LBB118_12:                             ;   in Loop: Header=BB118_10 Depth=1
	s_waitcnt lgkmcnt(0)
	v_cndmask_b32_e64 v32, v26, v27, s[2:3]
	v_add_u32_e32 v26, s23, v22
	v_ashrrev_i32_e32 v27, 31, v26
	v_cmp_le_i32_e64 s[2:3], s9, v25
	v_cmp_gt_i32_e64 s[4:5], s10, v25
	v_lshlrev_b64 v[28:29], 2, v[26:27]
	s_and_b64 s[4:5], s[2:3], s[4:5]
	v_mov_b32_e32 v31, s17
	v_add_co_u32_e64 v30, s[2:3], s16, v28
	v_addc_co_u32_e64 v31, s[2:3], v31, v29, s[2:3]
	global_store_dword v[30:31], v32, off
	v_subrev_u32_e32 v30, s9, v25
	v_ashrrev_i32_e32 v31, 31, v30
	s_and_b64 s[2:3], s[18:19], s[4:5]
	v_lshlrev_b64 v[26:27], 3, v[26:27]
	v_cndmask_b32_e64 v31, 0, v31, s[2:3]
	v_cndmask_b32_e64 v30, 32, v30, s[2:3]
	v_mov_b32_e32 v33, s13
	v_add_co_u32_e64 v26, s[2:3], s12, v26
	v_addc_co_u32_e64 v27, s[2:3], v33, v27, s[2:3]
	global_store_dwordx2 v[26:27], v[30:31], off
	v_mov_b32_e32 v27, s15
	v_add_co_u32_e64 v26, s[2:3], s14, v28
	v_addc_co_u32_e64 v27, s[2:3], v27, v29, s[2:3]
	global_store_dword v[26:27], v24, off
	v_add_f32_e32 v26, v21, v32
	v_cndmask_b32_e32 v21, v21, v26, vcc
	s_or_b64 exec, exec, s[6:7]
	s_add_i32 s23, s23, 1
	s_cmp_ge_i32 s23, s8
	s_cbranch_scc1 .LBB118_9
.LBB118_13:                             ;   in Loop: Header=BB118_10 Depth=1
	s_waitcnt lgkmcnt(0)
	v_ashrrev_i32_e32 v27, 31, v25
	v_lshrrev_b32_e32 v26, 29, v27
	v_add_u32_e32 v26, v25, v26
	v_ashrrev_i32_e32 v26, 3, v26
	v_lshrrev_b32_e32 v28, 30, v26
	v_add_u32_e32 v28, v26, v28
	v_and_b32_e32 v28, -4, v28
	v_sub_u32_e32 v28, v26, v28
	v_cmp_eq_u32_e64 s[2:3], v17, v28
	s_and_saveexec_b64 s[4:5], s[2:3]
	s_cbranch_execz .LBB118_8
; %bb.14:                               ;   in Loop: Header=BB118_10 Depth=1
	v_lshrrev_b32_e32 v27, 27, v27
	v_add_u32_e32 v27, v25, v27
	v_lshlrev_b32_e32 v26, 3, v26
	v_ashrrev_i32_e32 v27, 5, v27
	v_sub_u32_e32 v25, v25, v26
	v_lshl_add_u32 v25, v27, 3, v25
	v_cmp_ne_u32_e64 s[2:3], 7, v25
	v_cndmask_b32_e64 v15, v23, v15, s[2:3]
	v_cmp_ne_u32_e64 s[2:3], 6, v25
	v_cndmask_b32_e64 v14, v23, v14, s[2:3]
	;; [unrolled: 2-line block ×8, first 2 shown]
	s_branch .LBB118_8
.LBB118_15:
                                        ; implicit-def: $vgpr8_vgpr9_vgpr10_vgpr11_vgpr12_vgpr13_vgpr14_vgpr15
	s_andn2_b64 vcc, exec, s[6:7]
	s_cbranch_vccz .LBB118_5
	s_branch .LBB118_6
.LBB118_16:
	v_mov_b32_e32 v21, 0
.LBB118_17:
	v_cmp_eq_u32_e64 s[0:1], 0, v17
	s_and_b64 s[0:1], s[0:1], vcc
	s_and_b64 exec, exec, s[0:1]
	s_cbranch_execz .LBB118_26
; %bb.18:
	s_andn2_b64 vcc, exec, s[20:21]
	s_cbranch_vccnz .LBB118_26
; %bb.19:
	v_cmp_lt_f32_e32 vcc, 0, v21
	s_mov_b32 s2, 0
	v_cndmask_b32_e32 v0, 1.0, v21, vcc
	v_mul_lo_u32 v4, v16, s8
	s_cmp_eq_u32 s8, 1
	s_mov_b64 s[0:1], -1
	s_cbranch_scc1 .LBB118_23
; %bb.20:
	s_and_b32 s2, s8, 0x7ffffffe
	v_mov_b32_e32 v1, v0
	v_mov_b32_e32 v5, s17
	s_mov_b32 s3, s2
	v_mov_b32_e32 v2, v4
.LBB118_21:                             ; =>This Inner Loop Header: Depth=1
	v_ashrrev_i32_e32 v3, 31, v2
	v_lshlrev_b64 v[6:7], 2, v[2:3]
	v_add_co_u32_e32 v6, vcc, s16, v6
	v_addc_co_u32_e32 v7, vcc, v5, v7, vcc
	global_load_dwordx2 v[8:9], v[6:7], off
	s_add_i32 s3, s3, -2
	s_cmp_lg_u32 s3, 0
	v_add_u32_e32 v2, 2, v2
	s_waitcnt vmcnt(0)
	v_div_scale_f32 v3, s[0:1], v1, v1, v9
	v_div_scale_f32 v11, s[0:1], v0, v0, v8
	v_rcp_f32_e32 v12, v3
	v_rcp_f32_e32 v13, v11
	v_div_scale_f32 v10, vcc, v9, v1, v9
	v_fma_f32 v15, -v3, v12, 1.0
	v_fma_f32 v16, -v11, v13, 1.0
	v_fmac_f32_e32 v12, v15, v12
	v_div_scale_f32 v14, s[0:1], v8, v0, v8
	v_fmac_f32_e32 v13, v16, v13
	v_mul_f32_e32 v15, v10, v12
	v_mul_f32_e32 v16, v14, v13
	v_fma_f32 v17, -v3, v15, v10
	v_fma_f32 v18, -v11, v16, v14
	v_fmac_f32_e32 v15, v17, v12
	v_fmac_f32_e32 v16, v18, v13
	v_fma_f32 v3, -v3, v15, v10
	v_fma_f32 v10, -v11, v16, v14
	v_div_fmas_f32 v3, v3, v12, v15
	s_mov_b64 vcc, s[0:1]
	v_div_fixup_f32 v9, v3, v1, v9
	v_div_fmas_f32 v3, v10, v13, v16
	v_div_fixup_f32 v8, v3, v0, v8
	global_store_dwordx2 v[6:7], v[8:9], off
	s_cbranch_scc1 .LBB118_21
; %bb.22:
	s_cmp_lg_u32 s2, s8
	s_cselect_b64 s[0:1], -1, 0
.LBB118_23:
	s_and_b64 vcc, exec, s[0:1]
	s_cbranch_vccz .LBB118_26
; %bb.24:
	v_ashrrev_i32_e32 v1, 31, v4
	v_add_co_u32_e32 v2, vcc, s2, v4
	v_addc_co_u32_e32 v3, vcc, 0, v1, vcc
	v_lshlrev_b64 v[2:3], 2, v[2:3]
	v_mov_b32_e32 v1, s17
	v_add_co_u32_e32 v2, vcc, s16, v2
	s_sub_i32 s0, s8, s2
	v_addc_co_u32_e32 v3, vcc, v1, v3, vcc
.LBB118_25:                             ; =>This Inner Loop Header: Depth=1
	global_load_dword v1, v[2:3], off
	s_add_i32 s0, s0, -1
	s_cmp_lg_u32 s0, 0
	s_waitcnt vmcnt(0)
	v_div_scale_f32 v4, s[2:3], v0, v0, v1
	v_rcp_f32_e32 v5, v4
	v_div_scale_f32 v6, vcc, v1, v0, v1
	v_fma_f32 v7, -v4, v5, 1.0
	v_fmac_f32_e32 v5, v7, v5
	v_mul_f32_e32 v7, v6, v5
	v_fma_f32 v8, -v4, v7, v6
	v_fmac_f32_e32 v7, v8, v5
	v_fma_f32 v4, -v4, v7, v6
	v_div_fmas_f32 v4, v4, v5, v7
	v_div_fixup_f32 v1, v4, v0, v1
	global_store_dword v[2:3], v1, off
	v_add_co_u32_e32 v2, vcc, 4, v2
	v_addc_co_u32_e32 v3, vcc, 0, v3, vcc
	s_cbranch_scc1 .LBB118_25
.LBB118_26:
	s_endpgm
	.section	.rodata,"a",@progbits
	.p2align	6, 0x0
	.amdhsa_kernel _ZN4vllm3moe10topkGatingILi8ELi32ELi4ELi16ELi32El6__halfLNS0_11ScoringFuncE0EEEvPKT5_PKbPfiPT4_PiiiibPKf
		.amdhsa_group_segment_fixed_size 0
		.amdhsa_private_segment_fixed_size 0
		.amdhsa_kernarg_size 72
		.amdhsa_user_sgpr_count 6
		.amdhsa_user_sgpr_private_segment_buffer 1
		.amdhsa_user_sgpr_dispatch_ptr 0
		.amdhsa_user_sgpr_queue_ptr 0
		.amdhsa_user_sgpr_kernarg_segment_ptr 1
		.amdhsa_user_sgpr_dispatch_id 0
		.amdhsa_user_sgpr_flat_scratch_init 0
		.amdhsa_user_sgpr_kernarg_preload_length 0
		.amdhsa_user_sgpr_kernarg_preload_offset 0
		.amdhsa_user_sgpr_private_segment_size 0
		.amdhsa_uses_dynamic_stack 0
		.amdhsa_system_sgpr_private_segment_wavefront_offset 0
		.amdhsa_system_sgpr_workgroup_id_x 1
		.amdhsa_system_sgpr_workgroup_id_y 0
		.amdhsa_system_sgpr_workgroup_id_z 0
		.amdhsa_system_sgpr_workgroup_info 0
		.amdhsa_system_vgpr_workitem_id 1
		.amdhsa_next_free_vgpr 34
		.amdhsa_next_free_sgpr 24
		.amdhsa_accum_offset 36
		.amdhsa_reserve_vcc 1
		.amdhsa_reserve_flat_scratch 0
		.amdhsa_float_round_mode_32 0
		.amdhsa_float_round_mode_16_64 0
		.amdhsa_float_denorm_mode_32 3
		.amdhsa_float_denorm_mode_16_64 3
		.amdhsa_dx10_clamp 1
		.amdhsa_ieee_mode 1
		.amdhsa_fp16_overflow 0
		.amdhsa_tg_split 0
		.amdhsa_exception_fp_ieee_invalid_op 0
		.amdhsa_exception_fp_denorm_src 0
		.amdhsa_exception_fp_ieee_div_zero 0
		.amdhsa_exception_fp_ieee_overflow 0
		.amdhsa_exception_fp_ieee_underflow 0
		.amdhsa_exception_fp_ieee_inexact 0
		.amdhsa_exception_int_div_zero 0
	.end_amdhsa_kernel
	.section	.text._ZN4vllm3moe10topkGatingILi8ELi32ELi4ELi16ELi32El6__halfLNS0_11ScoringFuncE0EEEvPKT5_PKbPfiPT4_PiiiibPKf,"axG",@progbits,_ZN4vllm3moe10topkGatingILi8ELi32ELi4ELi16ELi32El6__halfLNS0_11ScoringFuncE0EEEvPKT5_PKbPfiPT4_PiiiibPKf,comdat
.Lfunc_end118:
	.size	_ZN4vllm3moe10topkGatingILi8ELi32ELi4ELi16ELi32El6__halfLNS0_11ScoringFuncE0EEEvPKT5_PKbPfiPT4_PiiiibPKf, .Lfunc_end118-_ZN4vllm3moe10topkGatingILi8ELi32ELi4ELi16ELi32El6__halfLNS0_11ScoringFuncE0EEEvPKT5_PKbPfiPT4_PiiiibPKf
                                        ; -- End function
	.section	.AMDGPU.csdata,"",@progbits
; Kernel info:
; codeLenInByte = 2764
; NumSgprs: 28
; NumVgprs: 34
; NumAgprs: 0
; TotalNumVgprs: 34
; ScratchSize: 0
; MemoryBound: 0
; FloatMode: 240
; IeeeMode: 1
; LDSByteSize: 0 bytes/workgroup (compile time only)
; SGPRBlocks: 3
; VGPRBlocks: 4
; NumSGPRsForWavesPerEU: 28
; NumVGPRsForWavesPerEU: 34
; AccumOffset: 36
; Occupancy: 8
; WaveLimiterHint : 0
; COMPUTE_PGM_RSRC2:SCRATCH_EN: 0
; COMPUTE_PGM_RSRC2:USER_SGPR: 6
; COMPUTE_PGM_RSRC2:TRAP_HANDLER: 0
; COMPUTE_PGM_RSRC2:TGID_X_EN: 1
; COMPUTE_PGM_RSRC2:TGID_Y_EN: 0
; COMPUTE_PGM_RSRC2:TGID_Z_EN: 0
; COMPUTE_PGM_RSRC2:TIDIG_COMP_CNT: 1
; COMPUTE_PGM_RSRC3_GFX90A:ACCUM_OFFSET: 8
; COMPUTE_PGM_RSRC3_GFX90A:TG_SPLIT: 0
	.section	.text._ZN4vllm3moe10topkGatingILi8ELi64ELi4ELi16ELi64El6__halfLNS0_11ScoringFuncE0EEEvPKT5_PKbPfiPT4_PiiiibPKf,"axG",@progbits,_ZN4vllm3moe10topkGatingILi8ELi64ELi4ELi16ELi64El6__halfLNS0_11ScoringFuncE0EEEvPKT5_PKbPfiPT4_PiiiibPKf,comdat
	.protected	_ZN4vllm3moe10topkGatingILi8ELi64ELi4ELi16ELi64El6__halfLNS0_11ScoringFuncE0EEEvPKT5_PKbPfiPT4_PiiiibPKf ; -- Begin function _ZN4vllm3moe10topkGatingILi8ELi64ELi4ELi16ELi64El6__halfLNS0_11ScoringFuncE0EEEvPKT5_PKbPfiPT4_PiiiibPKf
	.globl	_ZN4vllm3moe10topkGatingILi8ELi64ELi4ELi16ELi64El6__halfLNS0_11ScoringFuncE0EEEvPKT5_PKbPfiPT4_PiiiibPKf
	.p2align	8
	.type	_ZN4vllm3moe10topkGatingILi8ELi64ELi4ELi16ELi64El6__halfLNS0_11ScoringFuncE0EEEvPKT5_PKbPfiPT4_PiiiibPKf,@function
_ZN4vllm3moe10topkGatingILi8ELi64ELi4ELi16ELi64El6__halfLNS0_11ScoringFuncE0EEEvPKT5_PKbPfiPT4_PiiiibPKf: ; @_ZN4vllm3moe10topkGatingILi8ELi64ELi4ELi16ELi64El6__halfLNS0_11ScoringFuncE0EEEvPKT5_PKbPfiPT4_PiiiibPKf
; %bb.0:
	s_load_dword s24, s[4:5], 0x18
	v_bfe_u32 v1, v0, 10, 10
	v_and_b32_e32 v0, 0x3ff, v0
	s_lshl_b32 s0, s6, 5
	v_lshlrev_b32_e32 v1, 3, v1
	v_lshrrev_b32_e32 v2, 3, v0
	v_add3_u32 v17, s0, v1, v2
	s_waitcnt lgkmcnt(0)
	v_cmp_gt_i32_e32 vcc, s24, v17
	s_and_saveexec_b64 s[0:1], vcc
	s_cbranch_execz .LBB119_30
; %bb.1:
	s_load_dwordx4 s[0:3], s[4:5], 0x0
	s_load_dwordx2 s[16:17], s[4:5], 0x10
	s_mov_b64 s[6:7], -1
	s_mov_b64 s[18:19], -1
	s_waitcnt lgkmcnt(0)
	s_cmp_eq_u64 s[2:3], 0
	s_cbranch_scc1 .LBB119_3
; %bb.2:
	v_ashrrev_i32_e32 v1, 31, v17
	v_mov_b32_e32 v3, s3
	v_add_co_u32_e32 v2, vcc, s2, v17
	v_addc_co_u32_e32 v3, vcc, v3, v1, vcc
	global_load_ubyte v1, v[2:3], off
	s_waitcnt vmcnt(0)
	v_and_b32_e32 v1, 1, v1
	v_cmp_eq_u32_e32 vcc, 1, v1
	s_xor_b64 s[2:3], vcc, -1
	s_orn2_b64 s[18:19], s[2:3], exec
.LBB119_3:
	v_lshlrev_b32_e32 v2, 6, v17
	v_ashrrev_i32_e32 v3, 31, v2
	v_lshlrev_b64 v[2:3], 1, v[2:3]
	v_mov_b32_e32 v1, s1
	v_add_co_u32_e32 v2, vcc, s0, v2
	v_and_b32_e32 v21, 7, v0
	v_addc_co_u32_e32 v1, vcc, v1, v3, vcc
	v_lshlrev_b32_e32 v0, 4, v21
	v_add_co_u32_e32 v0, vcc, v2, v0
	v_addc_co_u32_e32 v1, vcc, 0, v1, vcc
	global_load_dwordx4 v[0:3], v[0:1], off
	v_mbcnt_lo_u32_b32 v4, -1, 0
	v_mbcnt_hi_u32_b32 v8, -1, v4
	v_and_b32_e32 v4, 0x78, v8
	v_xor_b32_e32 v5, 4, v8
	v_add_u32_e32 v9, 8, v4
	v_cmp_lt_i32_e32 vcc, v5, v9
	v_cndmask_b32_e32 v4, v8, v5, vcc
	v_lshlrev_b32_e32 v22, 2, v4
	v_xor_b32_e32 v12, 2, v8
	v_cmp_lt_i32_e32 vcc, v12, v9
	v_cndmask_b32_e32 v12, v8, v12, vcc
	v_lshlrev_b32_e32 v23, 2, v12
	v_xor_b32_e32 v12, 1, v8
	v_cmp_lt_i32_e32 vcc, v12, v9
	v_cndmask_b32_e32 v8, v8, v12, vcc
	v_lshlrev_b32_e32 v24, 2, v8
	s_mov_b32 s2, 0x3fb8aa3b
	s_mov_b32 s0, 0xc2ce8ed0
	;; [unrolled: 1-line block ×3, first 2 shown]
	v_mov_b32_e32 v8, 0x7f800000
	s_waitcnt vmcnt(0)
	v_cvt_f32_f16_e32 v6, v0
	v_cvt_f32_f16_sdwa v7, v0 dst_sel:DWORD dst_unused:UNUSED_PAD src0_sel:WORD_1
	v_cvt_f32_f16_e32 v10, v1
	v_cvt_f32_f16_sdwa v4, v1 dst_sel:DWORD dst_unused:UNUSED_PAD src0_sel:WORD_1
	;; [unrolled: 2-line block ×3, first 2 shown]
	v_cvt_f32_f16_sdwa v11, v3 dst_sel:DWORD dst_unused:UNUSED_PAD src0_sel:WORD_1
	v_cvt_f32_f16_e32 v1, v3
	v_max_f32_e32 v2, v6, v7
	v_max3_f32 v2, v2, v10, v4
	v_max3_f32 v2, v2, v5, v0
	v_max3_f32 v2, v2, v1, v11
	ds_bpermute_b32 v3, v22, v2
	s_waitcnt lgkmcnt(0)
	v_max_f32_e32 v3, v3, v3
	v_max_f32_e32 v2, v2, v3
	ds_bpermute_b32 v3, v23, v2
	s_waitcnt lgkmcnt(0)
	v_max_f32_e32 v3, v3, v3
	v_max_f32_e32 v2, v2, v3
	;; [unrolled: 4-line block ×3, first 2 shown]
	v_pk_add_f32 v[6:7], v[6:7], v[2:3] op_sel_hi:[1,0] neg_lo:[0,1] neg_hi:[0,1]
	v_mul_f32_e32 v9, 0x3fb8aa3b, v7
	v_sub_f32_e32 v3, v10, v2
	v_mul_f32_e32 v10, 0x3fb8aa3b, v6
	v_fma_f32 v16, v7, s2, -v9
	v_rndne_f32_e32 v18, v9
	v_pk_add_f32 v[4:5], v[4:5], v[2:3] op_sel_hi:[1,0] neg_lo:[0,1] neg_hi:[0,1]
	v_mul_f32_e32 v12, 0x3fb8aa3b, v3
	v_fma_f32 v19, v6, s2, -v10
	v_rndne_f32_e32 v20, v10
	v_fmac_f32_e32 v16, 0x32a5705f, v7
	v_sub_f32_e32 v9, v9, v18
	v_mul_f32_e32 v13, 0x3fb8aa3b, v5
	v_fma_f32 v25, v3, s2, -v12
	v_rndne_f32_e32 v26, v12
	v_fmac_f32_e32 v19, 0x32a5705f, v6
	v_sub_f32_e32 v10, v10, v20
	v_add_f32_e32 v9, v9, v16
	v_mul_f32_e32 v14, 0x3fb8aa3b, v4
	v_fma_f32 v27, v5, s2, -v13
	v_rndne_f32_e32 v28, v13
	v_cvt_i32_f32_e32 v18, v18
	v_fmac_f32_e32 v25, 0x32a5705f, v3
	v_sub_f32_e32 v12, v12, v26
	v_add_f32_e32 v10, v10, v19
	v_exp_f32_e32 v9, v9
	v_fma_f32 v29, v4, s2, -v14
	v_rndne_f32_e32 v30, v14
	v_cvt_i32_f32_e32 v20, v20
	v_fmac_f32_e32 v27, 0x32a5705f, v5
	v_sub_f32_e32 v13, v13, v28
	v_add_f32_e32 v12, v12, v25
	v_exp_f32_e32 v10, v10
	v_cvt_i32_f32_e32 v26, v26
	v_fmac_f32_e32 v29, 0x32a5705f, v4
	v_sub_f32_e32 v14, v14, v30
	v_add_f32_e32 v13, v13, v27
	v_exp_f32_e32 v12, v12
	v_cvt_i32_f32_e32 v28, v28
	v_add_f32_e32 v14, v14, v29
	v_exp_f32_e32 v13, v13
	v_cvt_i32_f32_e32 v30, v30
	v_exp_f32_e32 v14, v14
	v_ldexp_f32 v9, v9, v18
	v_cmp_ngt_f32_e32 vcc, s0, v7
	v_ldexp_f32 v10, v10, v20
	v_cndmask_b32_e32 v9, 0, v9, vcc
	v_cmp_ngt_f32_e32 vcc, s0, v6
	v_ldexp_f32 v12, v12, v26
	v_cndmask_b32_e32 v10, 0, v10, vcc
	;; [unrolled: 3-line block ×4, first 2 shown]
	v_cmp_ngt_f32_e32 vcc, s0, v4
	v_pk_add_f32 v[0:1], v[0:1], v[2:3] op_sel_hi:[1,0] neg_lo:[0,1] neg_hi:[0,1]
	v_cndmask_b32_e32 v14, 0, v14, vcc
	v_cmp_nlt_f32_e32 vcc, s1, v7
	v_mul_f32_e32 v15, 0x3fb8aa3b, v1
	v_cndmask_b32_e32 v7, v8, v9, vcc
	v_cmp_nlt_f32_e32 vcc, s1, v6
	v_fma_f32 v31, v1, s2, -v15
	v_cndmask_b32_e32 v6, v8, v10, vcc
	v_cmp_nlt_f32_e32 vcc, s1, v3
	v_rndne_f32_e32 v10, v15
	v_fmac_f32_e32 v31, 0x32a5705f, v1
	v_cndmask_b32_e32 v3, v8, v12, vcc
	v_sub_f32_e32 v12, v15, v10
	v_add_f32_e32 v12, v12, v31
	v_exp_f32_e32 v12, v12
	v_cvt_i32_f32_e32 v10, v10
	v_cmp_nlt_f32_e32 vcc, s1, v5
	v_cndmask_b32_e32 v5, v8, v13, vcc
	v_cmp_nlt_f32_e32 vcc, s1, v4
	v_ldexp_f32 v10, v12, v10
	v_mul_f32_e32 v12, 0x3fb8aa3b, v0
	v_cndmask_b32_e32 v4, v8, v14, vcc
	v_fma_f32 v13, v0, s2, -v12
	v_rndne_f32_e32 v14, v12
	v_fmac_f32_e32 v13, 0x32a5705f, v0
	v_sub_f32_e32 v12, v12, v14
	v_add_f32_e32 v12, v12, v13
	v_exp_f32_e32 v12, v12
	v_cvt_i32_f32_e32 v13, v14
	v_cmp_ngt_f32_e32 vcc, s0, v1
	v_sub_f32_e32 v2, v11, v2
	v_cndmask_b32_e32 v10, 0, v10, vcc
	v_cmp_nlt_f32_e32 vcc, s1, v1
	v_mul_f32_e32 v11, 0x3fb8aa3b, v2
	v_cndmask_b32_e32 v1, v8, v10, vcc
	v_ldexp_f32 v10, v12, v13
	v_fma_f32 v12, v2, s2, -v11
	v_rndne_f32_e32 v13, v11
	v_fmac_f32_e32 v12, 0x32a5705f, v2
	v_sub_f32_e32 v11, v11, v13
	v_add_f32_e32 v11, v11, v12
	v_exp_f32_e32 v11, v11
	v_cvt_i32_f32_e32 v12, v13
	v_add_f32_e32 v9, v6, v7
	v_add_f32_e32 v9, v9, v3
	v_cmp_ngt_f32_e32 vcc, s0, v0
	v_add_f32_e32 v9, v9, v4
	v_cndmask_b32_e32 v10, 0, v10, vcc
	v_cmp_nlt_f32_e32 vcc, s1, v0
	v_add_f32_e32 v9, v9, v5
	v_cndmask_b32_e32 v0, v8, v10, vcc
	v_ldexp_f32 v10, v11, v12
	v_cmp_ngt_f32_e32 vcc, s0, v2
	v_add_f32_e32 v9, v9, v0
	v_cndmask_b32_e32 v10, 0, v10, vcc
	v_cmp_nlt_f32_e32 vcc, s1, v2
	v_add_f32_e32 v9, v9, v1
	v_cndmask_b32_e32 v10, v8, v10, vcc
	v_add_f32_e32 v2, v9, v10
	ds_bpermute_b32 v8, v22, v2
	s_movk_i32 s2, 0x1f8
	v_lshlrev_b32_e32 v25, 3, v21
	s_waitcnt lgkmcnt(0)
	v_add_f32_e32 v2, v2, v8
	ds_bpermute_b32 v8, v23, v2
	s_waitcnt lgkmcnt(0)
	v_add_f32_e32 v2, v2, v8
	ds_bpermute_b32 v8, v24, v2
	s_waitcnt lgkmcnt(0)
	v_add_f32_e32 v2, v2, v8
	v_div_scale_f32 v8, s[0:1], v2, v2, 1.0
	v_rcp_f32_e32 v9, v8
	s_load_dwordx2 s[0:1], s[4:5], 0x40
	v_fma_f32 v11, -v8, v9, 1.0
	v_fmac_f32_e32 v9, v11, v9
	v_div_scale_f32 v11, vcc, 1.0, v2, 1.0
	v_mul_f32_e32 v12, v11, v9
	v_fma_f32 v13, -v8, v12, v11
	v_fmac_f32_e32 v12, v13, v9
	v_fma_f32 v8, -v8, v12, v11
	v_div_fmas_f32 v8, v8, v9, v12
	v_div_fixup_f32 v2, v8, v2, 1.0
	v_mul_f32_e32 v11, v2, v6
	v_mul_f32_e32 v12, v2, v7
	;; [unrolled: 1-line block ×3, first 2 shown]
	v_cmp_class_f32_e64 vcc, v11, s2
	v_pk_mul_f32 v[8:9], v[2:3], v[0:1] op_sel_hi:[0,1]
	v_cndmask_b32_e32 v0, 0, v11, vcc
	v_cmp_class_f32_e64 vcc, v12, s2
	v_pk_mul_f32 v[6:7], v[2:3], v[4:5] op_sel_hi:[0,1]
	v_cndmask_b32_e32 v1, 0, v12, vcc
	v_cmp_class_f32_e64 vcc, v3, s2
	v_mov_b32_e32 v5, 0x207
	v_mul_f32_e32 v10, v2, v10
	v_cndmask_b32_e32 v2, 0, v3, vcc
	v_cmp_class_f32_e32 vcc, v7, v5
	v_cndmask_b32_e64 v4, v7, 0, vcc
	v_cmp_class_f32_e32 vcc, v6, v5
	v_cndmask_b32_e64 v3, v6, 0, vcc
	;; [unrolled: 2-line block ×4, first 2 shown]
	v_cmp_class_f32_e64 vcc, v10, s2
	s_waitcnt lgkmcnt(0)
	s_cmp_eq_u64 s[0:1], 0
	v_cndmask_b32_e32 v7, 0, v10, vcc
	s_cbranch_scc1 .LBB119_19
; %bb.4:
	v_lshlrev_b32_e32 v16, 2, v25
	global_load_dwordx4 v[8:11], v16, s[0:1]
	global_load_dwordx4 v[12:15], v16, s[0:1] offset:16
	s_waitcnt vmcnt(1)
	v_pk_add_f32 v[8:9], v[8:9], v[0:1]
	v_pk_add_f32 v[10:11], v[10:11], v[2:3]
	s_waitcnt vmcnt(0)
	v_pk_add_f32 v[12:13], v[12:13], v[4:5]
	v_pk_add_f32 v[14:15], v[14:15], v[6:7]
	s_cbranch_execnz .LBB119_6
.LBB119_5:
	v_pk_mov_b32 v[14:15], v[6:7], v[6:7] op_sel:[0,1]
	v_pk_mov_b32 v[12:13], v[4:5], v[4:5] op_sel:[0,1]
	;; [unrolled: 1-line block ×4, first 2 shown]
.LBB119_6:
	s_load_dwordx4 s[8:11], s[4:5], 0x30
	s_mov_b32 s25, 0
	v_cmp_eq_u32_e64 s[0:1], 0, v21
	s_waitcnt lgkmcnt(0)
	s_bitcmp1_b32 s11, 0
	s_cselect_b64 vcc, -1, 0
	s_cmp_gt_i32 s8, 0
	s_cselect_b64 s[20:21], -1, 0
	s_cmp_lt_i32 s8, 1
	s_cbranch_scc1 .LBB119_20
; %bb.7:
	s_load_dwordx4 s[12:15], s[4:5], 0x20
	v_mul_lo_u32 v27, v17, s8
	v_mov_b32_e32 v26, 0
	v_mov_b32_e32 v28, 0xc61c4000
	;; [unrolled: 1-line block ×3, first 2 shown]
	s_branch .LBB119_10
.LBB119_8:                              ;   in Loop: Header=BB119_10 Depth=1
	s_or_b64 exec, exec, s[4:5]
.LBB119_9:                              ;   in Loop: Header=BB119_10 Depth=1
	s_cmp_eq_u32 s8, s25
	v_add_u32_e32 v29, s24, v29
	s_cbranch_scc1 .LBB119_21
.LBB119_10:                             ; =>This Inner Loop Header: Depth=1
	v_cmp_gt_f32_e64 s[2:3], v9, v8
	v_cndmask_b32_e64 v16, v8, v9, s[2:3]
	v_cndmask_b32_e64 v18, v0, v1, s[2:3]
	s_waitcnt lgkmcnt(0)
	v_cndmask_b32_e64 v19, 0, 1, s[2:3]
	v_cmp_gt_f32_e64 s[2:3], v10, v16
	v_cndmask_b32_e64 v16, v16, v10, s[2:3]
	v_cndmask_b32_e64 v18, v18, v2, s[2:3]
	v_cndmask_b32_e64 v19, v19, 2, s[2:3]
	v_cmp_gt_f32_e64 s[2:3], v11, v16
	v_cndmask_b32_e64 v16, v16, v11, s[2:3]
	v_cndmask_b32_e64 v18, v18, v3, s[2:3]
	;; [unrolled: 4-line block ×6, first 2 shown]
	v_or_b32_e32 v19, v25, v19
	ds_bpermute_b32 v20, v22, v16
	ds_bpermute_b32 v30, v22, v19
	v_cndmask_b32_e64 v18, v18, v7, s[2:3]
	ds_bpermute_b32 v32, v22, v18
	s_waitcnt lgkmcnt(0)
	v_cmp_eq_f32_e64 s[4:5], v16, v20
	v_cmp_lt_i32_e64 s[6:7], v30, v19
	v_cmp_lt_f32_e64 s[2:3], v16, v20
	s_and_b64 s[4:5], s[4:5], s[6:7]
	s_or_b64 s[2:3], s[2:3], s[4:5]
	v_cndmask_b32_e64 v31, v16, v20, s[2:3]
	v_cndmask_b32_e64 v30, v19, v30, s[2:3]
	v_cndmask_b32_e64 v16, v18, v32, s[2:3]
	ds_bpermute_b32 v33, v23, v31
	ds_bpermute_b32 v20, v23, v16
	;; [unrolled: 1-line block ×3, first 2 shown]
                                        ; implicit-def: $vgpr18_vgpr19
	s_waitcnt lgkmcnt(2)
	v_cmp_lt_f32_e64 s[6:7], v31, v33
	v_cmp_nlt_f32_e64 s[2:3], v31, v33
	s_and_saveexec_b64 s[22:23], s[2:3]
	s_cbranch_execz .LBB119_12
; %bb.11:                               ;   in Loop: Header=BB119_10 Depth=1
	v_cmp_eq_f32_e64 s[2:3], v31, v33
	s_waitcnt lgkmcnt(0)
	v_cmp_lt_i32_e64 s[4:5], v32, v30
	s_and_b64 s[2:3], s[2:3], s[4:5]
	s_andn2_b64 s[4:5], s[6:7], exec
	s_and_b64 s[2:3], s[2:3], exec
	s_or_b64 s[6:7], s[4:5], s[2:3]
	v_pk_mov_b32 v[18:19], v[16:17], v[16:17] op_sel:[0,1]
.LBB119_12:                             ;   in Loop: Header=BB119_10 Depth=1
	s_or_b64 exec, exec, s[22:23]
	s_and_saveexec_b64 s[2:3], s[6:7]
	s_cbranch_execz .LBB119_14
; %bb.13:                               ;   in Loop: Header=BB119_10 Depth=1
	v_mov_b32_e32 v31, v33
	s_waitcnt lgkmcnt(1)
	v_mov_b32_e32 v16, v20
	s_waitcnt lgkmcnt(0)
	v_mov_b32_e32 v30, v32
	v_pk_mov_b32 v[18:19], v[20:21], v[20:21] op_sel:[0,1]
.LBB119_14:                             ;   in Loop: Header=BB119_10 Depth=1
	s_or_b64 exec, exec, s[2:3]
	s_waitcnt lgkmcnt(1)
	ds_bpermute_b32 v20, v24, v31
	s_waitcnt lgkmcnt(1)
	ds_bpermute_b32 v32, v24, v30
	ds_bpermute_b32 v19, v24, v16
	s_waitcnt lgkmcnt(2)
	v_cmp_eq_f32_e64 s[4:5], v31, v20
	s_waitcnt lgkmcnt(1)
	v_cmp_lt_i32_e64 s[6:7], v32, v30
	v_cmp_lt_f32_e64 s[2:3], v31, v20
	s_and_b64 s[4:5], s[4:5], s[6:7]
	s_or_b64 s[2:3], s[2:3], s[4:5]
	v_cndmask_b32_e64 v16, v30, v32, s[2:3]
	s_and_saveexec_b64 s[6:7], s[0:1]
	s_cbranch_execnz .LBB119_16
; %bb.15:                               ;   in Loop: Header=BB119_10 Depth=1
	s_or_b64 exec, exec, s[6:7]
	s_add_i32 s25, s25, 1
	s_cmp_ge_i32 s25, s8
	s_cbranch_scc1 .LBB119_9
	s_branch .LBB119_17
.LBB119_16:                             ;   in Loop: Header=BB119_10 Depth=1
	s_waitcnt lgkmcnt(0)
	v_cndmask_b32_e64 v20, v18, v19, s[2:3]
	v_add_u32_e32 v18, s25, v27
	v_ashrrev_i32_e32 v19, 31, v18
	v_cmp_le_i32_e64 s[2:3], s9, v16
	v_cmp_gt_i32_e64 s[4:5], s10, v16
	v_lshlrev_b64 v[30:31], 2, v[18:19]
	s_and_b64 s[4:5], s[2:3], s[4:5]
	v_mov_b32_e32 v33, s17
	v_add_co_u32_e64 v32, s[2:3], s16, v30
	v_addc_co_u32_e64 v33, s[2:3], v33, v31, s[2:3]
	global_store_dword v[32:33], v20, off
	v_subrev_u32_e32 v32, s9, v16
	v_ashrrev_i32_e32 v33, 31, v32
	s_and_b64 s[2:3], s[18:19], s[4:5]
	v_lshlrev_b64 v[18:19], 3, v[18:19]
	v_cndmask_b32_e64 v33, 0, v33, s[2:3]
	v_cndmask_b32_e64 v32, 64, v32, s[2:3]
	v_mov_b32_e32 v34, s13
	v_add_co_u32_e64 v18, s[2:3], s12, v18
	v_addc_co_u32_e64 v19, s[2:3], v34, v19, s[2:3]
	global_store_dwordx2 v[18:19], v[32:33], off
	v_mov_b32_e32 v19, s15
	v_add_co_u32_e64 v18, s[2:3], s14, v30
	v_addc_co_u32_e64 v19, s[2:3], v19, v31, s[2:3]
	global_store_dword v[18:19], v29, off
	v_add_f32_e32 v18, v26, v20
	v_cndmask_b32_e32 v26, v26, v18, vcc
	s_or_b64 exec, exec, s[6:7]
	s_add_i32 s25, s25, 1
	s_cmp_ge_i32 s25, s8
	s_cbranch_scc1 .LBB119_9
.LBB119_17:                             ;   in Loop: Header=BB119_10 Depth=1
	s_waitcnt lgkmcnt(0)
	v_ashrrev_i32_e32 v19, 31, v16
	v_lshrrev_b32_e32 v18, 29, v19
	v_add_u32_e32 v18, v16, v18
	v_ashrrev_i32_e32 v18, 3, v18
	v_lshrrev_b32_e32 v20, 29, v18
	v_add_u32_e32 v20, v18, v20
	v_and_b32_e32 v20, -8, v20
	v_sub_u32_e32 v20, v18, v20
	v_cmp_eq_u32_e64 s[2:3], v21, v20
	s_and_saveexec_b64 s[4:5], s[2:3]
	s_cbranch_execz .LBB119_8
; %bb.18:                               ;   in Loop: Header=BB119_10 Depth=1
	v_lshrrev_b32_e32 v19, 26, v19
	v_add_u32_e32 v19, v16, v19
	v_lshlrev_b32_e32 v18, 3, v18
	v_ashrrev_i32_e32 v19, 6, v19
	v_sub_u32_e32 v16, v16, v18
	v_lshl_add_u32 v16, v19, 3, v16
	v_cmp_ne_u32_e64 s[2:3], 7, v16
	v_cndmask_b32_e64 v15, v28, v15, s[2:3]
	v_cmp_ne_u32_e64 s[2:3], 6, v16
	v_cndmask_b32_e64 v14, v28, v14, s[2:3]
	;; [unrolled: 2-line block ×8, first 2 shown]
	s_branch .LBB119_8
.LBB119_19:
                                        ; implicit-def: $vgpr8_vgpr9_vgpr10_vgpr11_vgpr12_vgpr13_vgpr14_vgpr15
	s_andn2_b64 vcc, exec, s[6:7]
	s_cbranch_vccz .LBB119_5
	s_branch .LBB119_6
.LBB119_20:
	v_mov_b32_e32 v26, 0
.LBB119_21:
	v_cmp_eq_u32_e64 s[0:1], 0, v21
	s_and_b64 s[0:1], s[0:1], vcc
	s_and_b64 exec, exec, s[0:1]
	s_cbranch_execz .LBB119_30
; %bb.22:
	s_andn2_b64 vcc, exec, s[20:21]
	s_cbranch_vccnz .LBB119_30
; %bb.23:
	v_cmp_lt_f32_e32 vcc, 0, v26
	s_mov_b32 s2, 0
	v_cndmask_b32_e32 v0, 1.0, v26, vcc
	v_mul_lo_u32 v4, v17, s8
	s_cmp_eq_u32 s8, 1
	s_mov_b64 s[0:1], -1
	s_cbranch_scc1 .LBB119_27
; %bb.24:
	s_and_b32 s2, s8, 0x7ffffffe
	v_mov_b32_e32 v1, v0
	v_mov_b32_e32 v5, s17
	s_mov_b32 s3, s2
	v_mov_b32_e32 v2, v4
.LBB119_25:                             ; =>This Inner Loop Header: Depth=1
	v_ashrrev_i32_e32 v3, 31, v2
	v_lshlrev_b64 v[6:7], 2, v[2:3]
	v_add_co_u32_e32 v6, vcc, s16, v6
	v_addc_co_u32_e32 v7, vcc, v5, v7, vcc
	global_load_dwordx2 v[8:9], v[6:7], off
	s_add_i32 s3, s3, -2
	s_cmp_lg_u32 s3, 0
	v_add_u32_e32 v2, 2, v2
	s_waitcnt vmcnt(0)
	v_div_scale_f32 v3, s[0:1], v1, v1, v9
	v_div_scale_f32 v11, s[0:1], v0, v0, v8
	v_rcp_f32_e32 v12, v3
	v_rcp_f32_e32 v13, v11
	v_div_scale_f32 v10, vcc, v9, v1, v9
	v_fma_f32 v15, -v3, v12, 1.0
	v_fma_f32 v16, -v11, v13, 1.0
	v_fmac_f32_e32 v12, v15, v12
	v_div_scale_f32 v14, s[0:1], v8, v0, v8
	v_fmac_f32_e32 v13, v16, v13
	v_mul_f32_e32 v15, v10, v12
	v_mul_f32_e32 v16, v14, v13
	v_fma_f32 v17, -v3, v15, v10
	v_fma_f32 v18, -v11, v16, v14
	v_fmac_f32_e32 v15, v17, v12
	v_fmac_f32_e32 v16, v18, v13
	v_fma_f32 v3, -v3, v15, v10
	v_fma_f32 v10, -v11, v16, v14
	v_div_fmas_f32 v3, v3, v12, v15
	s_mov_b64 vcc, s[0:1]
	v_div_fixup_f32 v9, v3, v1, v9
	v_div_fmas_f32 v3, v10, v13, v16
	v_div_fixup_f32 v8, v3, v0, v8
	global_store_dwordx2 v[6:7], v[8:9], off
	s_cbranch_scc1 .LBB119_25
; %bb.26:
	s_cmp_lg_u32 s2, s8
	s_cselect_b64 s[0:1], -1, 0
.LBB119_27:
	s_and_b64 vcc, exec, s[0:1]
	s_cbranch_vccz .LBB119_30
; %bb.28:
	v_ashrrev_i32_e32 v1, 31, v4
	v_add_co_u32_e32 v2, vcc, s2, v4
	v_addc_co_u32_e32 v3, vcc, 0, v1, vcc
	v_lshlrev_b64 v[2:3], 2, v[2:3]
	v_mov_b32_e32 v1, s17
	v_add_co_u32_e32 v2, vcc, s16, v2
	s_sub_i32 s0, s8, s2
	v_addc_co_u32_e32 v3, vcc, v1, v3, vcc
.LBB119_29:                             ; =>This Inner Loop Header: Depth=1
	global_load_dword v1, v[2:3], off
	s_add_i32 s0, s0, -1
	s_cmp_lg_u32 s0, 0
	s_waitcnt vmcnt(0)
	v_div_scale_f32 v4, s[2:3], v0, v0, v1
	v_rcp_f32_e32 v5, v4
	v_div_scale_f32 v6, vcc, v1, v0, v1
	v_fma_f32 v7, -v4, v5, 1.0
	v_fmac_f32_e32 v5, v7, v5
	v_mul_f32_e32 v7, v6, v5
	v_fma_f32 v8, -v4, v7, v6
	v_fmac_f32_e32 v7, v8, v5
	v_fma_f32 v4, -v4, v7, v6
	v_div_fmas_f32 v4, v4, v5, v7
	v_div_fixup_f32 v1, v4, v0, v1
	global_store_dword v[2:3], v1, off
	v_add_co_u32_e32 v2, vcc, 4, v2
	v_addc_co_u32_e32 v3, vcc, 0, v3, vcc
	s_cbranch_scc1 .LBB119_29
.LBB119_30:
	s_endpgm
	.section	.rodata,"a",@progbits
	.p2align	6, 0x0
	.amdhsa_kernel _ZN4vllm3moe10topkGatingILi8ELi64ELi4ELi16ELi64El6__halfLNS0_11ScoringFuncE0EEEvPKT5_PKbPfiPT4_PiiiibPKf
		.amdhsa_group_segment_fixed_size 0
		.amdhsa_private_segment_fixed_size 0
		.amdhsa_kernarg_size 72
		.amdhsa_user_sgpr_count 6
		.amdhsa_user_sgpr_private_segment_buffer 1
		.amdhsa_user_sgpr_dispatch_ptr 0
		.amdhsa_user_sgpr_queue_ptr 0
		.amdhsa_user_sgpr_kernarg_segment_ptr 1
		.amdhsa_user_sgpr_dispatch_id 0
		.amdhsa_user_sgpr_flat_scratch_init 0
		.amdhsa_user_sgpr_kernarg_preload_length 0
		.amdhsa_user_sgpr_kernarg_preload_offset 0
		.amdhsa_user_sgpr_private_segment_size 0
		.amdhsa_uses_dynamic_stack 0
		.amdhsa_system_sgpr_private_segment_wavefront_offset 0
		.amdhsa_system_sgpr_workgroup_id_x 1
		.amdhsa_system_sgpr_workgroup_id_y 0
		.amdhsa_system_sgpr_workgroup_id_z 0
		.amdhsa_system_sgpr_workgroup_info 0
		.amdhsa_system_vgpr_workitem_id 1
		.amdhsa_next_free_vgpr 35
		.amdhsa_next_free_sgpr 26
		.amdhsa_accum_offset 36
		.amdhsa_reserve_vcc 1
		.amdhsa_reserve_flat_scratch 0
		.amdhsa_float_round_mode_32 0
		.amdhsa_float_round_mode_16_64 0
		.amdhsa_float_denorm_mode_32 3
		.amdhsa_float_denorm_mode_16_64 3
		.amdhsa_dx10_clamp 1
		.amdhsa_ieee_mode 1
		.amdhsa_fp16_overflow 0
		.amdhsa_tg_split 0
		.amdhsa_exception_fp_ieee_invalid_op 0
		.amdhsa_exception_fp_denorm_src 0
		.amdhsa_exception_fp_ieee_div_zero 0
		.amdhsa_exception_fp_ieee_overflow 0
		.amdhsa_exception_fp_ieee_underflow 0
		.amdhsa_exception_fp_ieee_inexact 0
		.amdhsa_exception_int_div_zero 0
	.end_amdhsa_kernel
	.section	.text._ZN4vllm3moe10topkGatingILi8ELi64ELi4ELi16ELi64El6__halfLNS0_11ScoringFuncE0EEEvPKT5_PKbPfiPT4_PiiiibPKf,"axG",@progbits,_ZN4vllm3moe10topkGatingILi8ELi64ELi4ELi16ELi64El6__halfLNS0_11ScoringFuncE0EEEvPKT5_PKbPfiPT4_PiiiibPKf,comdat
.Lfunc_end119:
	.size	_ZN4vllm3moe10topkGatingILi8ELi64ELi4ELi16ELi64El6__halfLNS0_11ScoringFuncE0EEEvPKT5_PKbPfiPT4_PiiiibPKf, .Lfunc_end119-_ZN4vllm3moe10topkGatingILi8ELi64ELi4ELi16ELi64El6__halfLNS0_11ScoringFuncE0EEEvPKT5_PKbPfiPT4_PiiiibPKf
                                        ; -- End function
	.section	.AMDGPU.csdata,"",@progbits
; Kernel info:
; codeLenInByte = 2964
; NumSgprs: 30
; NumVgprs: 35
; NumAgprs: 0
; TotalNumVgprs: 35
; ScratchSize: 0
; MemoryBound: 0
; FloatMode: 240
; IeeeMode: 1
; LDSByteSize: 0 bytes/workgroup (compile time only)
; SGPRBlocks: 3
; VGPRBlocks: 4
; NumSGPRsForWavesPerEU: 30
; NumVGPRsForWavesPerEU: 35
; AccumOffset: 36
; Occupancy: 8
; WaveLimiterHint : 0
; COMPUTE_PGM_RSRC2:SCRATCH_EN: 0
; COMPUTE_PGM_RSRC2:USER_SGPR: 6
; COMPUTE_PGM_RSRC2:TRAP_HANDLER: 0
; COMPUTE_PGM_RSRC2:TGID_X_EN: 1
; COMPUTE_PGM_RSRC2:TGID_Y_EN: 0
; COMPUTE_PGM_RSRC2:TGID_Z_EN: 0
; COMPUTE_PGM_RSRC2:TIDIG_COMP_CNT: 1
; COMPUTE_PGM_RSRC3_GFX90A:ACCUM_OFFSET: 8
; COMPUTE_PGM_RSRC3_GFX90A:TG_SPLIT: 0
	.section	.text._ZN4vllm3moe10topkGatingILi8ELi64ELi4ELi16ELi32El6__halfLNS0_11ScoringFuncE0EEEvPKT5_PKbPfiPT4_PiiiibPKf,"axG",@progbits,_ZN4vllm3moe10topkGatingILi8ELi64ELi4ELi16ELi32El6__halfLNS0_11ScoringFuncE0EEEvPKT5_PKbPfiPT4_PiiiibPKf,comdat
	.protected	_ZN4vllm3moe10topkGatingILi8ELi64ELi4ELi16ELi32El6__halfLNS0_11ScoringFuncE0EEEvPKT5_PKbPfiPT4_PiiiibPKf ; -- Begin function _ZN4vllm3moe10topkGatingILi8ELi64ELi4ELi16ELi32El6__halfLNS0_11ScoringFuncE0EEEvPKT5_PKbPfiPT4_PiiiibPKf
	.globl	_ZN4vllm3moe10topkGatingILi8ELi64ELi4ELi16ELi32El6__halfLNS0_11ScoringFuncE0EEEvPKT5_PKbPfiPT4_PiiiibPKf
	.p2align	8
	.type	_ZN4vllm3moe10topkGatingILi8ELi64ELi4ELi16ELi32El6__halfLNS0_11ScoringFuncE0EEEvPKT5_PKbPfiPT4_PiiiibPKf,@function
_ZN4vllm3moe10topkGatingILi8ELi64ELi4ELi16ELi32El6__halfLNS0_11ScoringFuncE0EEEvPKT5_PKbPfiPT4_PiiiibPKf: ; @_ZN4vllm3moe10topkGatingILi8ELi64ELi4ELi16ELi32El6__halfLNS0_11ScoringFuncE0EEEvPKT5_PKbPfiPT4_PiiiibPKf
; %bb.0:
	s_load_dword s24, s[4:5], 0x18
	v_bfe_u32 v1, v0, 10, 10
	v_and_b32_e32 v0, 0x3ff, v0
	s_lshl_b32 s0, s6, 4
	v_lshlrev_b32_e32 v1, 2, v1
	v_lshrrev_b32_e32 v2, 3, v0
	v_add3_u32 v17, s0, v1, v2
	s_waitcnt lgkmcnt(0)
	v_cmp_gt_i32_e32 vcc, s24, v17
	s_and_saveexec_b64 s[0:1], vcc
	s_cbranch_execz .LBB120_30
; %bb.1:
	s_load_dwordx4 s[0:3], s[4:5], 0x0
	s_load_dwordx2 s[16:17], s[4:5], 0x10
	s_mov_b64 s[6:7], -1
	s_mov_b64 s[18:19], -1
	s_waitcnt lgkmcnt(0)
	s_cmp_eq_u64 s[2:3], 0
	s_cbranch_scc1 .LBB120_3
; %bb.2:
	v_ashrrev_i32_e32 v1, 31, v17
	v_mov_b32_e32 v3, s3
	v_add_co_u32_e32 v2, vcc, s2, v17
	v_addc_co_u32_e32 v3, vcc, v3, v1, vcc
	global_load_ubyte v1, v[2:3], off
	s_waitcnt vmcnt(0)
	v_and_b32_e32 v1, 1, v1
	v_cmp_eq_u32_e32 vcc, 1, v1
	s_xor_b64 s[2:3], vcc, -1
	s_orn2_b64 s[18:19], s[2:3], exec
.LBB120_3:
	v_lshlrev_b32_e32 v2, 6, v17
	v_ashrrev_i32_e32 v3, 31, v2
	v_lshlrev_b64 v[2:3], 1, v[2:3]
	v_mov_b32_e32 v1, s1
	v_add_co_u32_e32 v2, vcc, s0, v2
	v_and_b32_e32 v21, 7, v0
	v_addc_co_u32_e32 v1, vcc, v1, v3, vcc
	v_lshlrev_b32_e32 v0, 4, v21
	v_add_co_u32_e32 v0, vcc, v2, v0
	v_addc_co_u32_e32 v1, vcc, 0, v1, vcc
	global_load_dwordx4 v[0:3], v[0:1], off
	v_mbcnt_lo_u32_b32 v4, -1, 0
	v_mbcnt_hi_u32_b32 v8, -1, v4
	v_and_b32_e32 v4, 0x78, v8
	v_xor_b32_e32 v5, 4, v8
	v_add_u32_e32 v9, 8, v4
	v_cmp_lt_i32_e32 vcc, v5, v9
	v_cndmask_b32_e32 v4, v8, v5, vcc
	v_lshlrev_b32_e32 v22, 2, v4
	v_xor_b32_e32 v12, 2, v8
	v_cmp_lt_i32_e32 vcc, v12, v9
	v_cndmask_b32_e32 v12, v8, v12, vcc
	v_lshlrev_b32_e32 v23, 2, v12
	v_xor_b32_e32 v12, 1, v8
	v_cmp_lt_i32_e32 vcc, v12, v9
	v_cndmask_b32_e32 v8, v8, v12, vcc
	v_lshlrev_b32_e32 v24, 2, v8
	s_mov_b32 s2, 0x3fb8aa3b
	s_mov_b32 s0, 0xc2ce8ed0
	;; [unrolled: 1-line block ×3, first 2 shown]
	v_mov_b32_e32 v8, 0x7f800000
	s_waitcnt vmcnt(0)
	v_cvt_f32_f16_e32 v6, v0
	v_cvt_f32_f16_sdwa v7, v0 dst_sel:DWORD dst_unused:UNUSED_PAD src0_sel:WORD_1
	v_cvt_f32_f16_e32 v10, v1
	v_cvt_f32_f16_sdwa v4, v1 dst_sel:DWORD dst_unused:UNUSED_PAD src0_sel:WORD_1
	;; [unrolled: 2-line block ×3, first 2 shown]
	v_cvt_f32_f16_sdwa v11, v3 dst_sel:DWORD dst_unused:UNUSED_PAD src0_sel:WORD_1
	v_cvt_f32_f16_e32 v1, v3
	v_max_f32_e32 v2, v6, v7
	v_max3_f32 v2, v2, v10, v4
	v_max3_f32 v2, v2, v5, v0
	;; [unrolled: 1-line block ×3, first 2 shown]
	ds_bpermute_b32 v3, v22, v2
	s_waitcnt lgkmcnt(0)
	v_max_f32_e32 v3, v3, v3
	v_max_f32_e32 v2, v2, v3
	ds_bpermute_b32 v3, v23, v2
	s_waitcnt lgkmcnt(0)
	v_max_f32_e32 v3, v3, v3
	v_max_f32_e32 v2, v2, v3
	;; [unrolled: 4-line block ×3, first 2 shown]
	v_pk_add_f32 v[6:7], v[6:7], v[2:3] op_sel_hi:[1,0] neg_lo:[0,1] neg_hi:[0,1]
	v_mul_f32_e32 v9, 0x3fb8aa3b, v7
	v_sub_f32_e32 v3, v10, v2
	v_mul_f32_e32 v10, 0x3fb8aa3b, v6
	v_fma_f32 v16, v7, s2, -v9
	v_rndne_f32_e32 v18, v9
	v_pk_add_f32 v[4:5], v[4:5], v[2:3] op_sel_hi:[1,0] neg_lo:[0,1] neg_hi:[0,1]
	v_mul_f32_e32 v12, 0x3fb8aa3b, v3
	v_fma_f32 v19, v6, s2, -v10
	v_rndne_f32_e32 v20, v10
	v_fmac_f32_e32 v16, 0x32a5705f, v7
	v_sub_f32_e32 v9, v9, v18
	v_mul_f32_e32 v13, 0x3fb8aa3b, v5
	v_fma_f32 v25, v3, s2, -v12
	v_rndne_f32_e32 v26, v12
	v_fmac_f32_e32 v19, 0x32a5705f, v6
	v_sub_f32_e32 v10, v10, v20
	v_add_f32_e32 v9, v9, v16
	v_mul_f32_e32 v14, 0x3fb8aa3b, v4
	v_fma_f32 v27, v5, s2, -v13
	v_rndne_f32_e32 v28, v13
	v_cvt_i32_f32_e32 v18, v18
	v_fmac_f32_e32 v25, 0x32a5705f, v3
	v_sub_f32_e32 v12, v12, v26
	v_add_f32_e32 v10, v10, v19
	v_exp_f32_e32 v9, v9
	v_fma_f32 v29, v4, s2, -v14
	v_rndne_f32_e32 v30, v14
	v_cvt_i32_f32_e32 v20, v20
	v_fmac_f32_e32 v27, 0x32a5705f, v5
	v_sub_f32_e32 v13, v13, v28
	v_add_f32_e32 v12, v12, v25
	v_exp_f32_e32 v10, v10
	v_cvt_i32_f32_e32 v26, v26
	v_fmac_f32_e32 v29, 0x32a5705f, v4
	v_sub_f32_e32 v14, v14, v30
	v_add_f32_e32 v13, v13, v27
	v_exp_f32_e32 v12, v12
	v_cvt_i32_f32_e32 v28, v28
	v_add_f32_e32 v14, v14, v29
	v_exp_f32_e32 v13, v13
	v_cvt_i32_f32_e32 v30, v30
	v_exp_f32_e32 v14, v14
	v_ldexp_f32 v9, v9, v18
	v_cmp_ngt_f32_e32 vcc, s0, v7
	v_ldexp_f32 v10, v10, v20
	v_cndmask_b32_e32 v9, 0, v9, vcc
	v_cmp_ngt_f32_e32 vcc, s0, v6
	v_ldexp_f32 v12, v12, v26
	v_cndmask_b32_e32 v10, 0, v10, vcc
	;; [unrolled: 3-line block ×4, first 2 shown]
	v_cmp_ngt_f32_e32 vcc, s0, v4
	v_pk_add_f32 v[0:1], v[0:1], v[2:3] op_sel_hi:[1,0] neg_lo:[0,1] neg_hi:[0,1]
	v_cndmask_b32_e32 v14, 0, v14, vcc
	v_cmp_nlt_f32_e32 vcc, s1, v7
	v_mul_f32_e32 v15, 0x3fb8aa3b, v1
	v_cndmask_b32_e32 v7, v8, v9, vcc
	v_cmp_nlt_f32_e32 vcc, s1, v6
	v_fma_f32 v31, v1, s2, -v15
	v_cndmask_b32_e32 v6, v8, v10, vcc
	v_cmp_nlt_f32_e32 vcc, s1, v3
	v_rndne_f32_e32 v10, v15
	v_fmac_f32_e32 v31, 0x32a5705f, v1
	v_cndmask_b32_e32 v3, v8, v12, vcc
	v_sub_f32_e32 v12, v15, v10
	v_add_f32_e32 v12, v12, v31
	v_exp_f32_e32 v12, v12
	v_cvt_i32_f32_e32 v10, v10
	v_cmp_nlt_f32_e32 vcc, s1, v5
	v_cndmask_b32_e32 v5, v8, v13, vcc
	v_cmp_nlt_f32_e32 vcc, s1, v4
	v_ldexp_f32 v10, v12, v10
	v_mul_f32_e32 v12, 0x3fb8aa3b, v0
	v_cndmask_b32_e32 v4, v8, v14, vcc
	v_fma_f32 v13, v0, s2, -v12
	v_rndne_f32_e32 v14, v12
	v_fmac_f32_e32 v13, 0x32a5705f, v0
	v_sub_f32_e32 v12, v12, v14
	v_add_f32_e32 v12, v12, v13
	v_exp_f32_e32 v12, v12
	v_cvt_i32_f32_e32 v13, v14
	v_cmp_ngt_f32_e32 vcc, s0, v1
	v_sub_f32_e32 v2, v11, v2
	v_cndmask_b32_e32 v10, 0, v10, vcc
	v_cmp_nlt_f32_e32 vcc, s1, v1
	v_mul_f32_e32 v11, 0x3fb8aa3b, v2
	v_cndmask_b32_e32 v1, v8, v10, vcc
	v_ldexp_f32 v10, v12, v13
	v_fma_f32 v12, v2, s2, -v11
	v_rndne_f32_e32 v13, v11
	v_fmac_f32_e32 v12, 0x32a5705f, v2
	v_sub_f32_e32 v11, v11, v13
	v_add_f32_e32 v11, v11, v12
	v_exp_f32_e32 v11, v11
	v_cvt_i32_f32_e32 v12, v13
	v_add_f32_e32 v9, v6, v7
	v_add_f32_e32 v9, v9, v3
	v_cmp_ngt_f32_e32 vcc, s0, v0
	v_add_f32_e32 v9, v9, v4
	v_cndmask_b32_e32 v10, 0, v10, vcc
	v_cmp_nlt_f32_e32 vcc, s1, v0
	v_add_f32_e32 v9, v9, v5
	v_cndmask_b32_e32 v0, v8, v10, vcc
	v_ldexp_f32 v10, v11, v12
	v_cmp_ngt_f32_e32 vcc, s0, v2
	v_add_f32_e32 v9, v9, v0
	v_cndmask_b32_e32 v10, 0, v10, vcc
	v_cmp_nlt_f32_e32 vcc, s1, v2
	v_add_f32_e32 v9, v9, v1
	v_cndmask_b32_e32 v10, v8, v10, vcc
	v_add_f32_e32 v2, v9, v10
	ds_bpermute_b32 v8, v22, v2
	s_movk_i32 s2, 0x1f8
	v_lshlrev_b32_e32 v25, 3, v21
	s_waitcnt lgkmcnt(0)
	v_add_f32_e32 v2, v2, v8
	ds_bpermute_b32 v8, v23, v2
	s_waitcnt lgkmcnt(0)
	v_add_f32_e32 v2, v2, v8
	ds_bpermute_b32 v8, v24, v2
	s_waitcnt lgkmcnt(0)
	v_add_f32_e32 v2, v2, v8
	v_div_scale_f32 v8, s[0:1], v2, v2, 1.0
	v_rcp_f32_e32 v9, v8
	s_load_dwordx2 s[0:1], s[4:5], 0x40
	v_fma_f32 v11, -v8, v9, 1.0
	v_fmac_f32_e32 v9, v11, v9
	v_div_scale_f32 v11, vcc, 1.0, v2, 1.0
	v_mul_f32_e32 v12, v11, v9
	v_fma_f32 v13, -v8, v12, v11
	v_fmac_f32_e32 v12, v13, v9
	v_fma_f32 v8, -v8, v12, v11
	v_div_fmas_f32 v8, v8, v9, v12
	v_div_fixup_f32 v2, v8, v2, 1.0
	v_mul_f32_e32 v11, v2, v6
	v_mul_f32_e32 v12, v2, v7
	;; [unrolled: 1-line block ×3, first 2 shown]
	v_cmp_class_f32_e64 vcc, v11, s2
	v_pk_mul_f32 v[8:9], v[2:3], v[0:1] op_sel_hi:[0,1]
	v_cndmask_b32_e32 v0, 0, v11, vcc
	v_cmp_class_f32_e64 vcc, v12, s2
	v_pk_mul_f32 v[6:7], v[2:3], v[4:5] op_sel_hi:[0,1]
	v_cndmask_b32_e32 v1, 0, v12, vcc
	v_cmp_class_f32_e64 vcc, v3, s2
	v_mov_b32_e32 v5, 0x207
	v_mul_f32_e32 v10, v2, v10
	v_cndmask_b32_e32 v2, 0, v3, vcc
	v_cmp_class_f32_e32 vcc, v7, v5
	v_cndmask_b32_e64 v4, v7, 0, vcc
	v_cmp_class_f32_e32 vcc, v6, v5
	v_cndmask_b32_e64 v3, v6, 0, vcc
	v_cmp_class_f32_e32 vcc, v9, v5
	v_cndmask_b32_e64 v6, v9, 0, vcc
	v_cmp_class_f32_e32 vcc, v8, v5
	v_cndmask_b32_e64 v5, v8, 0, vcc
	v_cmp_class_f32_e64 vcc, v10, s2
	s_waitcnt lgkmcnt(0)
	s_cmp_eq_u64 s[0:1], 0
	v_cndmask_b32_e32 v7, 0, v10, vcc
	s_cbranch_scc1 .LBB120_19
; %bb.4:
	v_lshlrev_b32_e32 v16, 2, v25
	global_load_dwordx4 v[8:11], v16, s[0:1]
	global_load_dwordx4 v[12:15], v16, s[0:1] offset:16
	s_waitcnt vmcnt(1)
	v_pk_add_f32 v[8:9], v[8:9], v[0:1]
	v_pk_add_f32 v[10:11], v[10:11], v[2:3]
	s_waitcnt vmcnt(0)
	v_pk_add_f32 v[12:13], v[12:13], v[4:5]
	v_pk_add_f32 v[14:15], v[14:15], v[6:7]
	s_cbranch_execnz .LBB120_6
.LBB120_5:
	v_pk_mov_b32 v[14:15], v[6:7], v[6:7] op_sel:[0,1]
	v_pk_mov_b32 v[12:13], v[4:5], v[4:5] op_sel:[0,1]
	v_pk_mov_b32 v[10:11], v[2:3], v[2:3] op_sel:[0,1]
	v_pk_mov_b32 v[8:9], v[0:1], v[0:1] op_sel:[0,1]
.LBB120_6:
	s_load_dwordx4 s[8:11], s[4:5], 0x30
	s_mov_b32 s25, 0
	v_cmp_eq_u32_e64 s[0:1], 0, v21
	s_waitcnt lgkmcnt(0)
	s_bitcmp1_b32 s11, 0
	s_cselect_b64 vcc, -1, 0
	s_cmp_gt_i32 s8, 0
	s_cselect_b64 s[20:21], -1, 0
	s_cmp_lt_i32 s8, 1
	s_cbranch_scc1 .LBB120_20
; %bb.7:
	s_load_dwordx4 s[12:15], s[4:5], 0x20
	v_mul_lo_u32 v27, v17, s8
	v_mov_b32_e32 v26, 0
	v_mov_b32_e32 v28, 0xc61c4000
	;; [unrolled: 1-line block ×3, first 2 shown]
	s_branch .LBB120_10
.LBB120_8:                              ;   in Loop: Header=BB120_10 Depth=1
	s_or_b64 exec, exec, s[4:5]
.LBB120_9:                              ;   in Loop: Header=BB120_10 Depth=1
	s_cmp_eq_u32 s8, s25
	v_add_u32_e32 v29, s24, v29
	s_cbranch_scc1 .LBB120_21
.LBB120_10:                             ; =>This Inner Loop Header: Depth=1
	v_cmp_gt_f32_e64 s[2:3], v9, v8
	v_cndmask_b32_e64 v16, v8, v9, s[2:3]
	v_cndmask_b32_e64 v18, v0, v1, s[2:3]
	s_waitcnt lgkmcnt(0)
	v_cndmask_b32_e64 v19, 0, 1, s[2:3]
	v_cmp_gt_f32_e64 s[2:3], v10, v16
	v_cndmask_b32_e64 v16, v16, v10, s[2:3]
	v_cndmask_b32_e64 v18, v18, v2, s[2:3]
	v_cndmask_b32_e64 v19, v19, 2, s[2:3]
	v_cmp_gt_f32_e64 s[2:3], v11, v16
	v_cndmask_b32_e64 v16, v16, v11, s[2:3]
	v_cndmask_b32_e64 v18, v18, v3, s[2:3]
	;; [unrolled: 4-line block ×6, first 2 shown]
	v_or_b32_e32 v19, v25, v19
	ds_bpermute_b32 v20, v22, v16
	ds_bpermute_b32 v30, v22, v19
	v_cndmask_b32_e64 v18, v18, v7, s[2:3]
	ds_bpermute_b32 v32, v22, v18
	s_waitcnt lgkmcnt(0)
	v_cmp_eq_f32_e64 s[4:5], v16, v20
	v_cmp_lt_i32_e64 s[6:7], v30, v19
	v_cmp_lt_f32_e64 s[2:3], v16, v20
	s_and_b64 s[4:5], s[4:5], s[6:7]
	s_or_b64 s[2:3], s[2:3], s[4:5]
	v_cndmask_b32_e64 v31, v16, v20, s[2:3]
	v_cndmask_b32_e64 v30, v19, v30, s[2:3]
	v_cndmask_b32_e64 v16, v18, v32, s[2:3]
	ds_bpermute_b32 v33, v23, v31
	ds_bpermute_b32 v20, v23, v16
	;; [unrolled: 1-line block ×3, first 2 shown]
                                        ; implicit-def: $vgpr18_vgpr19
	s_waitcnt lgkmcnt(2)
	v_cmp_lt_f32_e64 s[6:7], v31, v33
	v_cmp_nlt_f32_e64 s[2:3], v31, v33
	s_and_saveexec_b64 s[22:23], s[2:3]
	s_cbranch_execz .LBB120_12
; %bb.11:                               ;   in Loop: Header=BB120_10 Depth=1
	v_cmp_eq_f32_e64 s[2:3], v31, v33
	s_waitcnt lgkmcnt(0)
	v_cmp_lt_i32_e64 s[4:5], v32, v30
	s_and_b64 s[2:3], s[2:3], s[4:5]
	s_andn2_b64 s[4:5], s[6:7], exec
	s_and_b64 s[2:3], s[2:3], exec
	s_or_b64 s[6:7], s[4:5], s[2:3]
	v_pk_mov_b32 v[18:19], v[16:17], v[16:17] op_sel:[0,1]
.LBB120_12:                             ;   in Loop: Header=BB120_10 Depth=1
	s_or_b64 exec, exec, s[22:23]
	s_and_saveexec_b64 s[2:3], s[6:7]
	s_cbranch_execz .LBB120_14
; %bb.13:                               ;   in Loop: Header=BB120_10 Depth=1
	v_mov_b32_e32 v31, v33
	s_waitcnt lgkmcnt(1)
	v_mov_b32_e32 v16, v20
	s_waitcnt lgkmcnt(0)
	v_mov_b32_e32 v30, v32
	v_pk_mov_b32 v[18:19], v[20:21], v[20:21] op_sel:[0,1]
.LBB120_14:                             ;   in Loop: Header=BB120_10 Depth=1
	s_or_b64 exec, exec, s[2:3]
	s_waitcnt lgkmcnt(1)
	ds_bpermute_b32 v20, v24, v31
	s_waitcnt lgkmcnt(1)
	ds_bpermute_b32 v32, v24, v30
	ds_bpermute_b32 v19, v24, v16
	s_waitcnt lgkmcnt(2)
	v_cmp_eq_f32_e64 s[4:5], v31, v20
	s_waitcnt lgkmcnt(1)
	v_cmp_lt_i32_e64 s[6:7], v32, v30
	v_cmp_lt_f32_e64 s[2:3], v31, v20
	s_and_b64 s[4:5], s[4:5], s[6:7]
	s_or_b64 s[2:3], s[2:3], s[4:5]
	v_cndmask_b32_e64 v16, v30, v32, s[2:3]
	s_and_saveexec_b64 s[6:7], s[0:1]
	s_cbranch_execnz .LBB120_16
; %bb.15:                               ;   in Loop: Header=BB120_10 Depth=1
	s_or_b64 exec, exec, s[6:7]
	s_add_i32 s25, s25, 1
	s_cmp_ge_i32 s25, s8
	s_cbranch_scc1 .LBB120_9
	s_branch .LBB120_17
.LBB120_16:                             ;   in Loop: Header=BB120_10 Depth=1
	s_waitcnt lgkmcnt(0)
	v_cndmask_b32_e64 v20, v18, v19, s[2:3]
	v_add_u32_e32 v18, s25, v27
	v_ashrrev_i32_e32 v19, 31, v18
	v_cmp_le_i32_e64 s[2:3], s9, v16
	v_cmp_gt_i32_e64 s[4:5], s10, v16
	v_lshlrev_b64 v[30:31], 2, v[18:19]
	s_and_b64 s[4:5], s[2:3], s[4:5]
	v_mov_b32_e32 v33, s17
	v_add_co_u32_e64 v32, s[2:3], s16, v30
	v_addc_co_u32_e64 v33, s[2:3], v33, v31, s[2:3]
	global_store_dword v[32:33], v20, off
	v_subrev_u32_e32 v32, s9, v16
	v_ashrrev_i32_e32 v33, 31, v32
	s_and_b64 s[2:3], s[18:19], s[4:5]
	v_lshlrev_b64 v[18:19], 3, v[18:19]
	v_cndmask_b32_e64 v33, 0, v33, s[2:3]
	v_cndmask_b32_e64 v32, 64, v32, s[2:3]
	v_mov_b32_e32 v34, s13
	v_add_co_u32_e64 v18, s[2:3], s12, v18
	v_addc_co_u32_e64 v19, s[2:3], v34, v19, s[2:3]
	global_store_dwordx2 v[18:19], v[32:33], off
	v_mov_b32_e32 v19, s15
	v_add_co_u32_e64 v18, s[2:3], s14, v30
	v_addc_co_u32_e64 v19, s[2:3], v19, v31, s[2:3]
	global_store_dword v[18:19], v29, off
	v_add_f32_e32 v18, v26, v20
	v_cndmask_b32_e32 v26, v26, v18, vcc
	s_or_b64 exec, exec, s[6:7]
	s_add_i32 s25, s25, 1
	s_cmp_ge_i32 s25, s8
	s_cbranch_scc1 .LBB120_9
.LBB120_17:                             ;   in Loop: Header=BB120_10 Depth=1
	s_waitcnt lgkmcnt(0)
	v_ashrrev_i32_e32 v19, 31, v16
	v_lshrrev_b32_e32 v18, 29, v19
	v_add_u32_e32 v18, v16, v18
	v_ashrrev_i32_e32 v18, 3, v18
	v_lshrrev_b32_e32 v20, 29, v18
	v_add_u32_e32 v20, v18, v20
	v_and_b32_e32 v20, -8, v20
	v_sub_u32_e32 v20, v18, v20
	v_cmp_eq_u32_e64 s[2:3], v21, v20
	s_and_saveexec_b64 s[4:5], s[2:3]
	s_cbranch_execz .LBB120_8
; %bb.18:                               ;   in Loop: Header=BB120_10 Depth=1
	v_lshrrev_b32_e32 v19, 26, v19
	v_add_u32_e32 v19, v16, v19
	v_lshlrev_b32_e32 v18, 3, v18
	v_ashrrev_i32_e32 v19, 6, v19
	v_sub_u32_e32 v16, v16, v18
	v_lshl_add_u32 v16, v19, 3, v16
	v_cmp_ne_u32_e64 s[2:3], 7, v16
	v_cndmask_b32_e64 v15, v28, v15, s[2:3]
	v_cmp_ne_u32_e64 s[2:3], 6, v16
	v_cndmask_b32_e64 v14, v28, v14, s[2:3]
	;; [unrolled: 2-line block ×8, first 2 shown]
	s_branch .LBB120_8
.LBB120_19:
                                        ; implicit-def: $vgpr8_vgpr9_vgpr10_vgpr11_vgpr12_vgpr13_vgpr14_vgpr15
	s_andn2_b64 vcc, exec, s[6:7]
	s_cbranch_vccz .LBB120_5
	s_branch .LBB120_6
.LBB120_20:
	v_mov_b32_e32 v26, 0
.LBB120_21:
	v_cmp_eq_u32_e64 s[0:1], 0, v21
	s_and_b64 s[0:1], s[0:1], vcc
	s_and_b64 exec, exec, s[0:1]
	s_cbranch_execz .LBB120_30
; %bb.22:
	s_andn2_b64 vcc, exec, s[20:21]
	s_cbranch_vccnz .LBB120_30
; %bb.23:
	v_cmp_lt_f32_e32 vcc, 0, v26
	s_mov_b32 s2, 0
	v_cndmask_b32_e32 v0, 1.0, v26, vcc
	v_mul_lo_u32 v4, v17, s8
	s_cmp_eq_u32 s8, 1
	s_mov_b64 s[0:1], -1
	s_cbranch_scc1 .LBB120_27
; %bb.24:
	s_and_b32 s2, s8, 0x7ffffffe
	v_mov_b32_e32 v1, v0
	v_mov_b32_e32 v5, s17
	s_mov_b32 s3, s2
	v_mov_b32_e32 v2, v4
.LBB120_25:                             ; =>This Inner Loop Header: Depth=1
	v_ashrrev_i32_e32 v3, 31, v2
	v_lshlrev_b64 v[6:7], 2, v[2:3]
	v_add_co_u32_e32 v6, vcc, s16, v6
	v_addc_co_u32_e32 v7, vcc, v5, v7, vcc
	global_load_dwordx2 v[8:9], v[6:7], off
	s_add_i32 s3, s3, -2
	s_cmp_lg_u32 s3, 0
	v_add_u32_e32 v2, 2, v2
	s_waitcnt vmcnt(0)
	v_div_scale_f32 v3, s[0:1], v1, v1, v9
	v_div_scale_f32 v11, s[0:1], v0, v0, v8
	v_rcp_f32_e32 v12, v3
	v_rcp_f32_e32 v13, v11
	v_div_scale_f32 v10, vcc, v9, v1, v9
	v_fma_f32 v15, -v3, v12, 1.0
	v_fma_f32 v16, -v11, v13, 1.0
	v_fmac_f32_e32 v12, v15, v12
	v_div_scale_f32 v14, s[0:1], v8, v0, v8
	v_fmac_f32_e32 v13, v16, v13
	v_mul_f32_e32 v15, v10, v12
	v_mul_f32_e32 v16, v14, v13
	v_fma_f32 v17, -v3, v15, v10
	v_fma_f32 v18, -v11, v16, v14
	v_fmac_f32_e32 v15, v17, v12
	v_fmac_f32_e32 v16, v18, v13
	v_fma_f32 v3, -v3, v15, v10
	v_fma_f32 v10, -v11, v16, v14
	v_div_fmas_f32 v3, v3, v12, v15
	s_mov_b64 vcc, s[0:1]
	v_div_fixup_f32 v9, v3, v1, v9
	v_div_fmas_f32 v3, v10, v13, v16
	v_div_fixup_f32 v8, v3, v0, v8
	global_store_dwordx2 v[6:7], v[8:9], off
	s_cbranch_scc1 .LBB120_25
; %bb.26:
	s_cmp_lg_u32 s2, s8
	s_cselect_b64 s[0:1], -1, 0
.LBB120_27:
	s_and_b64 vcc, exec, s[0:1]
	s_cbranch_vccz .LBB120_30
; %bb.28:
	v_ashrrev_i32_e32 v1, 31, v4
	v_add_co_u32_e32 v2, vcc, s2, v4
	v_addc_co_u32_e32 v3, vcc, 0, v1, vcc
	v_lshlrev_b64 v[2:3], 2, v[2:3]
	v_mov_b32_e32 v1, s17
	v_add_co_u32_e32 v2, vcc, s16, v2
	s_sub_i32 s0, s8, s2
	v_addc_co_u32_e32 v3, vcc, v1, v3, vcc
.LBB120_29:                             ; =>This Inner Loop Header: Depth=1
	global_load_dword v1, v[2:3], off
	s_add_i32 s0, s0, -1
	s_cmp_lg_u32 s0, 0
	s_waitcnt vmcnt(0)
	v_div_scale_f32 v4, s[2:3], v0, v0, v1
	v_rcp_f32_e32 v5, v4
	v_div_scale_f32 v6, vcc, v1, v0, v1
	v_fma_f32 v7, -v4, v5, 1.0
	v_fmac_f32_e32 v5, v7, v5
	v_mul_f32_e32 v7, v6, v5
	v_fma_f32 v8, -v4, v7, v6
	v_fmac_f32_e32 v7, v8, v5
	v_fma_f32 v4, -v4, v7, v6
	v_div_fmas_f32 v4, v4, v5, v7
	v_div_fixup_f32 v1, v4, v0, v1
	global_store_dword v[2:3], v1, off
	v_add_co_u32_e32 v2, vcc, 4, v2
	v_addc_co_u32_e32 v3, vcc, 0, v3, vcc
	s_cbranch_scc1 .LBB120_29
.LBB120_30:
	s_endpgm
	.section	.rodata,"a",@progbits
	.p2align	6, 0x0
	.amdhsa_kernel _ZN4vllm3moe10topkGatingILi8ELi64ELi4ELi16ELi32El6__halfLNS0_11ScoringFuncE0EEEvPKT5_PKbPfiPT4_PiiiibPKf
		.amdhsa_group_segment_fixed_size 0
		.amdhsa_private_segment_fixed_size 0
		.amdhsa_kernarg_size 72
		.amdhsa_user_sgpr_count 6
		.amdhsa_user_sgpr_private_segment_buffer 1
		.amdhsa_user_sgpr_dispatch_ptr 0
		.amdhsa_user_sgpr_queue_ptr 0
		.amdhsa_user_sgpr_kernarg_segment_ptr 1
		.amdhsa_user_sgpr_dispatch_id 0
		.amdhsa_user_sgpr_flat_scratch_init 0
		.amdhsa_user_sgpr_kernarg_preload_length 0
		.amdhsa_user_sgpr_kernarg_preload_offset 0
		.amdhsa_user_sgpr_private_segment_size 0
		.amdhsa_uses_dynamic_stack 0
		.amdhsa_system_sgpr_private_segment_wavefront_offset 0
		.amdhsa_system_sgpr_workgroup_id_x 1
		.amdhsa_system_sgpr_workgroup_id_y 0
		.amdhsa_system_sgpr_workgroup_id_z 0
		.amdhsa_system_sgpr_workgroup_info 0
		.amdhsa_system_vgpr_workitem_id 1
		.amdhsa_next_free_vgpr 35
		.amdhsa_next_free_sgpr 26
		.amdhsa_accum_offset 36
		.amdhsa_reserve_vcc 1
		.amdhsa_reserve_flat_scratch 0
		.amdhsa_float_round_mode_32 0
		.amdhsa_float_round_mode_16_64 0
		.amdhsa_float_denorm_mode_32 3
		.amdhsa_float_denorm_mode_16_64 3
		.amdhsa_dx10_clamp 1
		.amdhsa_ieee_mode 1
		.amdhsa_fp16_overflow 0
		.amdhsa_tg_split 0
		.amdhsa_exception_fp_ieee_invalid_op 0
		.amdhsa_exception_fp_denorm_src 0
		.amdhsa_exception_fp_ieee_div_zero 0
		.amdhsa_exception_fp_ieee_overflow 0
		.amdhsa_exception_fp_ieee_underflow 0
		.amdhsa_exception_fp_ieee_inexact 0
		.amdhsa_exception_int_div_zero 0
	.end_amdhsa_kernel
	.section	.text._ZN4vllm3moe10topkGatingILi8ELi64ELi4ELi16ELi32El6__halfLNS0_11ScoringFuncE0EEEvPKT5_PKbPfiPT4_PiiiibPKf,"axG",@progbits,_ZN4vllm3moe10topkGatingILi8ELi64ELi4ELi16ELi32El6__halfLNS0_11ScoringFuncE0EEEvPKT5_PKbPfiPT4_PiiiibPKf,comdat
.Lfunc_end120:
	.size	_ZN4vllm3moe10topkGatingILi8ELi64ELi4ELi16ELi32El6__halfLNS0_11ScoringFuncE0EEEvPKT5_PKbPfiPT4_PiiiibPKf, .Lfunc_end120-_ZN4vllm3moe10topkGatingILi8ELi64ELi4ELi16ELi32El6__halfLNS0_11ScoringFuncE0EEEvPKT5_PKbPfiPT4_PiiiibPKf
                                        ; -- End function
	.section	.AMDGPU.csdata,"",@progbits
; Kernel info:
; codeLenInByte = 2964
; NumSgprs: 30
; NumVgprs: 35
; NumAgprs: 0
; TotalNumVgprs: 35
; ScratchSize: 0
; MemoryBound: 0
; FloatMode: 240
; IeeeMode: 1
; LDSByteSize: 0 bytes/workgroup (compile time only)
; SGPRBlocks: 3
; VGPRBlocks: 4
; NumSGPRsForWavesPerEU: 30
; NumVGPRsForWavesPerEU: 35
; AccumOffset: 36
; Occupancy: 8
; WaveLimiterHint : 0
; COMPUTE_PGM_RSRC2:SCRATCH_EN: 0
; COMPUTE_PGM_RSRC2:USER_SGPR: 6
; COMPUTE_PGM_RSRC2:TRAP_HANDLER: 0
; COMPUTE_PGM_RSRC2:TGID_X_EN: 1
; COMPUTE_PGM_RSRC2:TGID_Y_EN: 0
; COMPUTE_PGM_RSRC2:TGID_Z_EN: 0
; COMPUTE_PGM_RSRC2:TIDIG_COMP_CNT: 1
; COMPUTE_PGM_RSRC3_GFX90A:ACCUM_OFFSET: 8
; COMPUTE_PGM_RSRC3_GFX90A:TG_SPLIT: 0
	.section	.text._ZN4vllm3moe10topkGatingILi8ELi128ELi4ELi16ELi64El6__halfLNS0_11ScoringFuncE0EEEvPKT5_PKbPfiPT4_PiiiibPKf,"axG",@progbits,_ZN4vllm3moe10topkGatingILi8ELi128ELi4ELi16ELi64El6__halfLNS0_11ScoringFuncE0EEEvPKT5_PKbPfiPT4_PiiiibPKf,comdat
	.protected	_ZN4vllm3moe10topkGatingILi8ELi128ELi4ELi16ELi64El6__halfLNS0_11ScoringFuncE0EEEvPKT5_PKbPfiPT4_PiiiibPKf ; -- Begin function _ZN4vllm3moe10topkGatingILi8ELi128ELi4ELi16ELi64El6__halfLNS0_11ScoringFuncE0EEEvPKT5_PKbPfiPT4_PiiiibPKf
	.globl	_ZN4vllm3moe10topkGatingILi8ELi128ELi4ELi16ELi64El6__halfLNS0_11ScoringFuncE0EEEvPKT5_PKbPfiPT4_PiiiibPKf
	.p2align	8
	.type	_ZN4vllm3moe10topkGatingILi8ELi128ELi4ELi16ELi64El6__halfLNS0_11ScoringFuncE0EEEvPKT5_PKbPfiPT4_PiiiibPKf,@function
_ZN4vllm3moe10topkGatingILi8ELi128ELi4ELi16ELi64El6__halfLNS0_11ScoringFuncE0EEEvPKT5_PKbPfiPT4_PiiiibPKf: ; @_ZN4vllm3moe10topkGatingILi8ELi128ELi4ELi16ELi64El6__halfLNS0_11ScoringFuncE0EEEvPKT5_PKbPfiPT4_PiiiibPKf
; %bb.0:
	s_load_dword s24, s[4:5], 0x18
	v_bfe_u32 v1, v0, 10, 10
	v_and_b32_e32 v0, 0x3ff, v0
	s_lshl_b32 s0, s6, 4
	v_lshlrev_b32_e32 v1, 2, v1
	v_lshrrev_b32_e32 v2, 4, v0
	v_add3_u32 v17, s0, v1, v2
	s_waitcnt lgkmcnt(0)
	v_cmp_gt_i32_e32 vcc, s24, v17
	s_and_saveexec_b64 s[0:1], vcc
	s_cbranch_execz .LBB121_34
; %bb.1:
	s_load_dwordx4 s[0:3], s[4:5], 0x0
	s_load_dwordx2 s[16:17], s[4:5], 0x10
	s_mov_b64 s[6:7], -1
	s_mov_b64 s[18:19], -1
	s_waitcnt lgkmcnt(0)
	s_cmp_eq_u64 s[2:3], 0
	s_cbranch_scc1 .LBB121_3
; %bb.2:
	v_ashrrev_i32_e32 v1, 31, v17
	v_mov_b32_e32 v3, s3
	v_add_co_u32_e32 v2, vcc, s2, v17
	v_addc_co_u32_e32 v3, vcc, v3, v1, vcc
	global_load_ubyte v1, v[2:3], off
	s_waitcnt vmcnt(0)
	v_and_b32_e32 v1, 1, v1
	v_cmp_eq_u32_e32 vcc, 1, v1
	s_xor_b64 s[2:3], vcc, -1
	s_orn2_b64 s[18:19], s[2:3], exec
.LBB121_3:
	v_lshlrev_b32_e32 v2, 7, v17
	v_ashrrev_i32_e32 v3, 31, v2
	v_lshlrev_b64 v[2:3], 1, v[2:3]
	v_mov_b32_e32 v1, s1
	v_add_co_u32_e32 v2, vcc, s0, v2
	v_and_b32_e32 v21, 15, v0
	v_addc_co_u32_e32 v1, vcc, v1, v3, vcc
	v_lshlrev_b32_e32 v0, 4, v21
	v_add_co_u32_e32 v0, vcc, v2, v0
	v_addc_co_u32_e32 v1, vcc, 0, v1, vcc
	global_load_dwordx4 v[0:3], v[0:1], off
	v_mbcnt_lo_u32_b32 v4, -1, 0
	v_mbcnt_hi_u32_b32 v6, -1, v4
	v_and_b32_e32 v4, 0x70, v6
	v_xor_b32_e32 v5, 8, v6
	v_add_u32_e32 v7, 16, v4
	v_cmp_lt_i32_e32 vcc, v5, v7
	v_cndmask_b32_e32 v4, v6, v5, vcc
	v_lshlrev_b32_e32 v22, 2, v4
	v_xor_b32_e32 v12, 4, v6
	v_cmp_lt_i32_e32 vcc, v12, v7
	v_cndmask_b32_e32 v12, v6, v12, vcc
	v_lshlrev_b32_e32 v23, 2, v12
	v_xor_b32_e32 v12, 2, v6
	;; [unrolled: 4-line block ×3, first 2 shown]
	v_cmp_lt_i32_e32 vcc, v12, v7
	v_cndmask_b32_e32 v6, v6, v12, vcc
	v_lshlrev_b32_e32 v25, 2, v6
	s_mov_b32 s2, 0x3fb8aa3b
	s_mov_b32 s0, 0xc2ce8ed0
	;; [unrolled: 1-line block ×3, first 2 shown]
	v_mov_b32_e32 v6, 0x7f800000
	s_waitcnt vmcnt(0)
	v_cvt_f32_f16_e32 v8, v0
	v_cvt_f32_f16_sdwa v9, v0 dst_sel:DWORD dst_unused:UNUSED_PAD src0_sel:WORD_1
	v_cvt_f32_f16_e32 v10, v1
	v_cvt_f32_f16_sdwa v4, v1 dst_sel:DWORD dst_unused:UNUSED_PAD src0_sel:WORD_1
	;; [unrolled: 2-line block ×3, first 2 shown]
	v_cvt_f32_f16_sdwa v11, v3 dst_sel:DWORD dst_unused:UNUSED_PAD src0_sel:WORD_1
	v_cvt_f32_f16_e32 v1, v3
	v_max_f32_e32 v2, v8, v9
	v_max3_f32 v2, v2, v10, v4
	v_max3_f32 v2, v2, v5, v0
	;; [unrolled: 1-line block ×3, first 2 shown]
	ds_bpermute_b32 v3, v22, v2
	s_waitcnt lgkmcnt(0)
	v_max_f32_e32 v3, v3, v3
	v_max_f32_e32 v2, v2, v3
	ds_bpermute_b32 v3, v23, v2
	s_waitcnt lgkmcnt(0)
	v_max_f32_e32 v3, v3, v3
	v_max_f32_e32 v2, v2, v3
	;; [unrolled: 4-line block ×4, first 2 shown]
	v_sub_f32_e32 v3, v8, v2
	v_sub_f32_e32 v7, v9, v2
	v_mul_f32_e32 v9, 0x3fb8aa3b, v3
	v_sub_f32_e32 v8, v10, v2
	v_mul_f32_e32 v10, 0x3fb8aa3b, v7
	v_fma_f32 v16, v3, s2, -v9
	v_rndne_f32_e32 v18, v9
	v_pk_add_f32 v[4:5], v[4:5], v[2:3] op_sel_hi:[1,0] neg_lo:[0,1] neg_hi:[0,1]
	v_mul_f32_e32 v12, 0x3fb8aa3b, v8
	v_fma_f32 v19, v7, s2, -v10
	v_rndne_f32_e32 v20, v10
	v_fmac_f32_e32 v16, 0x32a5705f, v3
	v_sub_f32_e32 v9, v9, v18
	v_mul_f32_e32 v13, 0x3fb8aa3b, v5
	v_fma_f32 v26, v8, s2, -v12
	v_rndne_f32_e32 v27, v12
	v_fmac_f32_e32 v19, 0x32a5705f, v7
	v_sub_f32_e32 v10, v10, v20
	v_add_f32_e32 v9, v9, v16
	v_mul_f32_e32 v14, 0x3fb8aa3b, v4
	v_fma_f32 v28, v5, s2, -v13
	v_rndne_f32_e32 v29, v13
	v_cvt_i32_f32_e32 v18, v18
	v_fmac_f32_e32 v26, 0x32a5705f, v8
	v_sub_f32_e32 v12, v12, v27
	v_add_f32_e32 v10, v10, v19
	v_exp_f32_e32 v9, v9
	v_fma_f32 v30, v4, s2, -v14
	v_rndne_f32_e32 v31, v14
	v_cvt_i32_f32_e32 v20, v20
	v_fmac_f32_e32 v28, 0x32a5705f, v5
	v_sub_f32_e32 v13, v13, v29
	v_add_f32_e32 v12, v12, v26
	v_exp_f32_e32 v10, v10
	v_cvt_i32_f32_e32 v27, v27
	v_fmac_f32_e32 v30, 0x32a5705f, v4
	v_sub_f32_e32 v14, v14, v31
	v_add_f32_e32 v13, v13, v28
	v_exp_f32_e32 v12, v12
	v_cvt_i32_f32_e32 v29, v29
	v_add_f32_e32 v14, v14, v30
	v_exp_f32_e32 v13, v13
	v_cvt_i32_f32_e32 v31, v31
	v_exp_f32_e32 v14, v14
	v_ldexp_f32 v9, v9, v18
	v_cmp_ngt_f32_e32 vcc, s0, v3
	v_ldexp_f32 v10, v10, v20
	v_cndmask_b32_e32 v9, 0, v9, vcc
	v_cmp_ngt_f32_e32 vcc, s0, v7
	v_ldexp_f32 v12, v12, v27
	v_cndmask_b32_e32 v10, 0, v10, vcc
	;; [unrolled: 3-line block ×4, first 2 shown]
	v_cmp_ngt_f32_e32 vcc, s0, v4
	v_pk_add_f32 v[0:1], v[0:1], v[2:3] op_sel_hi:[1,0] neg_lo:[0,1] neg_hi:[0,1]
	v_cndmask_b32_e32 v14, 0, v14, vcc
	v_cmp_nlt_f32_e32 vcc, s1, v3
	v_mul_f32_e32 v15, 0x3fb8aa3b, v1
	v_cndmask_b32_e32 v3, v6, v9, vcc
	v_cmp_nlt_f32_e32 vcc, s1, v7
	v_fma_f32 v32, v1, s2, -v15
	v_cndmask_b32_e32 v7, v6, v10, vcc
	v_cmp_nlt_f32_e32 vcc, s1, v8
	v_rndne_f32_e32 v10, v15
	v_cndmask_b32_e32 v8, v6, v12, vcc
	v_fmac_f32_e32 v32, 0x32a5705f, v1
	v_sub_f32_e32 v12, v15, v10
	v_add_f32_e32 v12, v12, v32
	v_exp_f32_e32 v12, v12
	v_cvt_i32_f32_e32 v10, v10
	v_cmp_nlt_f32_e32 vcc, s1, v5
	v_cndmask_b32_e32 v5, v6, v13, vcc
	v_cmp_nlt_f32_e32 vcc, s1, v4
	v_ldexp_f32 v10, v12, v10
	v_mul_f32_e32 v12, 0x3fb8aa3b, v0
	v_cndmask_b32_e32 v4, v6, v14, vcc
	v_fma_f32 v13, v0, s2, -v12
	v_rndne_f32_e32 v14, v12
	v_fmac_f32_e32 v13, 0x32a5705f, v0
	v_sub_f32_e32 v12, v12, v14
	v_add_f32_e32 v12, v12, v13
	v_exp_f32_e32 v12, v12
	v_cvt_i32_f32_e32 v13, v14
	v_cmp_ngt_f32_e32 vcc, s0, v1
	v_sub_f32_e32 v2, v11, v2
	v_cndmask_b32_e32 v10, 0, v10, vcc
	v_cmp_nlt_f32_e32 vcc, s1, v1
	v_mul_f32_e32 v11, 0x3fb8aa3b, v2
	v_cndmask_b32_e32 v1, v6, v10, vcc
	v_ldexp_f32 v10, v12, v13
	v_fma_f32 v12, v2, s2, -v11
	v_rndne_f32_e32 v13, v11
	v_fmac_f32_e32 v12, 0x32a5705f, v2
	v_sub_f32_e32 v11, v11, v13
	v_add_f32_e32 v11, v11, v12
	v_exp_f32_e32 v11, v11
	v_cvt_i32_f32_e32 v12, v13
	v_add_f32_e32 v9, v3, v7
	v_add_f32_e32 v9, v9, v8
	v_cmp_ngt_f32_e32 vcc, s0, v0
	v_add_f32_e32 v9, v9, v4
	v_cndmask_b32_e32 v10, 0, v10, vcc
	v_cmp_nlt_f32_e32 vcc, s1, v0
	v_add_f32_e32 v9, v9, v5
	v_cndmask_b32_e32 v0, v6, v10, vcc
	v_ldexp_f32 v10, v11, v12
	v_cmp_ngt_f32_e32 vcc, s0, v2
	v_add_f32_e32 v9, v9, v0
	v_cndmask_b32_e32 v10, 0, v10, vcc
	v_cmp_nlt_f32_e32 vcc, s1, v2
	v_add_f32_e32 v9, v9, v1
	v_cndmask_b32_e32 v10, v6, v10, vcc
	v_add_f32_e32 v2, v9, v10
	ds_bpermute_b32 v6, v22, v2
	s_movk_i32 s2, 0x1f8
	v_lshlrev_b32_e32 v26, 3, v21
	s_waitcnt lgkmcnt(0)
	v_add_f32_e32 v2, v2, v6
	ds_bpermute_b32 v6, v23, v2
	s_waitcnt lgkmcnt(0)
	v_add_f32_e32 v2, v2, v6
	ds_bpermute_b32 v6, v24, v2
	;; [unrolled: 3-line block ×3, first 2 shown]
	s_waitcnt lgkmcnt(0)
	v_add_f32_e32 v2, v2, v6
	v_div_scale_f32 v6, s[0:1], v2, v2, 1.0
	v_rcp_f32_e32 v9, v6
	s_load_dwordx2 s[0:1], s[4:5], 0x40
	v_fma_f32 v11, -v6, v9, 1.0
	v_fmac_f32_e32 v9, v11, v9
	v_div_scale_f32 v11, vcc, 1.0, v2, 1.0
	v_mul_f32_e32 v12, v11, v9
	v_fma_f32 v13, -v6, v12, v11
	v_fmac_f32_e32 v12, v13, v9
	v_fma_f32 v6, -v6, v12, v11
	v_div_fmas_f32 v6, v6, v9, v12
	v_div_fixup_f32 v2, v6, v2, 1.0
	v_mul_f32_e32 v3, v2, v3
	v_mul_f32_e32 v11, v2, v7
	v_cmp_class_f32_e64 vcc, v3, s2
	v_mul_f32_e32 v12, v2, v8
	v_pk_mul_f32 v[8:9], v[2:3], v[0:1] op_sel_hi:[0,1]
	v_cndmask_b32_e32 v0, 0, v3, vcc
	v_cmp_class_f32_e64 vcc, v11, s2
	v_pk_mul_f32 v[6:7], v[2:3], v[4:5] op_sel_hi:[0,1]
	v_cndmask_b32_e32 v1, 0, v11, vcc
	v_cmp_class_f32_e64 vcc, v12, s2
	v_mov_b32_e32 v5, 0x207
	v_mul_f32_e32 v10, v2, v10
	v_cndmask_b32_e32 v2, 0, v12, vcc
	v_cmp_class_f32_e32 vcc, v7, v5
	v_cndmask_b32_e64 v4, v7, 0, vcc
	v_cmp_class_f32_e32 vcc, v6, v5
	v_cndmask_b32_e64 v3, v6, 0, vcc
	;; [unrolled: 2-line block ×4, first 2 shown]
	v_cmp_class_f32_e64 vcc, v10, s2
	s_waitcnt lgkmcnt(0)
	s_cmp_eq_u64 s[0:1], 0
	v_cndmask_b32_e32 v7, 0, v10, vcc
	s_cbranch_scc1 .LBB121_23
; %bb.4:
	v_lshlrev_b32_e32 v16, 2, v26
	global_load_dwordx4 v[8:11], v16, s[0:1]
	global_load_dwordx4 v[12:15], v16, s[0:1] offset:16
	s_waitcnt vmcnt(1)
	v_pk_add_f32 v[8:9], v[8:9], v[0:1]
	v_pk_add_f32 v[10:11], v[10:11], v[2:3]
	s_waitcnt vmcnt(0)
	v_pk_add_f32 v[12:13], v[12:13], v[4:5]
	v_pk_add_f32 v[14:15], v[14:15], v[6:7]
	s_cbranch_execnz .LBB121_6
.LBB121_5:
	v_pk_mov_b32 v[14:15], v[6:7], v[6:7] op_sel:[0,1]
	v_pk_mov_b32 v[12:13], v[4:5], v[4:5] op_sel:[0,1]
	;; [unrolled: 1-line block ×4, first 2 shown]
.LBB121_6:
	s_load_dwordx4 s[8:11], s[4:5], 0x30
	s_mov_b32 s25, 0
	v_cmp_eq_u32_e64 s[0:1], 0, v21
	s_waitcnt lgkmcnt(0)
	s_bitcmp1_b32 s11, 0
	s_cselect_b64 vcc, -1, 0
	s_cmp_gt_i32 s8, 0
	s_cselect_b64 s[20:21], -1, 0
	s_cmp_lt_i32 s8, 1
	s_cbranch_scc1 .LBB121_24
; %bb.7:
	s_load_dwordx4 s[12:15], s[4:5], 0x20
	v_mul_lo_u32 v28, v17, s8
	v_mov_b32_e32 v27, 0
	v_mov_b32_e32 v29, 0x80
	;; [unrolled: 1-line block ×4, first 2 shown]
	s_branch .LBB121_10
.LBB121_8:                              ;   in Loop: Header=BB121_10 Depth=1
	s_or_b64 exec, exec, s[4:5]
.LBB121_9:                              ;   in Loop: Header=BB121_10 Depth=1
	s_cmp_eq_u32 s8, s25
	v_add_u32_e32 v31, s24, v31
	s_cbranch_scc1 .LBB121_25
.LBB121_10:                             ; =>This Inner Loop Header: Depth=1
	v_cmp_gt_f32_e64 s[2:3], v9, v8
	v_cndmask_b32_e64 v16, v8, v9, s[2:3]
	v_cndmask_b32_e64 v18, v0, v1, s[2:3]
	s_waitcnt lgkmcnt(0)
	v_cndmask_b32_e64 v19, 0, 1, s[2:3]
	v_cmp_gt_f32_e64 s[2:3], v10, v16
	v_cndmask_b32_e64 v16, v16, v10, s[2:3]
	v_cndmask_b32_e64 v18, v18, v2, s[2:3]
	v_cndmask_b32_e64 v19, v19, 2, s[2:3]
	v_cmp_gt_f32_e64 s[2:3], v11, v16
	v_cndmask_b32_e64 v16, v16, v11, s[2:3]
	v_cndmask_b32_e64 v18, v18, v3, s[2:3]
	;; [unrolled: 4-line block ×6, first 2 shown]
	v_or_b32_e32 v19, v26, v19
	ds_bpermute_b32 v20, v22, v16
	ds_bpermute_b32 v32, v22, v19
	v_cndmask_b32_e64 v18, v18, v7, s[2:3]
	ds_bpermute_b32 v34, v22, v18
	s_waitcnt lgkmcnt(0)
	v_cmp_eq_f32_e64 s[4:5], v16, v20
	v_cmp_lt_i32_e64 s[6:7], v32, v19
	v_cmp_lt_f32_e64 s[2:3], v16, v20
	s_and_b64 s[4:5], s[4:5], s[6:7]
	s_or_b64 s[2:3], s[2:3], s[4:5]
	v_cndmask_b32_e64 v33, v19, v32, s[2:3]
	v_cndmask_b32_e64 v32, v16, v20, s[2:3]
	;; [unrolled: 1-line block ×3, first 2 shown]
	ds_bpermute_b32 v35, v23, v32
	ds_bpermute_b32 v20, v23, v16
	;; [unrolled: 1-line block ×3, first 2 shown]
                                        ; implicit-def: $vgpr18_vgpr19
	s_waitcnt lgkmcnt(2)
	v_cmp_lt_f32_e64 s[6:7], v32, v35
	v_cmp_nlt_f32_e64 s[2:3], v32, v35
	s_and_saveexec_b64 s[22:23], s[2:3]
	s_cbranch_execz .LBB121_12
; %bb.11:                               ;   in Loop: Header=BB121_10 Depth=1
	v_cmp_eq_f32_e64 s[2:3], v32, v35
	s_waitcnt lgkmcnt(0)
	v_cmp_lt_i32_e64 s[4:5], v34, v33
	s_and_b64 s[2:3], s[2:3], s[4:5]
	s_andn2_b64 s[4:5], s[6:7], exec
	s_and_b64 s[2:3], s[2:3], exec
	s_or_b64 s[6:7], s[4:5], s[2:3]
	v_pk_mov_b32 v[18:19], v[16:17], v[16:17] op_sel:[0,1]
.LBB121_12:                             ;   in Loop: Header=BB121_10 Depth=1
	s_or_b64 exec, exec, s[22:23]
	s_and_saveexec_b64 s[2:3], s[6:7]
	s_cbranch_execz .LBB121_14
; %bb.13:                               ;   in Loop: Header=BB121_10 Depth=1
	v_mov_b32_e32 v32, v35
	s_waitcnt lgkmcnt(1)
	v_mov_b32_e32 v16, v20
	s_waitcnt lgkmcnt(0)
	v_mov_b32_e32 v33, v34
	v_pk_mov_b32 v[18:19], v[20:21], v[20:21] op_sel:[0,1]
.LBB121_14:                             ;   in Loop: Header=BB121_10 Depth=1
	s_or_b64 exec, exec, s[2:3]
	s_waitcnt lgkmcnt(0)
	ds_bpermute_b32 v34, v24, v32
	ds_bpermute_b32 v20, v24, v16
	;; [unrolled: 1-line block ×3, first 2 shown]
	s_waitcnt lgkmcnt(2)
	v_cmp_lt_f32_e64 s[6:7], v32, v34
	v_cmp_nlt_f32_e64 s[2:3], v32, v34
	s_and_saveexec_b64 s[22:23], s[2:3]
	s_cbranch_execz .LBB121_16
; %bb.15:                               ;   in Loop: Header=BB121_10 Depth=1
	v_cmp_eq_f32_e64 s[2:3], v32, v34
	s_waitcnt lgkmcnt(0)
	v_cmp_lt_i32_e64 s[4:5], v19, v33
	s_and_b64 s[2:3], s[2:3], s[4:5]
	s_andn2_b64 s[4:5], s[6:7], exec
	s_and_b64 s[2:3], s[2:3], exec
	s_or_b64 s[6:7], s[4:5], s[2:3]
.LBB121_16:                             ;   in Loop: Header=BB121_10 Depth=1
	s_or_b64 exec, exec, s[22:23]
	s_and_saveexec_b64 s[2:3], s[6:7]
	s_cbranch_execz .LBB121_18
; %bb.17:                               ;   in Loop: Header=BB121_10 Depth=1
	v_mov_b32_e32 v32, v34
	s_waitcnt lgkmcnt(1)
	v_mov_b32_e32 v16, v20
	s_waitcnt lgkmcnt(0)
	v_mov_b32_e32 v33, v19
	v_pk_mov_b32 v[18:19], v[20:21], v[20:21] op_sel:[0,1]
.LBB121_18:                             ;   in Loop: Header=BB121_10 Depth=1
	s_or_b64 exec, exec, s[2:3]
	s_waitcnt lgkmcnt(1)
	ds_bpermute_b32 v20, v25, v32
	ds_bpermute_b32 v34, v25, v33
	s_waitcnt lgkmcnt(2)
	ds_bpermute_b32 v19, v25, v16
	s_waitcnt lgkmcnt(2)
	v_cmp_eq_f32_e64 s[4:5], v32, v20
	s_waitcnt lgkmcnt(1)
	v_cmp_lt_i32_e64 s[6:7], v34, v33
	v_cmp_lt_f32_e64 s[2:3], v32, v20
	s_and_b64 s[4:5], s[4:5], s[6:7]
	s_or_b64 s[2:3], s[2:3], s[4:5]
	v_cndmask_b32_e64 v16, v33, v34, s[2:3]
	s_and_saveexec_b64 s[6:7], s[0:1]
	s_cbranch_execnz .LBB121_20
; %bb.19:                               ;   in Loop: Header=BB121_10 Depth=1
	s_or_b64 exec, exec, s[6:7]
	s_add_i32 s25, s25, 1
	s_cmp_ge_i32 s25, s8
	s_cbranch_scc1 .LBB121_9
	s_branch .LBB121_21
.LBB121_20:                             ;   in Loop: Header=BB121_10 Depth=1
	s_waitcnt lgkmcnt(0)
	v_cndmask_b32_e64 v20, v18, v19, s[2:3]
	v_add_u32_e32 v18, s25, v28
	v_ashrrev_i32_e32 v19, 31, v18
	v_cmp_le_i32_e64 s[2:3], s9, v16
	v_cmp_gt_i32_e64 s[4:5], s10, v16
	v_lshlrev_b64 v[32:33], 2, v[18:19]
	s_and_b64 s[4:5], s[2:3], s[4:5]
	v_mov_b32_e32 v35, s17
	v_add_co_u32_e64 v34, s[2:3], s16, v32
	v_addc_co_u32_e64 v35, s[2:3], v35, v33, s[2:3]
	global_store_dword v[34:35], v20, off
	v_subrev_u32_e32 v34, s9, v16
	v_ashrrev_i32_e32 v35, 31, v34
	s_and_b64 s[2:3], s[18:19], s[4:5]
	v_lshlrev_b64 v[18:19], 3, v[18:19]
	v_cndmask_b32_e64 v35, 0, v35, s[2:3]
	v_cndmask_b32_e64 v34, v29, v34, s[2:3]
	v_mov_b32_e32 v36, s13
	v_add_co_u32_e64 v18, s[2:3], s12, v18
	v_addc_co_u32_e64 v19, s[2:3], v36, v19, s[2:3]
	global_store_dwordx2 v[18:19], v[34:35], off
	v_mov_b32_e32 v19, s15
	v_add_co_u32_e64 v18, s[2:3], s14, v32
	v_addc_co_u32_e64 v19, s[2:3], v19, v33, s[2:3]
	global_store_dword v[18:19], v31, off
	v_add_f32_e32 v18, v27, v20
	v_cndmask_b32_e32 v27, v27, v18, vcc
	s_or_b64 exec, exec, s[6:7]
	s_add_i32 s25, s25, 1
	s_cmp_ge_i32 s25, s8
	s_cbranch_scc1 .LBB121_9
.LBB121_21:                             ;   in Loop: Header=BB121_10 Depth=1
	s_waitcnt lgkmcnt(0)
	v_ashrrev_i32_e32 v19, 31, v16
	v_lshrrev_b32_e32 v18, 29, v19
	v_add_u32_e32 v18, v16, v18
	v_ashrrev_i32_e32 v18, 3, v18
	v_lshrrev_b32_e32 v20, 28, v18
	v_add_u32_e32 v20, v18, v20
	v_and_b32_e32 v20, -16, v20
	v_sub_u32_e32 v20, v18, v20
	v_cmp_eq_u32_e64 s[2:3], v21, v20
	s_and_saveexec_b64 s[4:5], s[2:3]
	s_cbranch_execz .LBB121_8
; %bb.22:                               ;   in Loop: Header=BB121_10 Depth=1
	v_lshrrev_b32_e32 v19, 25, v19
	v_add_u32_e32 v19, v16, v19
	v_lshlrev_b32_e32 v18, 3, v18
	v_ashrrev_i32_e32 v19, 7, v19
	v_sub_u32_e32 v16, v16, v18
	v_lshl_add_u32 v16, v19, 3, v16
	v_cmp_ne_u32_e64 s[2:3], 7, v16
	v_cndmask_b32_e64 v15, v30, v15, s[2:3]
	v_cmp_ne_u32_e64 s[2:3], 6, v16
	v_cndmask_b32_e64 v14, v30, v14, s[2:3]
	;; [unrolled: 2-line block ×8, first 2 shown]
	s_branch .LBB121_8
.LBB121_23:
                                        ; implicit-def: $vgpr8_vgpr9_vgpr10_vgpr11_vgpr12_vgpr13_vgpr14_vgpr15
	s_andn2_b64 vcc, exec, s[6:7]
	s_cbranch_vccz .LBB121_5
	s_branch .LBB121_6
.LBB121_24:
	v_mov_b32_e32 v27, 0
.LBB121_25:
	v_cmp_eq_u32_e64 s[0:1], 0, v21
	s_and_b64 s[0:1], s[0:1], vcc
	s_and_b64 exec, exec, s[0:1]
	s_cbranch_execz .LBB121_34
; %bb.26:
	s_andn2_b64 vcc, exec, s[20:21]
	s_cbranch_vccnz .LBB121_34
; %bb.27:
	v_cmp_lt_f32_e32 vcc, 0, v27
	s_mov_b32 s2, 0
	v_cndmask_b32_e32 v0, 1.0, v27, vcc
	v_mul_lo_u32 v4, v17, s8
	s_cmp_eq_u32 s8, 1
	s_mov_b64 s[0:1], -1
	s_cbranch_scc1 .LBB121_31
; %bb.28:
	s_and_b32 s2, s8, 0x7ffffffe
	v_mov_b32_e32 v1, v0
	v_mov_b32_e32 v5, s17
	s_mov_b32 s3, s2
	v_mov_b32_e32 v2, v4
.LBB121_29:                             ; =>This Inner Loop Header: Depth=1
	v_ashrrev_i32_e32 v3, 31, v2
	v_lshlrev_b64 v[6:7], 2, v[2:3]
	v_add_co_u32_e32 v6, vcc, s16, v6
	v_addc_co_u32_e32 v7, vcc, v5, v7, vcc
	global_load_dwordx2 v[8:9], v[6:7], off
	s_add_i32 s3, s3, -2
	s_cmp_lg_u32 s3, 0
	v_add_u32_e32 v2, 2, v2
	s_waitcnt vmcnt(0)
	v_div_scale_f32 v3, s[0:1], v1, v1, v9
	v_div_scale_f32 v11, s[0:1], v0, v0, v8
	v_rcp_f32_e32 v12, v3
	v_rcp_f32_e32 v13, v11
	v_div_scale_f32 v10, vcc, v9, v1, v9
	v_fma_f32 v15, -v3, v12, 1.0
	v_fma_f32 v16, -v11, v13, 1.0
	v_fmac_f32_e32 v12, v15, v12
	v_div_scale_f32 v14, s[0:1], v8, v0, v8
	v_fmac_f32_e32 v13, v16, v13
	v_mul_f32_e32 v15, v10, v12
	v_mul_f32_e32 v16, v14, v13
	v_fma_f32 v17, -v3, v15, v10
	v_fma_f32 v18, -v11, v16, v14
	v_fmac_f32_e32 v15, v17, v12
	v_fmac_f32_e32 v16, v18, v13
	v_fma_f32 v3, -v3, v15, v10
	v_fma_f32 v10, -v11, v16, v14
	v_div_fmas_f32 v3, v3, v12, v15
	s_mov_b64 vcc, s[0:1]
	v_div_fixup_f32 v9, v3, v1, v9
	v_div_fmas_f32 v3, v10, v13, v16
	v_div_fixup_f32 v8, v3, v0, v8
	global_store_dwordx2 v[6:7], v[8:9], off
	s_cbranch_scc1 .LBB121_29
; %bb.30:
	s_cmp_lg_u32 s2, s8
	s_cselect_b64 s[0:1], -1, 0
.LBB121_31:
	s_and_b64 vcc, exec, s[0:1]
	s_cbranch_vccz .LBB121_34
; %bb.32:
	v_ashrrev_i32_e32 v1, 31, v4
	v_add_co_u32_e32 v2, vcc, s2, v4
	v_addc_co_u32_e32 v3, vcc, 0, v1, vcc
	v_lshlrev_b64 v[2:3], 2, v[2:3]
	v_mov_b32_e32 v1, s17
	v_add_co_u32_e32 v2, vcc, s16, v2
	s_sub_i32 s0, s8, s2
	v_addc_co_u32_e32 v3, vcc, v1, v3, vcc
.LBB121_33:                             ; =>This Inner Loop Header: Depth=1
	global_load_dword v1, v[2:3], off
	s_add_i32 s0, s0, -1
	s_cmp_lg_u32 s0, 0
	s_waitcnt vmcnt(0)
	v_div_scale_f32 v4, s[2:3], v0, v0, v1
	v_rcp_f32_e32 v5, v4
	v_div_scale_f32 v6, vcc, v1, v0, v1
	v_fma_f32 v7, -v4, v5, 1.0
	v_fmac_f32_e32 v5, v7, v5
	v_mul_f32_e32 v7, v6, v5
	v_fma_f32 v8, -v4, v7, v6
	v_fmac_f32_e32 v7, v8, v5
	v_fma_f32 v4, -v4, v7, v6
	v_div_fmas_f32 v4, v4, v5, v7
	v_div_fixup_f32 v1, v4, v0, v1
	global_store_dword v[2:3], v1, off
	v_add_co_u32_e32 v2, vcc, 4, v2
	v_addc_co_u32_e32 v3, vcc, 0, v3, vcc
	s_cbranch_scc1 .LBB121_33
.LBB121_34:
	s_endpgm
	.section	.rodata,"a",@progbits
	.p2align	6, 0x0
	.amdhsa_kernel _ZN4vllm3moe10topkGatingILi8ELi128ELi4ELi16ELi64El6__halfLNS0_11ScoringFuncE0EEEvPKT5_PKbPfiPT4_PiiiibPKf
		.amdhsa_group_segment_fixed_size 0
		.amdhsa_private_segment_fixed_size 0
		.amdhsa_kernarg_size 72
		.amdhsa_user_sgpr_count 6
		.amdhsa_user_sgpr_private_segment_buffer 1
		.amdhsa_user_sgpr_dispatch_ptr 0
		.amdhsa_user_sgpr_queue_ptr 0
		.amdhsa_user_sgpr_kernarg_segment_ptr 1
		.amdhsa_user_sgpr_dispatch_id 0
		.amdhsa_user_sgpr_flat_scratch_init 0
		.amdhsa_user_sgpr_kernarg_preload_length 0
		.amdhsa_user_sgpr_kernarg_preload_offset 0
		.amdhsa_user_sgpr_private_segment_size 0
		.amdhsa_uses_dynamic_stack 0
		.amdhsa_system_sgpr_private_segment_wavefront_offset 0
		.amdhsa_system_sgpr_workgroup_id_x 1
		.amdhsa_system_sgpr_workgroup_id_y 0
		.amdhsa_system_sgpr_workgroup_id_z 0
		.amdhsa_system_sgpr_workgroup_info 0
		.amdhsa_system_vgpr_workitem_id 1
		.amdhsa_next_free_vgpr 37
		.amdhsa_next_free_sgpr 26
		.amdhsa_accum_offset 40
		.amdhsa_reserve_vcc 1
		.amdhsa_reserve_flat_scratch 0
		.amdhsa_float_round_mode_32 0
		.amdhsa_float_round_mode_16_64 0
		.amdhsa_float_denorm_mode_32 3
		.amdhsa_float_denorm_mode_16_64 3
		.amdhsa_dx10_clamp 1
		.amdhsa_ieee_mode 1
		.amdhsa_fp16_overflow 0
		.amdhsa_tg_split 0
		.amdhsa_exception_fp_ieee_invalid_op 0
		.amdhsa_exception_fp_denorm_src 0
		.amdhsa_exception_fp_ieee_div_zero 0
		.amdhsa_exception_fp_ieee_overflow 0
		.amdhsa_exception_fp_ieee_underflow 0
		.amdhsa_exception_fp_ieee_inexact 0
		.amdhsa_exception_int_div_zero 0
	.end_amdhsa_kernel
	.section	.text._ZN4vllm3moe10topkGatingILi8ELi128ELi4ELi16ELi64El6__halfLNS0_11ScoringFuncE0EEEvPKT5_PKbPfiPT4_PiiiibPKf,"axG",@progbits,_ZN4vllm3moe10topkGatingILi8ELi128ELi4ELi16ELi64El6__halfLNS0_11ScoringFuncE0EEEvPKT5_PKbPfiPT4_PiiiibPKf,comdat
.Lfunc_end121:
	.size	_ZN4vllm3moe10topkGatingILi8ELi128ELi4ELi16ELi64El6__halfLNS0_11ScoringFuncE0EEEvPKT5_PKbPfiPT4_PiiiibPKf, .Lfunc_end121-_ZN4vllm3moe10topkGatingILi8ELi128ELi4ELi16ELi64El6__halfLNS0_11ScoringFuncE0EEEvPKT5_PKbPfiPT4_PiiiibPKf
                                        ; -- End function
	.section	.AMDGPU.csdata,"",@progbits
; Kernel info:
; codeLenInByte = 3160
; NumSgprs: 30
; NumVgprs: 37
; NumAgprs: 0
; TotalNumVgprs: 37
; ScratchSize: 0
; MemoryBound: 0
; FloatMode: 240
; IeeeMode: 1
; LDSByteSize: 0 bytes/workgroup (compile time only)
; SGPRBlocks: 3
; VGPRBlocks: 4
; NumSGPRsForWavesPerEU: 30
; NumVGPRsForWavesPerEU: 37
; AccumOffset: 40
; Occupancy: 8
; WaveLimiterHint : 0
; COMPUTE_PGM_RSRC2:SCRATCH_EN: 0
; COMPUTE_PGM_RSRC2:USER_SGPR: 6
; COMPUTE_PGM_RSRC2:TRAP_HANDLER: 0
; COMPUTE_PGM_RSRC2:TGID_X_EN: 1
; COMPUTE_PGM_RSRC2:TGID_Y_EN: 0
; COMPUTE_PGM_RSRC2:TGID_Z_EN: 0
; COMPUTE_PGM_RSRC2:TIDIG_COMP_CNT: 1
; COMPUTE_PGM_RSRC3_GFX90A:ACCUM_OFFSET: 9
; COMPUTE_PGM_RSRC3_GFX90A:TG_SPLIT: 0
	.section	.text._ZN4vllm3moe10topkGatingILi8ELi128ELi4ELi16ELi32El6__halfLNS0_11ScoringFuncE0EEEvPKT5_PKbPfiPT4_PiiiibPKf,"axG",@progbits,_ZN4vllm3moe10topkGatingILi8ELi128ELi4ELi16ELi32El6__halfLNS0_11ScoringFuncE0EEEvPKT5_PKbPfiPT4_PiiiibPKf,comdat
	.protected	_ZN4vllm3moe10topkGatingILi8ELi128ELi4ELi16ELi32El6__halfLNS0_11ScoringFuncE0EEEvPKT5_PKbPfiPT4_PiiiibPKf ; -- Begin function _ZN4vllm3moe10topkGatingILi8ELi128ELi4ELi16ELi32El6__halfLNS0_11ScoringFuncE0EEEvPKT5_PKbPfiPT4_PiiiibPKf
	.globl	_ZN4vllm3moe10topkGatingILi8ELi128ELi4ELi16ELi32El6__halfLNS0_11ScoringFuncE0EEEvPKT5_PKbPfiPT4_PiiiibPKf
	.p2align	8
	.type	_ZN4vllm3moe10topkGatingILi8ELi128ELi4ELi16ELi32El6__halfLNS0_11ScoringFuncE0EEEvPKT5_PKbPfiPT4_PiiiibPKf,@function
_ZN4vllm3moe10topkGatingILi8ELi128ELi4ELi16ELi32El6__halfLNS0_11ScoringFuncE0EEEvPKT5_PKbPfiPT4_PiiiibPKf: ; @_ZN4vllm3moe10topkGatingILi8ELi128ELi4ELi16ELi32El6__halfLNS0_11ScoringFuncE0EEEvPKT5_PKbPfiPT4_PiiiibPKf
; %bb.0:
	s_load_dword s24, s[4:5], 0x18
	v_bfe_u32 v1, v0, 10, 10
	v_and_b32_e32 v0, 0x3ff, v0
	s_lshl_b32 s0, s6, 3
	v_lshlrev_b32_e32 v1, 1, v1
	v_lshrrev_b32_e32 v2, 4, v0
	v_add3_u32 v17, s0, v1, v2
	s_waitcnt lgkmcnt(0)
	v_cmp_gt_i32_e32 vcc, s24, v17
	s_and_saveexec_b64 s[0:1], vcc
	s_cbranch_execz .LBB122_34
; %bb.1:
	s_load_dwordx4 s[0:3], s[4:5], 0x0
	s_load_dwordx2 s[16:17], s[4:5], 0x10
	s_mov_b64 s[6:7], -1
	s_mov_b64 s[18:19], -1
	s_waitcnt lgkmcnt(0)
	s_cmp_eq_u64 s[2:3], 0
	s_cbranch_scc1 .LBB122_3
; %bb.2:
	v_ashrrev_i32_e32 v1, 31, v17
	v_mov_b32_e32 v3, s3
	v_add_co_u32_e32 v2, vcc, s2, v17
	v_addc_co_u32_e32 v3, vcc, v3, v1, vcc
	global_load_ubyte v1, v[2:3], off
	s_waitcnt vmcnt(0)
	v_and_b32_e32 v1, 1, v1
	v_cmp_eq_u32_e32 vcc, 1, v1
	s_xor_b64 s[2:3], vcc, -1
	s_orn2_b64 s[18:19], s[2:3], exec
.LBB122_3:
	v_lshlrev_b32_e32 v2, 7, v17
	v_ashrrev_i32_e32 v3, 31, v2
	v_lshlrev_b64 v[2:3], 1, v[2:3]
	v_mov_b32_e32 v1, s1
	v_add_co_u32_e32 v2, vcc, s0, v2
	v_and_b32_e32 v21, 15, v0
	v_addc_co_u32_e32 v1, vcc, v1, v3, vcc
	v_lshlrev_b32_e32 v0, 4, v21
	v_add_co_u32_e32 v0, vcc, v2, v0
	v_addc_co_u32_e32 v1, vcc, 0, v1, vcc
	global_load_dwordx4 v[0:3], v[0:1], off
	v_mbcnt_lo_u32_b32 v4, -1, 0
	v_mbcnt_hi_u32_b32 v6, -1, v4
	v_and_b32_e32 v4, 0x70, v6
	v_xor_b32_e32 v5, 8, v6
	v_add_u32_e32 v7, 16, v4
	v_cmp_lt_i32_e32 vcc, v5, v7
	v_cndmask_b32_e32 v4, v6, v5, vcc
	v_lshlrev_b32_e32 v22, 2, v4
	v_xor_b32_e32 v12, 4, v6
	v_cmp_lt_i32_e32 vcc, v12, v7
	v_cndmask_b32_e32 v12, v6, v12, vcc
	v_lshlrev_b32_e32 v23, 2, v12
	v_xor_b32_e32 v12, 2, v6
	;; [unrolled: 4-line block ×3, first 2 shown]
	v_cmp_lt_i32_e32 vcc, v12, v7
	v_cndmask_b32_e32 v6, v6, v12, vcc
	v_lshlrev_b32_e32 v25, 2, v6
	s_mov_b32 s2, 0x3fb8aa3b
	s_mov_b32 s0, 0xc2ce8ed0
	;; [unrolled: 1-line block ×3, first 2 shown]
	v_mov_b32_e32 v6, 0x7f800000
	s_waitcnt vmcnt(0)
	v_cvt_f32_f16_e32 v8, v0
	v_cvt_f32_f16_sdwa v9, v0 dst_sel:DWORD dst_unused:UNUSED_PAD src0_sel:WORD_1
	v_cvt_f32_f16_e32 v10, v1
	v_cvt_f32_f16_sdwa v4, v1 dst_sel:DWORD dst_unused:UNUSED_PAD src0_sel:WORD_1
	;; [unrolled: 2-line block ×3, first 2 shown]
	v_cvt_f32_f16_sdwa v11, v3 dst_sel:DWORD dst_unused:UNUSED_PAD src0_sel:WORD_1
	v_cvt_f32_f16_e32 v1, v3
	v_max_f32_e32 v2, v8, v9
	v_max3_f32 v2, v2, v10, v4
	v_max3_f32 v2, v2, v5, v0
	;; [unrolled: 1-line block ×3, first 2 shown]
	ds_bpermute_b32 v3, v22, v2
	s_waitcnt lgkmcnt(0)
	v_max_f32_e32 v3, v3, v3
	v_max_f32_e32 v2, v2, v3
	ds_bpermute_b32 v3, v23, v2
	s_waitcnt lgkmcnt(0)
	v_max_f32_e32 v3, v3, v3
	v_max_f32_e32 v2, v2, v3
	ds_bpermute_b32 v3, v24, v2
	s_waitcnt lgkmcnt(0)
	v_max_f32_e32 v3, v3, v3
	v_max_f32_e32 v2, v2, v3
	ds_bpermute_b32 v3, v25, v2
	s_waitcnt lgkmcnt(0)
	v_max_f32_e32 v3, v3, v3
	v_max_f32_e32 v2, v2, v3
	v_sub_f32_e32 v3, v8, v2
	v_sub_f32_e32 v7, v9, v2
	v_mul_f32_e32 v9, 0x3fb8aa3b, v3
	v_sub_f32_e32 v8, v10, v2
	v_mul_f32_e32 v10, 0x3fb8aa3b, v7
	v_fma_f32 v16, v3, s2, -v9
	v_rndne_f32_e32 v18, v9
	v_pk_add_f32 v[4:5], v[4:5], v[2:3] op_sel_hi:[1,0] neg_lo:[0,1] neg_hi:[0,1]
	v_mul_f32_e32 v12, 0x3fb8aa3b, v8
	v_fma_f32 v19, v7, s2, -v10
	v_rndne_f32_e32 v20, v10
	v_fmac_f32_e32 v16, 0x32a5705f, v3
	v_sub_f32_e32 v9, v9, v18
	v_mul_f32_e32 v13, 0x3fb8aa3b, v5
	v_fma_f32 v26, v8, s2, -v12
	v_rndne_f32_e32 v27, v12
	v_fmac_f32_e32 v19, 0x32a5705f, v7
	v_sub_f32_e32 v10, v10, v20
	v_add_f32_e32 v9, v9, v16
	v_mul_f32_e32 v14, 0x3fb8aa3b, v4
	v_fma_f32 v28, v5, s2, -v13
	v_rndne_f32_e32 v29, v13
	v_cvt_i32_f32_e32 v18, v18
	v_fmac_f32_e32 v26, 0x32a5705f, v8
	v_sub_f32_e32 v12, v12, v27
	v_add_f32_e32 v10, v10, v19
	v_exp_f32_e32 v9, v9
	v_fma_f32 v30, v4, s2, -v14
	v_rndne_f32_e32 v31, v14
	v_cvt_i32_f32_e32 v20, v20
	v_fmac_f32_e32 v28, 0x32a5705f, v5
	v_sub_f32_e32 v13, v13, v29
	v_add_f32_e32 v12, v12, v26
	v_exp_f32_e32 v10, v10
	v_cvt_i32_f32_e32 v27, v27
	v_fmac_f32_e32 v30, 0x32a5705f, v4
	v_sub_f32_e32 v14, v14, v31
	v_add_f32_e32 v13, v13, v28
	v_exp_f32_e32 v12, v12
	v_cvt_i32_f32_e32 v29, v29
	v_add_f32_e32 v14, v14, v30
	v_exp_f32_e32 v13, v13
	v_cvt_i32_f32_e32 v31, v31
	v_exp_f32_e32 v14, v14
	v_ldexp_f32 v9, v9, v18
	v_cmp_ngt_f32_e32 vcc, s0, v3
	v_ldexp_f32 v10, v10, v20
	v_cndmask_b32_e32 v9, 0, v9, vcc
	v_cmp_ngt_f32_e32 vcc, s0, v7
	v_ldexp_f32 v12, v12, v27
	v_cndmask_b32_e32 v10, 0, v10, vcc
	v_cmp_ngt_f32_e32 vcc, s0, v8
	v_ldexp_f32 v13, v13, v29
	v_cndmask_b32_e32 v12, 0, v12, vcc
	v_cmp_ngt_f32_e32 vcc, s0, v5
	v_ldexp_f32 v14, v14, v31
	v_cndmask_b32_e32 v13, 0, v13, vcc
	v_cmp_ngt_f32_e32 vcc, s0, v4
	v_pk_add_f32 v[0:1], v[0:1], v[2:3] op_sel_hi:[1,0] neg_lo:[0,1] neg_hi:[0,1]
	v_cndmask_b32_e32 v14, 0, v14, vcc
	v_cmp_nlt_f32_e32 vcc, s1, v3
	v_mul_f32_e32 v15, 0x3fb8aa3b, v1
	v_cndmask_b32_e32 v3, v6, v9, vcc
	v_cmp_nlt_f32_e32 vcc, s1, v7
	v_fma_f32 v32, v1, s2, -v15
	v_cndmask_b32_e32 v7, v6, v10, vcc
	v_cmp_nlt_f32_e32 vcc, s1, v8
	v_rndne_f32_e32 v10, v15
	v_cndmask_b32_e32 v8, v6, v12, vcc
	v_fmac_f32_e32 v32, 0x32a5705f, v1
	v_sub_f32_e32 v12, v15, v10
	v_add_f32_e32 v12, v12, v32
	v_exp_f32_e32 v12, v12
	v_cvt_i32_f32_e32 v10, v10
	v_cmp_nlt_f32_e32 vcc, s1, v5
	v_cndmask_b32_e32 v5, v6, v13, vcc
	v_cmp_nlt_f32_e32 vcc, s1, v4
	v_ldexp_f32 v10, v12, v10
	v_mul_f32_e32 v12, 0x3fb8aa3b, v0
	v_cndmask_b32_e32 v4, v6, v14, vcc
	v_fma_f32 v13, v0, s2, -v12
	v_rndne_f32_e32 v14, v12
	v_fmac_f32_e32 v13, 0x32a5705f, v0
	v_sub_f32_e32 v12, v12, v14
	v_add_f32_e32 v12, v12, v13
	v_exp_f32_e32 v12, v12
	v_cvt_i32_f32_e32 v13, v14
	v_cmp_ngt_f32_e32 vcc, s0, v1
	v_sub_f32_e32 v2, v11, v2
	v_cndmask_b32_e32 v10, 0, v10, vcc
	v_cmp_nlt_f32_e32 vcc, s1, v1
	v_mul_f32_e32 v11, 0x3fb8aa3b, v2
	v_cndmask_b32_e32 v1, v6, v10, vcc
	v_ldexp_f32 v10, v12, v13
	v_fma_f32 v12, v2, s2, -v11
	v_rndne_f32_e32 v13, v11
	v_fmac_f32_e32 v12, 0x32a5705f, v2
	v_sub_f32_e32 v11, v11, v13
	v_add_f32_e32 v11, v11, v12
	v_exp_f32_e32 v11, v11
	v_cvt_i32_f32_e32 v12, v13
	v_add_f32_e32 v9, v3, v7
	v_add_f32_e32 v9, v9, v8
	v_cmp_ngt_f32_e32 vcc, s0, v0
	v_add_f32_e32 v9, v9, v4
	v_cndmask_b32_e32 v10, 0, v10, vcc
	v_cmp_nlt_f32_e32 vcc, s1, v0
	v_add_f32_e32 v9, v9, v5
	v_cndmask_b32_e32 v0, v6, v10, vcc
	v_ldexp_f32 v10, v11, v12
	v_cmp_ngt_f32_e32 vcc, s0, v2
	v_add_f32_e32 v9, v9, v0
	v_cndmask_b32_e32 v10, 0, v10, vcc
	v_cmp_nlt_f32_e32 vcc, s1, v2
	v_add_f32_e32 v9, v9, v1
	v_cndmask_b32_e32 v10, v6, v10, vcc
	v_add_f32_e32 v2, v9, v10
	ds_bpermute_b32 v6, v22, v2
	s_movk_i32 s2, 0x1f8
	v_lshlrev_b32_e32 v26, 3, v21
	s_waitcnt lgkmcnt(0)
	v_add_f32_e32 v2, v2, v6
	ds_bpermute_b32 v6, v23, v2
	s_waitcnt lgkmcnt(0)
	v_add_f32_e32 v2, v2, v6
	ds_bpermute_b32 v6, v24, v2
	;; [unrolled: 3-line block ×3, first 2 shown]
	s_waitcnt lgkmcnt(0)
	v_add_f32_e32 v2, v2, v6
	v_div_scale_f32 v6, s[0:1], v2, v2, 1.0
	v_rcp_f32_e32 v9, v6
	s_load_dwordx2 s[0:1], s[4:5], 0x40
	v_fma_f32 v11, -v6, v9, 1.0
	v_fmac_f32_e32 v9, v11, v9
	v_div_scale_f32 v11, vcc, 1.0, v2, 1.0
	v_mul_f32_e32 v12, v11, v9
	v_fma_f32 v13, -v6, v12, v11
	v_fmac_f32_e32 v12, v13, v9
	v_fma_f32 v6, -v6, v12, v11
	v_div_fmas_f32 v6, v6, v9, v12
	v_div_fixup_f32 v2, v6, v2, 1.0
	v_mul_f32_e32 v3, v2, v3
	v_mul_f32_e32 v11, v2, v7
	v_cmp_class_f32_e64 vcc, v3, s2
	v_mul_f32_e32 v12, v2, v8
	v_pk_mul_f32 v[8:9], v[2:3], v[0:1] op_sel_hi:[0,1]
	v_cndmask_b32_e32 v0, 0, v3, vcc
	v_cmp_class_f32_e64 vcc, v11, s2
	v_pk_mul_f32 v[6:7], v[2:3], v[4:5] op_sel_hi:[0,1]
	v_cndmask_b32_e32 v1, 0, v11, vcc
	v_cmp_class_f32_e64 vcc, v12, s2
	v_mov_b32_e32 v5, 0x207
	v_mul_f32_e32 v10, v2, v10
	v_cndmask_b32_e32 v2, 0, v12, vcc
	v_cmp_class_f32_e32 vcc, v7, v5
	v_cndmask_b32_e64 v4, v7, 0, vcc
	v_cmp_class_f32_e32 vcc, v6, v5
	v_cndmask_b32_e64 v3, v6, 0, vcc
	;; [unrolled: 2-line block ×4, first 2 shown]
	v_cmp_class_f32_e64 vcc, v10, s2
	s_waitcnt lgkmcnt(0)
	s_cmp_eq_u64 s[0:1], 0
	v_cndmask_b32_e32 v7, 0, v10, vcc
	s_cbranch_scc1 .LBB122_23
; %bb.4:
	v_lshlrev_b32_e32 v16, 2, v26
	global_load_dwordx4 v[8:11], v16, s[0:1]
	global_load_dwordx4 v[12:15], v16, s[0:1] offset:16
	s_waitcnt vmcnt(1)
	v_pk_add_f32 v[8:9], v[8:9], v[0:1]
	v_pk_add_f32 v[10:11], v[10:11], v[2:3]
	s_waitcnt vmcnt(0)
	v_pk_add_f32 v[12:13], v[12:13], v[4:5]
	v_pk_add_f32 v[14:15], v[14:15], v[6:7]
	s_cbranch_execnz .LBB122_6
.LBB122_5:
	v_pk_mov_b32 v[14:15], v[6:7], v[6:7] op_sel:[0,1]
	v_pk_mov_b32 v[12:13], v[4:5], v[4:5] op_sel:[0,1]
	;; [unrolled: 1-line block ×4, first 2 shown]
.LBB122_6:
	s_load_dwordx4 s[8:11], s[4:5], 0x30
	s_mov_b32 s25, 0
	v_cmp_eq_u32_e64 s[0:1], 0, v21
	s_waitcnt lgkmcnt(0)
	s_bitcmp1_b32 s11, 0
	s_cselect_b64 vcc, -1, 0
	s_cmp_gt_i32 s8, 0
	s_cselect_b64 s[20:21], -1, 0
	s_cmp_lt_i32 s8, 1
	s_cbranch_scc1 .LBB122_24
; %bb.7:
	s_load_dwordx4 s[12:15], s[4:5], 0x20
	v_mul_lo_u32 v28, v17, s8
	v_mov_b32_e32 v27, 0
	v_mov_b32_e32 v29, 0x80
	;; [unrolled: 1-line block ×4, first 2 shown]
	s_branch .LBB122_10
.LBB122_8:                              ;   in Loop: Header=BB122_10 Depth=1
	s_or_b64 exec, exec, s[4:5]
.LBB122_9:                              ;   in Loop: Header=BB122_10 Depth=1
	s_cmp_eq_u32 s8, s25
	v_add_u32_e32 v31, s24, v31
	s_cbranch_scc1 .LBB122_25
.LBB122_10:                             ; =>This Inner Loop Header: Depth=1
	v_cmp_gt_f32_e64 s[2:3], v9, v8
	v_cndmask_b32_e64 v16, v8, v9, s[2:3]
	v_cndmask_b32_e64 v18, v0, v1, s[2:3]
	s_waitcnt lgkmcnt(0)
	v_cndmask_b32_e64 v19, 0, 1, s[2:3]
	v_cmp_gt_f32_e64 s[2:3], v10, v16
	v_cndmask_b32_e64 v16, v16, v10, s[2:3]
	v_cndmask_b32_e64 v18, v18, v2, s[2:3]
	v_cndmask_b32_e64 v19, v19, 2, s[2:3]
	v_cmp_gt_f32_e64 s[2:3], v11, v16
	v_cndmask_b32_e64 v16, v16, v11, s[2:3]
	v_cndmask_b32_e64 v18, v18, v3, s[2:3]
	;; [unrolled: 4-line block ×6, first 2 shown]
	v_or_b32_e32 v19, v26, v19
	ds_bpermute_b32 v20, v22, v16
	ds_bpermute_b32 v32, v22, v19
	v_cndmask_b32_e64 v18, v18, v7, s[2:3]
	ds_bpermute_b32 v34, v22, v18
	s_waitcnt lgkmcnt(0)
	v_cmp_eq_f32_e64 s[4:5], v16, v20
	v_cmp_lt_i32_e64 s[6:7], v32, v19
	v_cmp_lt_f32_e64 s[2:3], v16, v20
	s_and_b64 s[4:5], s[4:5], s[6:7]
	s_or_b64 s[2:3], s[2:3], s[4:5]
	v_cndmask_b32_e64 v33, v19, v32, s[2:3]
	v_cndmask_b32_e64 v32, v16, v20, s[2:3]
	;; [unrolled: 1-line block ×3, first 2 shown]
	ds_bpermute_b32 v35, v23, v32
	ds_bpermute_b32 v20, v23, v16
	;; [unrolled: 1-line block ×3, first 2 shown]
                                        ; implicit-def: $vgpr18_vgpr19
	s_waitcnt lgkmcnt(2)
	v_cmp_lt_f32_e64 s[6:7], v32, v35
	v_cmp_nlt_f32_e64 s[2:3], v32, v35
	s_and_saveexec_b64 s[22:23], s[2:3]
	s_cbranch_execz .LBB122_12
; %bb.11:                               ;   in Loop: Header=BB122_10 Depth=1
	v_cmp_eq_f32_e64 s[2:3], v32, v35
	s_waitcnt lgkmcnt(0)
	v_cmp_lt_i32_e64 s[4:5], v34, v33
	s_and_b64 s[2:3], s[2:3], s[4:5]
	s_andn2_b64 s[4:5], s[6:7], exec
	s_and_b64 s[2:3], s[2:3], exec
	s_or_b64 s[6:7], s[4:5], s[2:3]
	v_pk_mov_b32 v[18:19], v[16:17], v[16:17] op_sel:[0,1]
.LBB122_12:                             ;   in Loop: Header=BB122_10 Depth=1
	s_or_b64 exec, exec, s[22:23]
	s_and_saveexec_b64 s[2:3], s[6:7]
	s_cbranch_execz .LBB122_14
; %bb.13:                               ;   in Loop: Header=BB122_10 Depth=1
	v_mov_b32_e32 v32, v35
	s_waitcnt lgkmcnt(1)
	v_mov_b32_e32 v16, v20
	s_waitcnt lgkmcnt(0)
	v_mov_b32_e32 v33, v34
	v_pk_mov_b32 v[18:19], v[20:21], v[20:21] op_sel:[0,1]
.LBB122_14:                             ;   in Loop: Header=BB122_10 Depth=1
	s_or_b64 exec, exec, s[2:3]
	s_waitcnt lgkmcnt(0)
	ds_bpermute_b32 v34, v24, v32
	ds_bpermute_b32 v20, v24, v16
	;; [unrolled: 1-line block ×3, first 2 shown]
	s_waitcnt lgkmcnt(2)
	v_cmp_lt_f32_e64 s[6:7], v32, v34
	v_cmp_nlt_f32_e64 s[2:3], v32, v34
	s_and_saveexec_b64 s[22:23], s[2:3]
	s_cbranch_execz .LBB122_16
; %bb.15:                               ;   in Loop: Header=BB122_10 Depth=1
	v_cmp_eq_f32_e64 s[2:3], v32, v34
	s_waitcnt lgkmcnt(0)
	v_cmp_lt_i32_e64 s[4:5], v19, v33
	s_and_b64 s[2:3], s[2:3], s[4:5]
	s_andn2_b64 s[4:5], s[6:7], exec
	s_and_b64 s[2:3], s[2:3], exec
	s_or_b64 s[6:7], s[4:5], s[2:3]
.LBB122_16:                             ;   in Loop: Header=BB122_10 Depth=1
	s_or_b64 exec, exec, s[22:23]
	s_and_saveexec_b64 s[2:3], s[6:7]
	s_cbranch_execz .LBB122_18
; %bb.17:                               ;   in Loop: Header=BB122_10 Depth=1
	v_mov_b32_e32 v32, v34
	s_waitcnt lgkmcnt(1)
	v_mov_b32_e32 v16, v20
	s_waitcnt lgkmcnt(0)
	v_mov_b32_e32 v33, v19
	v_pk_mov_b32 v[18:19], v[20:21], v[20:21] op_sel:[0,1]
.LBB122_18:                             ;   in Loop: Header=BB122_10 Depth=1
	s_or_b64 exec, exec, s[2:3]
	s_waitcnt lgkmcnt(1)
	ds_bpermute_b32 v20, v25, v32
	ds_bpermute_b32 v34, v25, v33
	s_waitcnt lgkmcnt(2)
	ds_bpermute_b32 v19, v25, v16
	s_waitcnt lgkmcnt(2)
	v_cmp_eq_f32_e64 s[4:5], v32, v20
	s_waitcnt lgkmcnt(1)
	v_cmp_lt_i32_e64 s[6:7], v34, v33
	v_cmp_lt_f32_e64 s[2:3], v32, v20
	s_and_b64 s[4:5], s[4:5], s[6:7]
	s_or_b64 s[2:3], s[2:3], s[4:5]
	v_cndmask_b32_e64 v16, v33, v34, s[2:3]
	s_and_saveexec_b64 s[6:7], s[0:1]
	s_cbranch_execnz .LBB122_20
; %bb.19:                               ;   in Loop: Header=BB122_10 Depth=1
	s_or_b64 exec, exec, s[6:7]
	s_add_i32 s25, s25, 1
	s_cmp_ge_i32 s25, s8
	s_cbranch_scc1 .LBB122_9
	s_branch .LBB122_21
.LBB122_20:                             ;   in Loop: Header=BB122_10 Depth=1
	s_waitcnt lgkmcnt(0)
	v_cndmask_b32_e64 v20, v18, v19, s[2:3]
	v_add_u32_e32 v18, s25, v28
	v_ashrrev_i32_e32 v19, 31, v18
	v_cmp_le_i32_e64 s[2:3], s9, v16
	v_cmp_gt_i32_e64 s[4:5], s10, v16
	v_lshlrev_b64 v[32:33], 2, v[18:19]
	s_and_b64 s[4:5], s[2:3], s[4:5]
	v_mov_b32_e32 v35, s17
	v_add_co_u32_e64 v34, s[2:3], s16, v32
	v_addc_co_u32_e64 v35, s[2:3], v35, v33, s[2:3]
	global_store_dword v[34:35], v20, off
	v_subrev_u32_e32 v34, s9, v16
	v_ashrrev_i32_e32 v35, 31, v34
	s_and_b64 s[2:3], s[18:19], s[4:5]
	v_lshlrev_b64 v[18:19], 3, v[18:19]
	v_cndmask_b32_e64 v35, 0, v35, s[2:3]
	v_cndmask_b32_e64 v34, v29, v34, s[2:3]
	v_mov_b32_e32 v36, s13
	v_add_co_u32_e64 v18, s[2:3], s12, v18
	v_addc_co_u32_e64 v19, s[2:3], v36, v19, s[2:3]
	global_store_dwordx2 v[18:19], v[34:35], off
	v_mov_b32_e32 v19, s15
	v_add_co_u32_e64 v18, s[2:3], s14, v32
	v_addc_co_u32_e64 v19, s[2:3], v19, v33, s[2:3]
	global_store_dword v[18:19], v31, off
	v_add_f32_e32 v18, v27, v20
	v_cndmask_b32_e32 v27, v27, v18, vcc
	s_or_b64 exec, exec, s[6:7]
	s_add_i32 s25, s25, 1
	s_cmp_ge_i32 s25, s8
	s_cbranch_scc1 .LBB122_9
.LBB122_21:                             ;   in Loop: Header=BB122_10 Depth=1
	s_waitcnt lgkmcnt(0)
	v_ashrrev_i32_e32 v19, 31, v16
	v_lshrrev_b32_e32 v18, 29, v19
	v_add_u32_e32 v18, v16, v18
	v_ashrrev_i32_e32 v18, 3, v18
	v_lshrrev_b32_e32 v20, 28, v18
	v_add_u32_e32 v20, v18, v20
	v_and_b32_e32 v20, -16, v20
	v_sub_u32_e32 v20, v18, v20
	v_cmp_eq_u32_e64 s[2:3], v21, v20
	s_and_saveexec_b64 s[4:5], s[2:3]
	s_cbranch_execz .LBB122_8
; %bb.22:                               ;   in Loop: Header=BB122_10 Depth=1
	v_lshrrev_b32_e32 v19, 25, v19
	v_add_u32_e32 v19, v16, v19
	v_lshlrev_b32_e32 v18, 3, v18
	v_ashrrev_i32_e32 v19, 7, v19
	v_sub_u32_e32 v16, v16, v18
	v_lshl_add_u32 v16, v19, 3, v16
	v_cmp_ne_u32_e64 s[2:3], 7, v16
	v_cndmask_b32_e64 v15, v30, v15, s[2:3]
	v_cmp_ne_u32_e64 s[2:3], 6, v16
	v_cndmask_b32_e64 v14, v30, v14, s[2:3]
	;; [unrolled: 2-line block ×8, first 2 shown]
	s_branch .LBB122_8
.LBB122_23:
                                        ; implicit-def: $vgpr8_vgpr9_vgpr10_vgpr11_vgpr12_vgpr13_vgpr14_vgpr15
	s_andn2_b64 vcc, exec, s[6:7]
	s_cbranch_vccz .LBB122_5
	s_branch .LBB122_6
.LBB122_24:
	v_mov_b32_e32 v27, 0
.LBB122_25:
	v_cmp_eq_u32_e64 s[0:1], 0, v21
	s_and_b64 s[0:1], s[0:1], vcc
	s_and_b64 exec, exec, s[0:1]
	s_cbranch_execz .LBB122_34
; %bb.26:
	s_andn2_b64 vcc, exec, s[20:21]
	s_cbranch_vccnz .LBB122_34
; %bb.27:
	v_cmp_lt_f32_e32 vcc, 0, v27
	s_mov_b32 s2, 0
	v_cndmask_b32_e32 v0, 1.0, v27, vcc
	v_mul_lo_u32 v4, v17, s8
	s_cmp_eq_u32 s8, 1
	s_mov_b64 s[0:1], -1
	s_cbranch_scc1 .LBB122_31
; %bb.28:
	s_and_b32 s2, s8, 0x7ffffffe
	v_mov_b32_e32 v1, v0
	v_mov_b32_e32 v5, s17
	s_mov_b32 s3, s2
	v_mov_b32_e32 v2, v4
.LBB122_29:                             ; =>This Inner Loop Header: Depth=1
	v_ashrrev_i32_e32 v3, 31, v2
	v_lshlrev_b64 v[6:7], 2, v[2:3]
	v_add_co_u32_e32 v6, vcc, s16, v6
	v_addc_co_u32_e32 v7, vcc, v5, v7, vcc
	global_load_dwordx2 v[8:9], v[6:7], off
	s_add_i32 s3, s3, -2
	s_cmp_lg_u32 s3, 0
	v_add_u32_e32 v2, 2, v2
	s_waitcnt vmcnt(0)
	v_div_scale_f32 v3, s[0:1], v1, v1, v9
	v_div_scale_f32 v11, s[0:1], v0, v0, v8
	v_rcp_f32_e32 v12, v3
	v_rcp_f32_e32 v13, v11
	v_div_scale_f32 v10, vcc, v9, v1, v9
	v_fma_f32 v15, -v3, v12, 1.0
	v_fma_f32 v16, -v11, v13, 1.0
	v_fmac_f32_e32 v12, v15, v12
	v_div_scale_f32 v14, s[0:1], v8, v0, v8
	v_fmac_f32_e32 v13, v16, v13
	v_mul_f32_e32 v15, v10, v12
	v_mul_f32_e32 v16, v14, v13
	v_fma_f32 v17, -v3, v15, v10
	v_fma_f32 v18, -v11, v16, v14
	v_fmac_f32_e32 v15, v17, v12
	v_fmac_f32_e32 v16, v18, v13
	v_fma_f32 v3, -v3, v15, v10
	v_fma_f32 v10, -v11, v16, v14
	v_div_fmas_f32 v3, v3, v12, v15
	s_mov_b64 vcc, s[0:1]
	v_div_fixup_f32 v9, v3, v1, v9
	v_div_fmas_f32 v3, v10, v13, v16
	v_div_fixup_f32 v8, v3, v0, v8
	global_store_dwordx2 v[6:7], v[8:9], off
	s_cbranch_scc1 .LBB122_29
; %bb.30:
	s_cmp_lg_u32 s2, s8
	s_cselect_b64 s[0:1], -1, 0
.LBB122_31:
	s_and_b64 vcc, exec, s[0:1]
	s_cbranch_vccz .LBB122_34
; %bb.32:
	v_ashrrev_i32_e32 v1, 31, v4
	v_add_co_u32_e32 v2, vcc, s2, v4
	v_addc_co_u32_e32 v3, vcc, 0, v1, vcc
	v_lshlrev_b64 v[2:3], 2, v[2:3]
	v_mov_b32_e32 v1, s17
	v_add_co_u32_e32 v2, vcc, s16, v2
	s_sub_i32 s0, s8, s2
	v_addc_co_u32_e32 v3, vcc, v1, v3, vcc
.LBB122_33:                             ; =>This Inner Loop Header: Depth=1
	global_load_dword v1, v[2:3], off
	s_add_i32 s0, s0, -1
	s_cmp_lg_u32 s0, 0
	s_waitcnt vmcnt(0)
	v_div_scale_f32 v4, s[2:3], v0, v0, v1
	v_rcp_f32_e32 v5, v4
	v_div_scale_f32 v6, vcc, v1, v0, v1
	v_fma_f32 v7, -v4, v5, 1.0
	v_fmac_f32_e32 v5, v7, v5
	v_mul_f32_e32 v7, v6, v5
	v_fma_f32 v8, -v4, v7, v6
	v_fmac_f32_e32 v7, v8, v5
	v_fma_f32 v4, -v4, v7, v6
	v_div_fmas_f32 v4, v4, v5, v7
	v_div_fixup_f32 v1, v4, v0, v1
	global_store_dword v[2:3], v1, off
	v_add_co_u32_e32 v2, vcc, 4, v2
	v_addc_co_u32_e32 v3, vcc, 0, v3, vcc
	s_cbranch_scc1 .LBB122_33
.LBB122_34:
	s_endpgm
	.section	.rodata,"a",@progbits
	.p2align	6, 0x0
	.amdhsa_kernel _ZN4vllm3moe10topkGatingILi8ELi128ELi4ELi16ELi32El6__halfLNS0_11ScoringFuncE0EEEvPKT5_PKbPfiPT4_PiiiibPKf
		.amdhsa_group_segment_fixed_size 0
		.amdhsa_private_segment_fixed_size 0
		.amdhsa_kernarg_size 72
		.amdhsa_user_sgpr_count 6
		.amdhsa_user_sgpr_private_segment_buffer 1
		.amdhsa_user_sgpr_dispatch_ptr 0
		.amdhsa_user_sgpr_queue_ptr 0
		.amdhsa_user_sgpr_kernarg_segment_ptr 1
		.amdhsa_user_sgpr_dispatch_id 0
		.amdhsa_user_sgpr_flat_scratch_init 0
		.amdhsa_user_sgpr_kernarg_preload_length 0
		.amdhsa_user_sgpr_kernarg_preload_offset 0
		.amdhsa_user_sgpr_private_segment_size 0
		.amdhsa_uses_dynamic_stack 0
		.amdhsa_system_sgpr_private_segment_wavefront_offset 0
		.amdhsa_system_sgpr_workgroup_id_x 1
		.amdhsa_system_sgpr_workgroup_id_y 0
		.amdhsa_system_sgpr_workgroup_id_z 0
		.amdhsa_system_sgpr_workgroup_info 0
		.amdhsa_system_vgpr_workitem_id 1
		.amdhsa_next_free_vgpr 37
		.amdhsa_next_free_sgpr 26
		.amdhsa_accum_offset 40
		.amdhsa_reserve_vcc 1
		.amdhsa_reserve_flat_scratch 0
		.amdhsa_float_round_mode_32 0
		.amdhsa_float_round_mode_16_64 0
		.amdhsa_float_denorm_mode_32 3
		.amdhsa_float_denorm_mode_16_64 3
		.amdhsa_dx10_clamp 1
		.amdhsa_ieee_mode 1
		.amdhsa_fp16_overflow 0
		.amdhsa_tg_split 0
		.amdhsa_exception_fp_ieee_invalid_op 0
		.amdhsa_exception_fp_denorm_src 0
		.amdhsa_exception_fp_ieee_div_zero 0
		.amdhsa_exception_fp_ieee_overflow 0
		.amdhsa_exception_fp_ieee_underflow 0
		.amdhsa_exception_fp_ieee_inexact 0
		.amdhsa_exception_int_div_zero 0
	.end_amdhsa_kernel
	.section	.text._ZN4vllm3moe10topkGatingILi8ELi128ELi4ELi16ELi32El6__halfLNS0_11ScoringFuncE0EEEvPKT5_PKbPfiPT4_PiiiibPKf,"axG",@progbits,_ZN4vllm3moe10topkGatingILi8ELi128ELi4ELi16ELi32El6__halfLNS0_11ScoringFuncE0EEEvPKT5_PKbPfiPT4_PiiiibPKf,comdat
.Lfunc_end122:
	.size	_ZN4vllm3moe10topkGatingILi8ELi128ELi4ELi16ELi32El6__halfLNS0_11ScoringFuncE0EEEvPKT5_PKbPfiPT4_PiiiibPKf, .Lfunc_end122-_ZN4vllm3moe10topkGatingILi8ELi128ELi4ELi16ELi32El6__halfLNS0_11ScoringFuncE0EEEvPKT5_PKbPfiPT4_PiiiibPKf
                                        ; -- End function
	.section	.AMDGPU.csdata,"",@progbits
; Kernel info:
; codeLenInByte = 3160
; NumSgprs: 30
; NumVgprs: 37
; NumAgprs: 0
; TotalNumVgprs: 37
; ScratchSize: 0
; MemoryBound: 0
; FloatMode: 240
; IeeeMode: 1
; LDSByteSize: 0 bytes/workgroup (compile time only)
; SGPRBlocks: 3
; VGPRBlocks: 4
; NumSGPRsForWavesPerEU: 30
; NumVGPRsForWavesPerEU: 37
; AccumOffset: 40
; Occupancy: 8
; WaveLimiterHint : 0
; COMPUTE_PGM_RSRC2:SCRATCH_EN: 0
; COMPUTE_PGM_RSRC2:USER_SGPR: 6
; COMPUTE_PGM_RSRC2:TRAP_HANDLER: 0
; COMPUTE_PGM_RSRC2:TGID_X_EN: 1
; COMPUTE_PGM_RSRC2:TGID_Y_EN: 0
; COMPUTE_PGM_RSRC2:TGID_Z_EN: 0
; COMPUTE_PGM_RSRC2:TIDIG_COMP_CNT: 1
; COMPUTE_PGM_RSRC3_GFX90A:ACCUM_OFFSET: 9
; COMPUTE_PGM_RSRC3_GFX90A:TG_SPLIT: 0
	.section	.text._ZN4vllm3moe10topkGatingILi8ELi256ELi4ELi16ELi64El6__halfLNS0_11ScoringFuncE0EEEvPKT5_PKbPfiPT4_PiiiibPKf,"axG",@progbits,_ZN4vllm3moe10topkGatingILi8ELi256ELi4ELi16ELi64El6__halfLNS0_11ScoringFuncE0EEEvPKT5_PKbPfiPT4_PiiiibPKf,comdat
	.protected	_ZN4vllm3moe10topkGatingILi8ELi256ELi4ELi16ELi64El6__halfLNS0_11ScoringFuncE0EEEvPKT5_PKbPfiPT4_PiiiibPKf ; -- Begin function _ZN4vllm3moe10topkGatingILi8ELi256ELi4ELi16ELi64El6__halfLNS0_11ScoringFuncE0EEEvPKT5_PKbPfiPT4_PiiiibPKf
	.globl	_ZN4vllm3moe10topkGatingILi8ELi256ELi4ELi16ELi64El6__halfLNS0_11ScoringFuncE0EEEvPKT5_PKbPfiPT4_PiiiibPKf
	.p2align	8
	.type	_ZN4vllm3moe10topkGatingILi8ELi256ELi4ELi16ELi64El6__halfLNS0_11ScoringFuncE0EEEvPKT5_PKbPfiPT4_PiiiibPKf,@function
_ZN4vllm3moe10topkGatingILi8ELi256ELi4ELi16ELi64El6__halfLNS0_11ScoringFuncE0EEEvPKT5_PKbPfiPT4_PiiiibPKf: ; @_ZN4vllm3moe10topkGatingILi8ELi256ELi4ELi16ELi64El6__halfLNS0_11ScoringFuncE0EEEvPKT5_PKbPfiPT4_PiiiibPKf
; %bb.0:
	s_load_dword s24, s[4:5], 0x18
	v_bfe_u32 v1, v0, 10, 10
	v_and_b32_e32 v0, 0x3ff, v0
	s_lshl_b32 s0, s6, 3
	v_lshlrev_b32_e32 v1, 1, v1
	v_lshrrev_b32_e32 v2, 5, v0
	v_add3_u32 v17, s0, v1, v2
	s_waitcnt lgkmcnt(0)
	v_cmp_gt_i32_e32 vcc, s24, v17
	s_and_saveexec_b64 s[0:1], vcc
	s_cbranch_execz .LBB123_38
; %bb.1:
	s_load_dwordx4 s[0:3], s[4:5], 0x0
	s_load_dwordx2 s[16:17], s[4:5], 0x10
	s_mov_b64 s[6:7], -1
	s_mov_b64 s[18:19], -1
	s_waitcnt lgkmcnt(0)
	s_cmp_eq_u64 s[2:3], 0
	s_cbranch_scc1 .LBB123_3
; %bb.2:
	v_ashrrev_i32_e32 v1, 31, v17
	v_mov_b32_e32 v3, s3
	v_add_co_u32_e32 v2, vcc, s2, v17
	v_addc_co_u32_e32 v3, vcc, v3, v1, vcc
	global_load_ubyte v1, v[2:3], off
	s_waitcnt vmcnt(0)
	v_and_b32_e32 v1, 1, v1
	v_cmp_eq_u32_e32 vcc, 1, v1
	s_xor_b64 s[2:3], vcc, -1
	s_orn2_b64 s[18:19], s[2:3], exec
.LBB123_3:
	v_lshlrev_b32_e32 v2, 8, v17
	v_ashrrev_i32_e32 v3, 31, v2
	v_lshlrev_b64 v[2:3], 1, v[2:3]
	v_mov_b32_e32 v1, s1
	v_add_co_u32_e32 v2, vcc, s0, v2
	v_and_b32_e32 v21, 31, v0
	v_addc_co_u32_e32 v1, vcc, v1, v3, vcc
	v_lshlrev_b32_e32 v0, 4, v21
	v_add_co_u32_e32 v0, vcc, v2, v0
	v_addc_co_u32_e32 v1, vcc, 0, v1, vcc
	global_load_dwordx4 v[0:3], v[0:1], off
	v_mbcnt_lo_u32_b32 v4, -1, 0
	v_mbcnt_hi_u32_b32 v6, -1, v4
	v_and_b32_e32 v4, 0x60, v6
	v_xor_b32_e32 v5, 16, v6
	v_add_u32_e32 v7, 32, v4
	v_cmp_lt_i32_e32 vcc, v5, v7
	v_cndmask_b32_e32 v4, v6, v5, vcc
	v_lshlrev_b32_e32 v22, 2, v4
	v_xor_b32_e32 v12, 8, v6
	v_cmp_lt_i32_e32 vcc, v12, v7
	v_cndmask_b32_e32 v12, v6, v12, vcc
	v_lshlrev_b32_e32 v23, 2, v12
	v_xor_b32_e32 v12, 4, v6
	;; [unrolled: 4-line block ×4, first 2 shown]
	v_cmp_lt_i32_e32 vcc, v12, v7
	v_cndmask_b32_e32 v6, v6, v12, vcc
	v_lshlrev_b32_e32 v26, 2, v6
	s_mov_b32 s2, 0x3fb8aa3b
	s_mov_b32 s0, 0xc2ce8ed0
	;; [unrolled: 1-line block ×3, first 2 shown]
	v_mov_b32_e32 v6, 0x7f800000
	s_waitcnt vmcnt(0)
	v_cvt_f32_f16_e32 v8, v0
	v_cvt_f32_f16_sdwa v9, v0 dst_sel:DWORD dst_unused:UNUSED_PAD src0_sel:WORD_1
	v_cvt_f32_f16_e32 v10, v1
	v_cvt_f32_f16_sdwa v4, v1 dst_sel:DWORD dst_unused:UNUSED_PAD src0_sel:WORD_1
	;; [unrolled: 2-line block ×3, first 2 shown]
	v_cvt_f32_f16_sdwa v11, v3 dst_sel:DWORD dst_unused:UNUSED_PAD src0_sel:WORD_1
	v_cvt_f32_f16_e32 v1, v3
	v_max_f32_e32 v2, v8, v9
	v_max3_f32 v2, v2, v10, v4
	v_max3_f32 v2, v2, v5, v0
	;; [unrolled: 1-line block ×3, first 2 shown]
	ds_bpermute_b32 v3, v22, v2
	s_waitcnt lgkmcnt(0)
	v_max_f32_e32 v3, v3, v3
	v_max_f32_e32 v2, v2, v3
	ds_bpermute_b32 v3, v23, v2
	s_waitcnt lgkmcnt(0)
	v_max_f32_e32 v3, v3, v3
	v_max_f32_e32 v2, v2, v3
	;; [unrolled: 4-line block ×5, first 2 shown]
	v_sub_f32_e32 v3, v8, v2
	v_sub_f32_e32 v7, v9, v2
	v_mul_f32_e32 v9, 0x3fb8aa3b, v3
	v_sub_f32_e32 v8, v10, v2
	v_mul_f32_e32 v10, 0x3fb8aa3b, v7
	v_fma_f32 v16, v3, s2, -v9
	v_rndne_f32_e32 v18, v9
	v_pk_add_f32 v[4:5], v[4:5], v[2:3] op_sel_hi:[1,0] neg_lo:[0,1] neg_hi:[0,1]
	v_mul_f32_e32 v12, 0x3fb8aa3b, v8
	v_fma_f32 v19, v7, s2, -v10
	v_rndne_f32_e32 v20, v10
	v_fmac_f32_e32 v16, 0x32a5705f, v3
	v_sub_f32_e32 v9, v9, v18
	v_mul_f32_e32 v13, 0x3fb8aa3b, v5
	v_fma_f32 v27, v8, s2, -v12
	v_rndne_f32_e32 v28, v12
	v_fmac_f32_e32 v19, 0x32a5705f, v7
	v_sub_f32_e32 v10, v10, v20
	v_add_f32_e32 v9, v9, v16
	v_mul_f32_e32 v14, 0x3fb8aa3b, v4
	v_fma_f32 v29, v5, s2, -v13
	v_rndne_f32_e32 v30, v13
	v_cvt_i32_f32_e32 v18, v18
	v_fmac_f32_e32 v27, 0x32a5705f, v8
	v_sub_f32_e32 v12, v12, v28
	v_add_f32_e32 v10, v10, v19
	v_exp_f32_e32 v9, v9
	v_fma_f32 v31, v4, s2, -v14
	v_rndne_f32_e32 v32, v14
	v_cvt_i32_f32_e32 v20, v20
	v_fmac_f32_e32 v29, 0x32a5705f, v5
	v_sub_f32_e32 v13, v13, v30
	v_add_f32_e32 v12, v12, v27
	v_exp_f32_e32 v10, v10
	v_cvt_i32_f32_e32 v28, v28
	v_fmac_f32_e32 v31, 0x32a5705f, v4
	v_sub_f32_e32 v14, v14, v32
	v_add_f32_e32 v13, v13, v29
	v_exp_f32_e32 v12, v12
	v_cvt_i32_f32_e32 v30, v30
	v_add_f32_e32 v14, v14, v31
	v_exp_f32_e32 v13, v13
	v_cvt_i32_f32_e32 v32, v32
	v_exp_f32_e32 v14, v14
	v_ldexp_f32 v9, v9, v18
	v_cmp_ngt_f32_e32 vcc, s0, v3
	v_ldexp_f32 v10, v10, v20
	v_cndmask_b32_e32 v9, 0, v9, vcc
	v_cmp_ngt_f32_e32 vcc, s0, v7
	v_ldexp_f32 v12, v12, v28
	v_cndmask_b32_e32 v10, 0, v10, vcc
	;; [unrolled: 3-line block ×4, first 2 shown]
	v_cmp_ngt_f32_e32 vcc, s0, v4
	v_pk_add_f32 v[0:1], v[0:1], v[2:3] op_sel_hi:[1,0] neg_lo:[0,1] neg_hi:[0,1]
	v_cndmask_b32_e32 v14, 0, v14, vcc
	v_cmp_nlt_f32_e32 vcc, s1, v3
	v_mul_f32_e32 v15, 0x3fb8aa3b, v1
	v_cndmask_b32_e32 v3, v6, v9, vcc
	v_cmp_nlt_f32_e32 vcc, s1, v7
	v_fma_f32 v33, v1, s2, -v15
	v_cndmask_b32_e32 v7, v6, v10, vcc
	v_cmp_nlt_f32_e32 vcc, s1, v8
	v_rndne_f32_e32 v10, v15
	v_cndmask_b32_e32 v8, v6, v12, vcc
	v_fmac_f32_e32 v33, 0x32a5705f, v1
	v_sub_f32_e32 v12, v15, v10
	v_add_f32_e32 v12, v12, v33
	v_exp_f32_e32 v12, v12
	v_cvt_i32_f32_e32 v10, v10
	v_cmp_nlt_f32_e32 vcc, s1, v5
	v_cndmask_b32_e32 v5, v6, v13, vcc
	v_cmp_nlt_f32_e32 vcc, s1, v4
	v_ldexp_f32 v10, v12, v10
	v_mul_f32_e32 v12, 0x3fb8aa3b, v0
	v_cndmask_b32_e32 v4, v6, v14, vcc
	v_fma_f32 v13, v0, s2, -v12
	v_rndne_f32_e32 v14, v12
	v_fmac_f32_e32 v13, 0x32a5705f, v0
	v_sub_f32_e32 v12, v12, v14
	v_add_f32_e32 v12, v12, v13
	v_exp_f32_e32 v12, v12
	v_cvt_i32_f32_e32 v13, v14
	v_cmp_ngt_f32_e32 vcc, s0, v1
	v_sub_f32_e32 v2, v11, v2
	v_cndmask_b32_e32 v10, 0, v10, vcc
	v_cmp_nlt_f32_e32 vcc, s1, v1
	v_mul_f32_e32 v11, 0x3fb8aa3b, v2
	v_cndmask_b32_e32 v1, v6, v10, vcc
	v_ldexp_f32 v10, v12, v13
	v_fma_f32 v12, v2, s2, -v11
	v_rndne_f32_e32 v13, v11
	v_fmac_f32_e32 v12, 0x32a5705f, v2
	v_sub_f32_e32 v11, v11, v13
	v_add_f32_e32 v11, v11, v12
	v_exp_f32_e32 v11, v11
	v_cvt_i32_f32_e32 v12, v13
	v_add_f32_e32 v9, v3, v7
	v_add_f32_e32 v9, v9, v8
	v_cmp_ngt_f32_e32 vcc, s0, v0
	v_add_f32_e32 v9, v9, v4
	v_cndmask_b32_e32 v10, 0, v10, vcc
	v_cmp_nlt_f32_e32 vcc, s1, v0
	v_add_f32_e32 v9, v9, v5
	v_cndmask_b32_e32 v0, v6, v10, vcc
	v_ldexp_f32 v10, v11, v12
	v_cmp_ngt_f32_e32 vcc, s0, v2
	v_add_f32_e32 v9, v9, v0
	v_cndmask_b32_e32 v10, 0, v10, vcc
	v_cmp_nlt_f32_e32 vcc, s1, v2
	v_add_f32_e32 v9, v9, v1
	v_cndmask_b32_e32 v10, v6, v10, vcc
	v_add_f32_e32 v2, v9, v10
	ds_bpermute_b32 v6, v22, v2
	s_movk_i32 s2, 0x1f8
	v_lshlrev_b32_e32 v27, 3, v21
	s_waitcnt lgkmcnt(0)
	v_add_f32_e32 v2, v2, v6
	ds_bpermute_b32 v6, v23, v2
	s_waitcnt lgkmcnt(0)
	v_add_f32_e32 v2, v2, v6
	ds_bpermute_b32 v6, v24, v2
	;; [unrolled: 3-line block ×4, first 2 shown]
	s_waitcnt lgkmcnt(0)
	v_add_f32_e32 v2, v2, v6
	v_div_scale_f32 v6, s[0:1], v2, v2, 1.0
	v_rcp_f32_e32 v9, v6
	s_load_dwordx2 s[0:1], s[4:5], 0x40
	v_fma_f32 v11, -v6, v9, 1.0
	v_fmac_f32_e32 v9, v11, v9
	v_div_scale_f32 v11, vcc, 1.0, v2, 1.0
	v_mul_f32_e32 v12, v11, v9
	v_fma_f32 v13, -v6, v12, v11
	v_fmac_f32_e32 v12, v13, v9
	v_fma_f32 v6, -v6, v12, v11
	v_div_fmas_f32 v6, v6, v9, v12
	v_div_fixup_f32 v2, v6, v2, 1.0
	v_mul_f32_e32 v3, v2, v3
	v_mul_f32_e32 v11, v2, v7
	v_cmp_class_f32_e64 vcc, v3, s2
	v_mul_f32_e32 v12, v2, v8
	v_pk_mul_f32 v[8:9], v[2:3], v[0:1] op_sel_hi:[0,1]
	v_cndmask_b32_e32 v0, 0, v3, vcc
	v_cmp_class_f32_e64 vcc, v11, s2
	v_pk_mul_f32 v[6:7], v[2:3], v[4:5] op_sel_hi:[0,1]
	v_cndmask_b32_e32 v1, 0, v11, vcc
	v_cmp_class_f32_e64 vcc, v12, s2
	v_mov_b32_e32 v5, 0x207
	v_mul_f32_e32 v10, v2, v10
	v_cndmask_b32_e32 v2, 0, v12, vcc
	v_cmp_class_f32_e32 vcc, v7, v5
	v_cndmask_b32_e64 v4, v7, 0, vcc
	v_cmp_class_f32_e32 vcc, v6, v5
	v_cndmask_b32_e64 v3, v6, 0, vcc
	;; [unrolled: 2-line block ×4, first 2 shown]
	v_cmp_class_f32_e64 vcc, v10, s2
	s_waitcnt lgkmcnt(0)
	s_cmp_eq_u64 s[0:1], 0
	v_cndmask_b32_e32 v7, 0, v10, vcc
	s_cbranch_scc1 .LBB123_27
; %bb.4:
	v_lshlrev_b32_e32 v16, 2, v27
	global_load_dwordx4 v[8:11], v16, s[0:1]
	global_load_dwordx4 v[12:15], v16, s[0:1] offset:16
	s_waitcnt vmcnt(1)
	v_pk_add_f32 v[8:9], v[8:9], v[0:1]
	v_pk_add_f32 v[10:11], v[10:11], v[2:3]
	s_waitcnt vmcnt(0)
	v_pk_add_f32 v[12:13], v[12:13], v[4:5]
	v_pk_add_f32 v[14:15], v[14:15], v[6:7]
	s_cbranch_execnz .LBB123_6
.LBB123_5:
	v_pk_mov_b32 v[14:15], v[6:7], v[6:7] op_sel:[0,1]
	v_pk_mov_b32 v[12:13], v[4:5], v[4:5] op_sel:[0,1]
	;; [unrolled: 1-line block ×4, first 2 shown]
.LBB123_6:
	s_load_dwordx4 s[8:11], s[4:5], 0x30
	s_mov_b32 s25, 0
	v_cmp_eq_u32_e64 s[0:1], 0, v21
	s_waitcnt lgkmcnt(0)
	s_bitcmp1_b32 s11, 0
	s_cselect_b64 vcc, -1, 0
	s_cmp_gt_i32 s8, 0
	s_cselect_b64 s[20:21], -1, 0
	s_cmp_lt_i32 s8, 1
	s_cbranch_scc1 .LBB123_28
; %bb.7:
	s_load_dwordx4 s[12:15], s[4:5], 0x20
	v_mul_lo_u32 v29, v17, s8
	v_mov_b32_e32 v28, 0
	v_mov_b32_e32 v30, 0x100
	v_mov_b32_e32 v31, 0xc61c4000
	v_mov_b32_e32 v32, v17
	s_branch .LBB123_10
.LBB123_8:                              ;   in Loop: Header=BB123_10 Depth=1
	s_or_b64 exec, exec, s[4:5]
.LBB123_9:                              ;   in Loop: Header=BB123_10 Depth=1
	s_cmp_eq_u32 s8, s25
	v_add_u32_e32 v32, s24, v32
	s_cbranch_scc1 .LBB123_29
.LBB123_10:                             ; =>This Inner Loop Header: Depth=1
	v_cmp_gt_f32_e64 s[2:3], v9, v8
	v_cndmask_b32_e64 v16, v8, v9, s[2:3]
	v_cndmask_b32_e64 v18, v0, v1, s[2:3]
	s_waitcnt lgkmcnt(0)
	v_cndmask_b32_e64 v19, 0, 1, s[2:3]
	v_cmp_gt_f32_e64 s[2:3], v10, v16
	v_cndmask_b32_e64 v16, v16, v10, s[2:3]
	v_cndmask_b32_e64 v18, v18, v2, s[2:3]
	v_cndmask_b32_e64 v19, v19, 2, s[2:3]
	v_cmp_gt_f32_e64 s[2:3], v11, v16
	v_cndmask_b32_e64 v16, v16, v11, s[2:3]
	v_cndmask_b32_e64 v18, v18, v3, s[2:3]
	;; [unrolled: 4-line block ×6, first 2 shown]
	v_or_b32_e32 v19, v27, v19
	ds_bpermute_b32 v20, v22, v16
	ds_bpermute_b32 v33, v22, v19
	v_cndmask_b32_e64 v18, v18, v7, s[2:3]
	ds_bpermute_b32 v35, v22, v18
	s_waitcnt lgkmcnt(0)
	v_cmp_eq_f32_e64 s[4:5], v16, v20
	v_cmp_lt_i32_e64 s[6:7], v33, v19
	v_cmp_lt_f32_e64 s[2:3], v16, v20
	s_and_b64 s[4:5], s[4:5], s[6:7]
	s_or_b64 s[2:3], s[2:3], s[4:5]
	v_cndmask_b32_e64 v34, v19, v33, s[2:3]
	v_cndmask_b32_e64 v33, v16, v20, s[2:3]
	;; [unrolled: 1-line block ×3, first 2 shown]
	ds_bpermute_b32 v36, v23, v33
	ds_bpermute_b32 v20, v23, v16
	;; [unrolled: 1-line block ×3, first 2 shown]
                                        ; implicit-def: $vgpr18_vgpr19
	s_waitcnt lgkmcnt(2)
	v_cmp_lt_f32_e64 s[6:7], v33, v36
	v_cmp_nlt_f32_e64 s[2:3], v33, v36
	s_and_saveexec_b64 s[22:23], s[2:3]
	s_cbranch_execz .LBB123_12
; %bb.11:                               ;   in Loop: Header=BB123_10 Depth=1
	v_cmp_eq_f32_e64 s[2:3], v33, v36
	s_waitcnt lgkmcnt(0)
	v_cmp_lt_i32_e64 s[4:5], v35, v34
	s_and_b64 s[2:3], s[2:3], s[4:5]
	s_andn2_b64 s[4:5], s[6:7], exec
	s_and_b64 s[2:3], s[2:3], exec
	s_or_b64 s[6:7], s[4:5], s[2:3]
	v_pk_mov_b32 v[18:19], v[16:17], v[16:17] op_sel:[0,1]
.LBB123_12:                             ;   in Loop: Header=BB123_10 Depth=1
	s_or_b64 exec, exec, s[22:23]
	s_and_saveexec_b64 s[2:3], s[6:7]
	s_cbranch_execz .LBB123_14
; %bb.13:                               ;   in Loop: Header=BB123_10 Depth=1
	v_mov_b32_e32 v33, v36
	s_waitcnt lgkmcnt(1)
	v_mov_b32_e32 v16, v20
	s_waitcnt lgkmcnt(0)
	v_mov_b32_e32 v34, v35
	v_pk_mov_b32 v[18:19], v[20:21], v[20:21] op_sel:[0,1]
.LBB123_14:                             ;   in Loop: Header=BB123_10 Depth=1
	s_or_b64 exec, exec, s[2:3]
	s_waitcnt lgkmcnt(0)
	ds_bpermute_b32 v35, v24, v33
	ds_bpermute_b32 v20, v24, v16
	;; [unrolled: 1-line block ×3, first 2 shown]
	s_waitcnt lgkmcnt(2)
	v_cmp_lt_f32_e64 s[6:7], v33, v35
	v_cmp_nlt_f32_e64 s[2:3], v33, v35
	s_and_saveexec_b64 s[22:23], s[2:3]
	s_cbranch_execz .LBB123_16
; %bb.15:                               ;   in Loop: Header=BB123_10 Depth=1
	v_cmp_eq_f32_e64 s[2:3], v33, v35
	s_waitcnt lgkmcnt(0)
	v_cmp_lt_i32_e64 s[4:5], v19, v34
	s_and_b64 s[2:3], s[2:3], s[4:5]
	s_andn2_b64 s[4:5], s[6:7], exec
	s_and_b64 s[2:3], s[2:3], exec
	s_or_b64 s[6:7], s[4:5], s[2:3]
.LBB123_16:                             ;   in Loop: Header=BB123_10 Depth=1
	s_or_b64 exec, exec, s[22:23]
	s_and_saveexec_b64 s[2:3], s[6:7]
	s_cbranch_execz .LBB123_18
; %bb.17:                               ;   in Loop: Header=BB123_10 Depth=1
	v_mov_b32_e32 v33, v35
	s_waitcnt lgkmcnt(1)
	v_mov_b32_e32 v16, v20
	s_waitcnt lgkmcnt(0)
	v_mov_b32_e32 v34, v19
	v_pk_mov_b32 v[18:19], v[20:21], v[20:21] op_sel:[0,1]
.LBB123_18:                             ;   in Loop: Header=BB123_10 Depth=1
	s_or_b64 exec, exec, s[2:3]
	ds_bpermute_b32 v35, v25, v33
	s_waitcnt lgkmcnt(2)
	ds_bpermute_b32 v20, v25, v16
	s_waitcnt lgkmcnt(2)
	;; [unrolled: 2-line block ×3, first 2 shown]
	v_cmp_lt_f32_e64 s[6:7], v33, v35
	v_cmp_nlt_f32_e64 s[2:3], v33, v35
	s_and_saveexec_b64 s[22:23], s[2:3]
	s_cbranch_execz .LBB123_20
; %bb.19:                               ;   in Loop: Header=BB123_10 Depth=1
	v_cmp_eq_f32_e64 s[2:3], v33, v35
	s_waitcnt lgkmcnt(0)
	v_cmp_lt_i32_e64 s[4:5], v19, v34
	s_and_b64 s[2:3], s[2:3], s[4:5]
	s_andn2_b64 s[4:5], s[6:7], exec
	s_and_b64 s[2:3], s[2:3], exec
	s_or_b64 s[6:7], s[4:5], s[2:3]
.LBB123_20:                             ;   in Loop: Header=BB123_10 Depth=1
	s_or_b64 exec, exec, s[22:23]
	s_and_saveexec_b64 s[2:3], s[6:7]
	s_cbranch_execz .LBB123_22
; %bb.21:                               ;   in Loop: Header=BB123_10 Depth=1
	v_mov_b32_e32 v33, v35
	s_waitcnt lgkmcnt(1)
	v_mov_b32_e32 v16, v20
	s_waitcnt lgkmcnt(0)
	v_mov_b32_e32 v34, v19
	v_pk_mov_b32 v[18:19], v[20:21], v[20:21] op_sel:[0,1]
.LBB123_22:                             ;   in Loop: Header=BB123_10 Depth=1
	s_or_b64 exec, exec, s[2:3]
	s_waitcnt lgkmcnt(1)
	ds_bpermute_b32 v20, v26, v33
	ds_bpermute_b32 v35, v26, v34
	s_waitcnt lgkmcnt(2)
	ds_bpermute_b32 v19, v26, v16
	s_waitcnt lgkmcnt(2)
	v_cmp_eq_f32_e64 s[4:5], v33, v20
	s_waitcnt lgkmcnt(1)
	v_cmp_lt_i32_e64 s[6:7], v35, v34
	v_cmp_lt_f32_e64 s[2:3], v33, v20
	s_and_b64 s[4:5], s[4:5], s[6:7]
	s_or_b64 s[2:3], s[2:3], s[4:5]
	v_cndmask_b32_e64 v16, v34, v35, s[2:3]
	s_and_saveexec_b64 s[6:7], s[0:1]
	s_cbranch_execnz .LBB123_24
; %bb.23:                               ;   in Loop: Header=BB123_10 Depth=1
	s_or_b64 exec, exec, s[6:7]
	s_add_i32 s25, s25, 1
	s_cmp_ge_i32 s25, s8
	s_cbranch_scc1 .LBB123_9
	s_branch .LBB123_25
.LBB123_24:                             ;   in Loop: Header=BB123_10 Depth=1
	s_waitcnt lgkmcnt(0)
	v_cndmask_b32_e64 v20, v18, v19, s[2:3]
	v_add_u32_e32 v18, s25, v29
	v_ashrrev_i32_e32 v19, 31, v18
	v_cmp_le_i32_e64 s[2:3], s9, v16
	v_cmp_gt_i32_e64 s[4:5], s10, v16
	v_lshlrev_b64 v[34:35], 2, v[18:19]
	s_and_b64 s[4:5], s[2:3], s[4:5]
	v_mov_b32_e32 v33, s17
	v_add_co_u32_e64 v36, s[2:3], s16, v34
	v_addc_co_u32_e64 v37, s[2:3], v33, v35, s[2:3]
	v_subrev_u32_e32 v33, s9, v16
	global_store_dword v[36:37], v20, off
	v_ashrrev_i32_e32 v36, 31, v33
	s_and_b64 s[2:3], s[18:19], s[4:5]
	v_lshlrev_b64 v[18:19], 3, v[18:19]
	v_cndmask_b32_e64 v37, 0, v36, s[2:3]
	v_cndmask_b32_e64 v36, v30, v33, s[2:3]
	v_mov_b32_e32 v33, s13
	v_add_co_u32_e64 v18, s[2:3], s12, v18
	v_addc_co_u32_e64 v19, s[2:3], v33, v19, s[2:3]
	global_store_dwordx2 v[18:19], v[36:37], off
	v_mov_b32_e32 v19, s15
	v_add_co_u32_e64 v18, s[2:3], s14, v34
	v_addc_co_u32_e64 v19, s[2:3], v19, v35, s[2:3]
	global_store_dword v[18:19], v32, off
	v_add_f32_e32 v18, v28, v20
	v_cndmask_b32_e32 v28, v28, v18, vcc
	s_or_b64 exec, exec, s[6:7]
	s_add_i32 s25, s25, 1
	s_cmp_ge_i32 s25, s8
	s_cbranch_scc1 .LBB123_9
.LBB123_25:                             ;   in Loop: Header=BB123_10 Depth=1
	v_ashrrev_i32_e32 v18, 31, v16
	s_waitcnt lgkmcnt(0)
	v_lshrrev_b32_e32 v19, 29, v18
	v_add_u32_e32 v20, v16, v19
	v_ashrrev_i32_e32 v19, 3, v20
	v_ashrrev_i32_e32 v20, 31, v20
	v_lshrrev_b32_e32 v20, 27, v20
	v_add_u32_e32 v20, v19, v20
	v_and_b32_e32 v20, 0xffffffe0, v20
	v_sub_u32_e32 v20, v19, v20
	v_cmp_eq_u32_e64 s[2:3], v21, v20
	s_and_saveexec_b64 s[4:5], s[2:3]
	s_cbranch_execz .LBB123_8
; %bb.26:                               ;   in Loop: Header=BB123_10 Depth=1
	v_add_u32_sdwa v18, v16, v18 dst_sel:DWORD dst_unused:UNUSED_PAD src0_sel:DWORD src1_sel:BYTE_3
	v_lshlrev_b32_e32 v19, 3, v19
	v_ashrrev_i32_e32 v18, 8, v18
	v_sub_u32_e32 v16, v16, v19
	v_lshl_add_u32 v16, v18, 3, v16
	v_cmp_ne_u32_e64 s[2:3], 7, v16
	v_cndmask_b32_e64 v15, v31, v15, s[2:3]
	v_cmp_ne_u32_e64 s[2:3], 6, v16
	v_cndmask_b32_e64 v14, v31, v14, s[2:3]
	;; [unrolled: 2-line block ×8, first 2 shown]
	s_branch .LBB123_8
.LBB123_27:
                                        ; implicit-def: $vgpr8_vgpr9_vgpr10_vgpr11_vgpr12_vgpr13_vgpr14_vgpr15
	s_andn2_b64 vcc, exec, s[6:7]
	s_cbranch_vccz .LBB123_5
	s_branch .LBB123_6
.LBB123_28:
	v_mov_b32_e32 v28, 0
.LBB123_29:
	v_cmp_eq_u32_e64 s[0:1], 0, v21
	s_and_b64 s[0:1], s[0:1], vcc
	s_and_b64 exec, exec, s[0:1]
	s_cbranch_execz .LBB123_38
; %bb.30:
	s_andn2_b64 vcc, exec, s[20:21]
	s_cbranch_vccnz .LBB123_38
; %bb.31:
	v_cmp_lt_f32_e32 vcc, 0, v28
	s_mov_b32 s2, 0
	v_cndmask_b32_e32 v0, 1.0, v28, vcc
	v_mul_lo_u32 v4, v17, s8
	s_cmp_eq_u32 s8, 1
	s_mov_b64 s[0:1], -1
	s_cbranch_scc1 .LBB123_35
; %bb.32:
	s_and_b32 s2, s8, 0x7ffffffe
	v_mov_b32_e32 v1, v0
	v_mov_b32_e32 v5, s17
	s_mov_b32 s3, s2
	v_mov_b32_e32 v2, v4
.LBB123_33:                             ; =>This Inner Loop Header: Depth=1
	v_ashrrev_i32_e32 v3, 31, v2
	v_lshlrev_b64 v[6:7], 2, v[2:3]
	v_add_co_u32_e32 v6, vcc, s16, v6
	v_addc_co_u32_e32 v7, vcc, v5, v7, vcc
	global_load_dwordx2 v[8:9], v[6:7], off
	s_add_i32 s3, s3, -2
	s_cmp_lg_u32 s3, 0
	v_add_u32_e32 v2, 2, v2
	s_waitcnt vmcnt(0)
	v_div_scale_f32 v3, s[0:1], v1, v1, v9
	v_div_scale_f32 v11, s[0:1], v0, v0, v8
	v_rcp_f32_e32 v12, v3
	v_rcp_f32_e32 v13, v11
	v_div_scale_f32 v10, vcc, v9, v1, v9
	v_fma_f32 v15, -v3, v12, 1.0
	v_fma_f32 v16, -v11, v13, 1.0
	v_fmac_f32_e32 v12, v15, v12
	v_div_scale_f32 v14, s[0:1], v8, v0, v8
	v_fmac_f32_e32 v13, v16, v13
	v_mul_f32_e32 v15, v10, v12
	v_mul_f32_e32 v16, v14, v13
	v_fma_f32 v17, -v3, v15, v10
	v_fma_f32 v18, -v11, v16, v14
	v_fmac_f32_e32 v15, v17, v12
	v_fmac_f32_e32 v16, v18, v13
	v_fma_f32 v3, -v3, v15, v10
	v_fma_f32 v10, -v11, v16, v14
	v_div_fmas_f32 v3, v3, v12, v15
	s_mov_b64 vcc, s[0:1]
	v_div_fixup_f32 v9, v3, v1, v9
	v_div_fmas_f32 v3, v10, v13, v16
	v_div_fixup_f32 v8, v3, v0, v8
	global_store_dwordx2 v[6:7], v[8:9], off
	s_cbranch_scc1 .LBB123_33
; %bb.34:
	s_cmp_lg_u32 s2, s8
	s_cselect_b64 s[0:1], -1, 0
.LBB123_35:
	s_and_b64 vcc, exec, s[0:1]
	s_cbranch_vccz .LBB123_38
; %bb.36:
	v_ashrrev_i32_e32 v1, 31, v4
	v_add_co_u32_e32 v2, vcc, s2, v4
	v_addc_co_u32_e32 v3, vcc, 0, v1, vcc
	v_lshlrev_b64 v[2:3], 2, v[2:3]
	v_mov_b32_e32 v1, s17
	v_add_co_u32_e32 v2, vcc, s16, v2
	s_sub_i32 s0, s8, s2
	v_addc_co_u32_e32 v3, vcc, v1, v3, vcc
.LBB123_37:                             ; =>This Inner Loop Header: Depth=1
	global_load_dword v1, v[2:3], off
	s_add_i32 s0, s0, -1
	s_cmp_lg_u32 s0, 0
	s_waitcnt vmcnt(0)
	v_div_scale_f32 v4, s[2:3], v0, v0, v1
	v_rcp_f32_e32 v5, v4
	v_div_scale_f32 v6, vcc, v1, v0, v1
	v_fma_f32 v7, -v4, v5, 1.0
	v_fmac_f32_e32 v5, v7, v5
	v_mul_f32_e32 v7, v6, v5
	v_fma_f32 v8, -v4, v7, v6
	v_fmac_f32_e32 v7, v8, v5
	v_fma_f32 v4, -v4, v7, v6
	v_div_fmas_f32 v4, v4, v5, v7
	v_div_fixup_f32 v1, v4, v0, v1
	global_store_dword v[2:3], v1, off
	v_add_co_u32_e32 v2, vcc, 4, v2
	v_addc_co_u32_e32 v3, vcc, 0, v3, vcc
	s_cbranch_scc1 .LBB123_37
.LBB123_38:
	s_endpgm
	.section	.rodata,"a",@progbits
	.p2align	6, 0x0
	.amdhsa_kernel _ZN4vllm3moe10topkGatingILi8ELi256ELi4ELi16ELi64El6__halfLNS0_11ScoringFuncE0EEEvPKT5_PKbPfiPT4_PiiiibPKf
		.amdhsa_group_segment_fixed_size 0
		.amdhsa_private_segment_fixed_size 0
		.amdhsa_kernarg_size 72
		.amdhsa_user_sgpr_count 6
		.amdhsa_user_sgpr_private_segment_buffer 1
		.amdhsa_user_sgpr_dispatch_ptr 0
		.amdhsa_user_sgpr_queue_ptr 0
		.amdhsa_user_sgpr_kernarg_segment_ptr 1
		.amdhsa_user_sgpr_dispatch_id 0
		.amdhsa_user_sgpr_flat_scratch_init 0
		.amdhsa_user_sgpr_kernarg_preload_length 0
		.amdhsa_user_sgpr_kernarg_preload_offset 0
		.amdhsa_user_sgpr_private_segment_size 0
		.amdhsa_uses_dynamic_stack 0
		.amdhsa_system_sgpr_private_segment_wavefront_offset 0
		.amdhsa_system_sgpr_workgroup_id_x 1
		.amdhsa_system_sgpr_workgroup_id_y 0
		.amdhsa_system_sgpr_workgroup_id_z 0
		.amdhsa_system_sgpr_workgroup_info 0
		.amdhsa_system_vgpr_workitem_id 1
		.amdhsa_next_free_vgpr 38
		.amdhsa_next_free_sgpr 26
		.amdhsa_accum_offset 40
		.amdhsa_reserve_vcc 1
		.amdhsa_reserve_flat_scratch 0
		.amdhsa_float_round_mode_32 0
		.amdhsa_float_round_mode_16_64 0
		.amdhsa_float_denorm_mode_32 3
		.amdhsa_float_denorm_mode_16_64 3
		.amdhsa_dx10_clamp 1
		.amdhsa_ieee_mode 1
		.amdhsa_fp16_overflow 0
		.amdhsa_tg_split 0
		.amdhsa_exception_fp_ieee_invalid_op 0
		.amdhsa_exception_fp_denorm_src 0
		.amdhsa_exception_fp_ieee_div_zero 0
		.amdhsa_exception_fp_ieee_overflow 0
		.amdhsa_exception_fp_ieee_underflow 0
		.amdhsa_exception_fp_ieee_inexact 0
		.amdhsa_exception_int_div_zero 0
	.end_amdhsa_kernel
	.section	.text._ZN4vllm3moe10topkGatingILi8ELi256ELi4ELi16ELi64El6__halfLNS0_11ScoringFuncE0EEEvPKT5_PKbPfiPT4_PiiiibPKf,"axG",@progbits,_ZN4vllm3moe10topkGatingILi8ELi256ELi4ELi16ELi64El6__halfLNS0_11ScoringFuncE0EEEvPKT5_PKbPfiPT4_PiiiibPKf,comdat
.Lfunc_end123:
	.size	_ZN4vllm3moe10topkGatingILi8ELi256ELi4ELi16ELi64El6__halfLNS0_11ScoringFuncE0EEEvPKT5_PKbPfiPT4_PiiiibPKf, .Lfunc_end123-_ZN4vllm3moe10topkGatingILi8ELi256ELi4ELi16ELi64El6__halfLNS0_11ScoringFuncE0EEEvPKT5_PKbPfiPT4_PiiiibPKf
                                        ; -- End function
	.section	.AMDGPU.csdata,"",@progbits
; Kernel info:
; codeLenInByte = 3360
; NumSgprs: 30
; NumVgprs: 38
; NumAgprs: 0
; TotalNumVgprs: 38
; ScratchSize: 0
; MemoryBound: 0
; FloatMode: 240
; IeeeMode: 1
; LDSByteSize: 0 bytes/workgroup (compile time only)
; SGPRBlocks: 3
; VGPRBlocks: 4
; NumSGPRsForWavesPerEU: 30
; NumVGPRsForWavesPerEU: 38
; AccumOffset: 40
; Occupancy: 8
; WaveLimiterHint : 0
; COMPUTE_PGM_RSRC2:SCRATCH_EN: 0
; COMPUTE_PGM_RSRC2:USER_SGPR: 6
; COMPUTE_PGM_RSRC2:TRAP_HANDLER: 0
; COMPUTE_PGM_RSRC2:TGID_X_EN: 1
; COMPUTE_PGM_RSRC2:TGID_Y_EN: 0
; COMPUTE_PGM_RSRC2:TGID_Z_EN: 0
; COMPUTE_PGM_RSRC2:TIDIG_COMP_CNT: 1
; COMPUTE_PGM_RSRC3_GFX90A:ACCUM_OFFSET: 9
; COMPUTE_PGM_RSRC3_GFX90A:TG_SPLIT: 0
	.section	.text._ZN4vllm3moe10topkGatingILi8ELi256ELi4ELi16ELi32El6__halfLNS0_11ScoringFuncE0EEEvPKT5_PKbPfiPT4_PiiiibPKf,"axG",@progbits,_ZN4vllm3moe10topkGatingILi8ELi256ELi4ELi16ELi32El6__halfLNS0_11ScoringFuncE0EEEvPKT5_PKbPfiPT4_PiiiibPKf,comdat
	.protected	_ZN4vllm3moe10topkGatingILi8ELi256ELi4ELi16ELi32El6__halfLNS0_11ScoringFuncE0EEEvPKT5_PKbPfiPT4_PiiiibPKf ; -- Begin function _ZN4vllm3moe10topkGatingILi8ELi256ELi4ELi16ELi32El6__halfLNS0_11ScoringFuncE0EEEvPKT5_PKbPfiPT4_PiiiibPKf
	.globl	_ZN4vllm3moe10topkGatingILi8ELi256ELi4ELi16ELi32El6__halfLNS0_11ScoringFuncE0EEEvPKT5_PKbPfiPT4_PiiiibPKf
	.p2align	8
	.type	_ZN4vllm3moe10topkGatingILi8ELi256ELi4ELi16ELi32El6__halfLNS0_11ScoringFuncE0EEEvPKT5_PKbPfiPT4_PiiiibPKf,@function
_ZN4vllm3moe10topkGatingILi8ELi256ELi4ELi16ELi32El6__halfLNS0_11ScoringFuncE0EEEvPKT5_PKbPfiPT4_PiiiibPKf: ; @_ZN4vllm3moe10topkGatingILi8ELi256ELi4ELi16ELi32El6__halfLNS0_11ScoringFuncE0EEEvPKT5_PKbPfiPT4_PiiiibPKf
; %bb.0:
	s_load_dword s24, s[4:5], 0x18
	v_and_b32_e32 v1, 0x3ff, v0
	s_lshl_b32 s0, s6, 2
	v_lshrrev_b32_e32 v2, 5, v1
	v_bfe_u32 v0, v0, 10, 10
	v_add3_u32 v17, s0, v0, v2
	s_waitcnt lgkmcnt(0)
	v_cmp_gt_i32_e32 vcc, s24, v17
	s_and_saveexec_b64 s[0:1], vcc
	s_cbranch_execz .LBB124_38
; %bb.1:
	s_load_dwordx4 s[0:3], s[4:5], 0x0
	s_load_dwordx2 s[16:17], s[4:5], 0x10
	s_mov_b64 s[6:7], -1
	s_mov_b64 s[18:19], -1
	s_waitcnt lgkmcnt(0)
	s_cmp_eq_u64 s[2:3], 0
	s_cbranch_scc1 .LBB124_3
; %bb.2:
	v_ashrrev_i32_e32 v0, 31, v17
	v_mov_b32_e32 v3, s3
	v_add_co_u32_e32 v2, vcc, s2, v17
	v_addc_co_u32_e32 v3, vcc, v3, v0, vcc
	global_load_ubyte v0, v[2:3], off
	s_waitcnt vmcnt(0)
	v_and_b32_e32 v0, 1, v0
	v_cmp_eq_u32_e32 vcc, 1, v0
	s_xor_b64 s[2:3], vcc, -1
	s_orn2_b64 s[18:19], s[2:3], exec
.LBB124_3:
	v_lshlrev_b32_e32 v2, 8, v17
	v_ashrrev_i32_e32 v3, 31, v2
	v_lshlrev_b64 v[2:3], 1, v[2:3]
	v_mov_b32_e32 v0, s1
	v_add_co_u32_e32 v2, vcc, s0, v2
	v_and_b32_e32 v21, 31, v1
	v_addc_co_u32_e32 v3, vcc, v0, v3, vcc
	v_lshlrev_b32_e32 v0, 4, v21
	v_add_co_u32_e32 v0, vcc, v2, v0
	v_addc_co_u32_e32 v1, vcc, 0, v3, vcc
	global_load_dwordx4 v[0:3], v[0:1], off
	v_mbcnt_lo_u32_b32 v4, -1, 0
	v_mbcnt_hi_u32_b32 v6, -1, v4
	v_and_b32_e32 v4, 0x60, v6
	v_xor_b32_e32 v5, 16, v6
	v_add_u32_e32 v7, 32, v4
	v_cmp_lt_i32_e32 vcc, v5, v7
	v_cndmask_b32_e32 v4, v6, v5, vcc
	v_lshlrev_b32_e32 v22, 2, v4
	v_xor_b32_e32 v12, 8, v6
	v_cmp_lt_i32_e32 vcc, v12, v7
	v_cndmask_b32_e32 v12, v6, v12, vcc
	v_lshlrev_b32_e32 v23, 2, v12
	v_xor_b32_e32 v12, 4, v6
	;; [unrolled: 4-line block ×4, first 2 shown]
	v_cmp_lt_i32_e32 vcc, v12, v7
	v_cndmask_b32_e32 v6, v6, v12, vcc
	v_lshlrev_b32_e32 v26, 2, v6
	s_mov_b32 s2, 0x3fb8aa3b
	s_mov_b32 s0, 0xc2ce8ed0
	;; [unrolled: 1-line block ×3, first 2 shown]
	v_mov_b32_e32 v6, 0x7f800000
	s_waitcnt vmcnt(0)
	v_cvt_f32_f16_e32 v8, v0
	v_cvt_f32_f16_sdwa v9, v0 dst_sel:DWORD dst_unused:UNUSED_PAD src0_sel:WORD_1
	v_cvt_f32_f16_e32 v10, v1
	v_cvt_f32_f16_sdwa v4, v1 dst_sel:DWORD dst_unused:UNUSED_PAD src0_sel:WORD_1
	;; [unrolled: 2-line block ×3, first 2 shown]
	v_cvt_f32_f16_sdwa v11, v3 dst_sel:DWORD dst_unused:UNUSED_PAD src0_sel:WORD_1
	v_cvt_f32_f16_e32 v1, v3
	v_max_f32_e32 v2, v8, v9
	v_max3_f32 v2, v2, v10, v4
	v_max3_f32 v2, v2, v5, v0
	;; [unrolled: 1-line block ×3, first 2 shown]
	ds_bpermute_b32 v3, v22, v2
	s_waitcnt lgkmcnt(0)
	v_max_f32_e32 v3, v3, v3
	v_max_f32_e32 v2, v2, v3
	ds_bpermute_b32 v3, v23, v2
	s_waitcnt lgkmcnt(0)
	v_max_f32_e32 v3, v3, v3
	v_max_f32_e32 v2, v2, v3
	;; [unrolled: 4-line block ×5, first 2 shown]
	v_sub_f32_e32 v3, v8, v2
	v_sub_f32_e32 v7, v9, v2
	v_mul_f32_e32 v9, 0x3fb8aa3b, v3
	v_sub_f32_e32 v8, v10, v2
	v_mul_f32_e32 v10, 0x3fb8aa3b, v7
	v_fma_f32 v16, v3, s2, -v9
	v_rndne_f32_e32 v18, v9
	v_pk_add_f32 v[4:5], v[4:5], v[2:3] op_sel_hi:[1,0] neg_lo:[0,1] neg_hi:[0,1]
	v_mul_f32_e32 v12, 0x3fb8aa3b, v8
	v_fma_f32 v19, v7, s2, -v10
	v_rndne_f32_e32 v20, v10
	v_fmac_f32_e32 v16, 0x32a5705f, v3
	v_sub_f32_e32 v9, v9, v18
	v_mul_f32_e32 v13, 0x3fb8aa3b, v5
	v_fma_f32 v27, v8, s2, -v12
	v_rndne_f32_e32 v28, v12
	v_fmac_f32_e32 v19, 0x32a5705f, v7
	v_sub_f32_e32 v10, v10, v20
	v_add_f32_e32 v9, v9, v16
	v_mul_f32_e32 v14, 0x3fb8aa3b, v4
	v_fma_f32 v29, v5, s2, -v13
	v_rndne_f32_e32 v30, v13
	v_cvt_i32_f32_e32 v18, v18
	v_fmac_f32_e32 v27, 0x32a5705f, v8
	v_sub_f32_e32 v12, v12, v28
	v_add_f32_e32 v10, v10, v19
	v_exp_f32_e32 v9, v9
	v_fma_f32 v31, v4, s2, -v14
	v_rndne_f32_e32 v32, v14
	v_cvt_i32_f32_e32 v20, v20
	v_fmac_f32_e32 v29, 0x32a5705f, v5
	v_sub_f32_e32 v13, v13, v30
	v_add_f32_e32 v12, v12, v27
	v_exp_f32_e32 v10, v10
	v_cvt_i32_f32_e32 v28, v28
	v_fmac_f32_e32 v31, 0x32a5705f, v4
	v_sub_f32_e32 v14, v14, v32
	v_add_f32_e32 v13, v13, v29
	v_exp_f32_e32 v12, v12
	v_cvt_i32_f32_e32 v30, v30
	v_add_f32_e32 v14, v14, v31
	v_exp_f32_e32 v13, v13
	v_cvt_i32_f32_e32 v32, v32
	v_exp_f32_e32 v14, v14
	v_ldexp_f32 v9, v9, v18
	v_cmp_ngt_f32_e32 vcc, s0, v3
	v_ldexp_f32 v10, v10, v20
	v_cndmask_b32_e32 v9, 0, v9, vcc
	v_cmp_ngt_f32_e32 vcc, s0, v7
	v_ldexp_f32 v12, v12, v28
	v_cndmask_b32_e32 v10, 0, v10, vcc
	;; [unrolled: 3-line block ×4, first 2 shown]
	v_cmp_ngt_f32_e32 vcc, s0, v4
	v_pk_add_f32 v[0:1], v[0:1], v[2:3] op_sel_hi:[1,0] neg_lo:[0,1] neg_hi:[0,1]
	v_cndmask_b32_e32 v14, 0, v14, vcc
	v_cmp_nlt_f32_e32 vcc, s1, v3
	v_mul_f32_e32 v15, 0x3fb8aa3b, v1
	v_cndmask_b32_e32 v3, v6, v9, vcc
	v_cmp_nlt_f32_e32 vcc, s1, v7
	v_fma_f32 v33, v1, s2, -v15
	v_cndmask_b32_e32 v7, v6, v10, vcc
	v_cmp_nlt_f32_e32 vcc, s1, v8
	v_rndne_f32_e32 v10, v15
	v_cndmask_b32_e32 v8, v6, v12, vcc
	v_fmac_f32_e32 v33, 0x32a5705f, v1
	v_sub_f32_e32 v12, v15, v10
	v_add_f32_e32 v12, v12, v33
	v_exp_f32_e32 v12, v12
	v_cvt_i32_f32_e32 v10, v10
	v_cmp_nlt_f32_e32 vcc, s1, v5
	v_cndmask_b32_e32 v5, v6, v13, vcc
	v_cmp_nlt_f32_e32 vcc, s1, v4
	v_ldexp_f32 v10, v12, v10
	v_mul_f32_e32 v12, 0x3fb8aa3b, v0
	v_cndmask_b32_e32 v4, v6, v14, vcc
	v_fma_f32 v13, v0, s2, -v12
	v_rndne_f32_e32 v14, v12
	v_fmac_f32_e32 v13, 0x32a5705f, v0
	v_sub_f32_e32 v12, v12, v14
	v_add_f32_e32 v12, v12, v13
	v_exp_f32_e32 v12, v12
	v_cvt_i32_f32_e32 v13, v14
	v_cmp_ngt_f32_e32 vcc, s0, v1
	v_sub_f32_e32 v2, v11, v2
	v_cndmask_b32_e32 v10, 0, v10, vcc
	v_cmp_nlt_f32_e32 vcc, s1, v1
	v_mul_f32_e32 v11, 0x3fb8aa3b, v2
	v_cndmask_b32_e32 v1, v6, v10, vcc
	v_ldexp_f32 v10, v12, v13
	v_fma_f32 v12, v2, s2, -v11
	v_rndne_f32_e32 v13, v11
	v_fmac_f32_e32 v12, 0x32a5705f, v2
	v_sub_f32_e32 v11, v11, v13
	v_add_f32_e32 v11, v11, v12
	v_exp_f32_e32 v11, v11
	v_cvt_i32_f32_e32 v12, v13
	v_add_f32_e32 v9, v3, v7
	v_add_f32_e32 v9, v9, v8
	v_cmp_ngt_f32_e32 vcc, s0, v0
	v_add_f32_e32 v9, v9, v4
	v_cndmask_b32_e32 v10, 0, v10, vcc
	v_cmp_nlt_f32_e32 vcc, s1, v0
	v_add_f32_e32 v9, v9, v5
	v_cndmask_b32_e32 v0, v6, v10, vcc
	v_ldexp_f32 v10, v11, v12
	v_cmp_ngt_f32_e32 vcc, s0, v2
	v_add_f32_e32 v9, v9, v0
	v_cndmask_b32_e32 v10, 0, v10, vcc
	v_cmp_nlt_f32_e32 vcc, s1, v2
	v_add_f32_e32 v9, v9, v1
	v_cndmask_b32_e32 v10, v6, v10, vcc
	v_add_f32_e32 v2, v9, v10
	ds_bpermute_b32 v6, v22, v2
	s_movk_i32 s2, 0x1f8
	v_lshlrev_b32_e32 v27, 3, v21
	s_waitcnt lgkmcnt(0)
	v_add_f32_e32 v2, v2, v6
	ds_bpermute_b32 v6, v23, v2
	s_waitcnt lgkmcnt(0)
	v_add_f32_e32 v2, v2, v6
	ds_bpermute_b32 v6, v24, v2
	;; [unrolled: 3-line block ×4, first 2 shown]
	s_waitcnt lgkmcnt(0)
	v_add_f32_e32 v2, v2, v6
	v_div_scale_f32 v6, s[0:1], v2, v2, 1.0
	v_rcp_f32_e32 v9, v6
	s_load_dwordx2 s[0:1], s[4:5], 0x40
	v_fma_f32 v11, -v6, v9, 1.0
	v_fmac_f32_e32 v9, v11, v9
	v_div_scale_f32 v11, vcc, 1.0, v2, 1.0
	v_mul_f32_e32 v12, v11, v9
	v_fma_f32 v13, -v6, v12, v11
	v_fmac_f32_e32 v12, v13, v9
	v_fma_f32 v6, -v6, v12, v11
	v_div_fmas_f32 v6, v6, v9, v12
	v_div_fixup_f32 v2, v6, v2, 1.0
	v_mul_f32_e32 v3, v2, v3
	v_mul_f32_e32 v11, v2, v7
	v_cmp_class_f32_e64 vcc, v3, s2
	v_mul_f32_e32 v12, v2, v8
	v_pk_mul_f32 v[8:9], v[2:3], v[0:1] op_sel_hi:[0,1]
	v_cndmask_b32_e32 v0, 0, v3, vcc
	v_cmp_class_f32_e64 vcc, v11, s2
	v_pk_mul_f32 v[6:7], v[2:3], v[4:5] op_sel_hi:[0,1]
	v_cndmask_b32_e32 v1, 0, v11, vcc
	v_cmp_class_f32_e64 vcc, v12, s2
	v_mov_b32_e32 v5, 0x207
	v_mul_f32_e32 v10, v2, v10
	v_cndmask_b32_e32 v2, 0, v12, vcc
	v_cmp_class_f32_e32 vcc, v7, v5
	v_cndmask_b32_e64 v4, v7, 0, vcc
	v_cmp_class_f32_e32 vcc, v6, v5
	v_cndmask_b32_e64 v3, v6, 0, vcc
	v_cmp_class_f32_e32 vcc, v9, v5
	v_cndmask_b32_e64 v6, v9, 0, vcc
	v_cmp_class_f32_e32 vcc, v8, v5
	v_cndmask_b32_e64 v5, v8, 0, vcc
	v_cmp_class_f32_e64 vcc, v10, s2
	s_waitcnt lgkmcnt(0)
	s_cmp_eq_u64 s[0:1], 0
	v_cndmask_b32_e32 v7, 0, v10, vcc
	s_cbranch_scc1 .LBB124_27
; %bb.4:
	v_lshlrev_b32_e32 v16, 2, v27
	global_load_dwordx4 v[8:11], v16, s[0:1]
	global_load_dwordx4 v[12:15], v16, s[0:1] offset:16
	s_waitcnt vmcnt(1)
	v_pk_add_f32 v[8:9], v[8:9], v[0:1]
	v_pk_add_f32 v[10:11], v[10:11], v[2:3]
	s_waitcnt vmcnt(0)
	v_pk_add_f32 v[12:13], v[12:13], v[4:5]
	v_pk_add_f32 v[14:15], v[14:15], v[6:7]
	s_cbranch_execnz .LBB124_6
.LBB124_5:
	v_pk_mov_b32 v[14:15], v[6:7], v[6:7] op_sel:[0,1]
	v_pk_mov_b32 v[12:13], v[4:5], v[4:5] op_sel:[0,1]
	;; [unrolled: 1-line block ×4, first 2 shown]
.LBB124_6:
	s_load_dwordx4 s[8:11], s[4:5], 0x30
	s_mov_b32 s25, 0
	v_cmp_eq_u32_e64 s[0:1], 0, v21
	s_waitcnt lgkmcnt(0)
	s_bitcmp1_b32 s11, 0
	s_cselect_b64 vcc, -1, 0
	s_cmp_gt_i32 s8, 0
	s_cselect_b64 s[20:21], -1, 0
	s_cmp_lt_i32 s8, 1
	s_cbranch_scc1 .LBB124_28
; %bb.7:
	s_load_dwordx4 s[12:15], s[4:5], 0x20
	v_mul_lo_u32 v29, v17, s8
	v_mov_b32_e32 v28, 0
	v_mov_b32_e32 v30, 0x100
	;; [unrolled: 1-line block ×4, first 2 shown]
	s_branch .LBB124_10
.LBB124_8:                              ;   in Loop: Header=BB124_10 Depth=1
	s_or_b64 exec, exec, s[4:5]
.LBB124_9:                              ;   in Loop: Header=BB124_10 Depth=1
	s_cmp_eq_u32 s8, s25
	v_add_u32_e32 v32, s24, v32
	s_cbranch_scc1 .LBB124_29
.LBB124_10:                             ; =>This Inner Loop Header: Depth=1
	v_cmp_gt_f32_e64 s[2:3], v9, v8
	v_cndmask_b32_e64 v16, v8, v9, s[2:3]
	v_cndmask_b32_e64 v18, v0, v1, s[2:3]
	s_waitcnt lgkmcnt(0)
	v_cndmask_b32_e64 v19, 0, 1, s[2:3]
	v_cmp_gt_f32_e64 s[2:3], v10, v16
	v_cndmask_b32_e64 v16, v16, v10, s[2:3]
	v_cndmask_b32_e64 v18, v18, v2, s[2:3]
	v_cndmask_b32_e64 v19, v19, 2, s[2:3]
	v_cmp_gt_f32_e64 s[2:3], v11, v16
	v_cndmask_b32_e64 v16, v16, v11, s[2:3]
	v_cndmask_b32_e64 v18, v18, v3, s[2:3]
	;; [unrolled: 4-line block ×6, first 2 shown]
	v_or_b32_e32 v19, v27, v19
	ds_bpermute_b32 v20, v22, v16
	ds_bpermute_b32 v33, v22, v19
	v_cndmask_b32_e64 v18, v18, v7, s[2:3]
	ds_bpermute_b32 v35, v22, v18
	s_waitcnt lgkmcnt(0)
	v_cmp_eq_f32_e64 s[4:5], v16, v20
	v_cmp_lt_i32_e64 s[6:7], v33, v19
	v_cmp_lt_f32_e64 s[2:3], v16, v20
	s_and_b64 s[4:5], s[4:5], s[6:7]
	s_or_b64 s[2:3], s[2:3], s[4:5]
	v_cndmask_b32_e64 v34, v19, v33, s[2:3]
	v_cndmask_b32_e64 v33, v16, v20, s[2:3]
	;; [unrolled: 1-line block ×3, first 2 shown]
	ds_bpermute_b32 v36, v23, v33
	ds_bpermute_b32 v20, v23, v16
	;; [unrolled: 1-line block ×3, first 2 shown]
                                        ; implicit-def: $vgpr18_vgpr19
	s_waitcnt lgkmcnt(2)
	v_cmp_lt_f32_e64 s[6:7], v33, v36
	v_cmp_nlt_f32_e64 s[2:3], v33, v36
	s_and_saveexec_b64 s[22:23], s[2:3]
	s_cbranch_execz .LBB124_12
; %bb.11:                               ;   in Loop: Header=BB124_10 Depth=1
	v_cmp_eq_f32_e64 s[2:3], v33, v36
	s_waitcnt lgkmcnt(0)
	v_cmp_lt_i32_e64 s[4:5], v35, v34
	s_and_b64 s[2:3], s[2:3], s[4:5]
	s_andn2_b64 s[4:5], s[6:7], exec
	s_and_b64 s[2:3], s[2:3], exec
	s_or_b64 s[6:7], s[4:5], s[2:3]
	v_pk_mov_b32 v[18:19], v[16:17], v[16:17] op_sel:[0,1]
.LBB124_12:                             ;   in Loop: Header=BB124_10 Depth=1
	s_or_b64 exec, exec, s[22:23]
	s_and_saveexec_b64 s[2:3], s[6:7]
	s_cbranch_execz .LBB124_14
; %bb.13:                               ;   in Loop: Header=BB124_10 Depth=1
	v_mov_b32_e32 v33, v36
	s_waitcnt lgkmcnt(1)
	v_mov_b32_e32 v16, v20
	s_waitcnt lgkmcnt(0)
	v_mov_b32_e32 v34, v35
	v_pk_mov_b32 v[18:19], v[20:21], v[20:21] op_sel:[0,1]
.LBB124_14:                             ;   in Loop: Header=BB124_10 Depth=1
	s_or_b64 exec, exec, s[2:3]
	s_waitcnt lgkmcnt(0)
	ds_bpermute_b32 v35, v24, v33
	ds_bpermute_b32 v20, v24, v16
	;; [unrolled: 1-line block ×3, first 2 shown]
	s_waitcnt lgkmcnt(2)
	v_cmp_lt_f32_e64 s[6:7], v33, v35
	v_cmp_nlt_f32_e64 s[2:3], v33, v35
	s_and_saveexec_b64 s[22:23], s[2:3]
	s_cbranch_execz .LBB124_16
; %bb.15:                               ;   in Loop: Header=BB124_10 Depth=1
	v_cmp_eq_f32_e64 s[2:3], v33, v35
	s_waitcnt lgkmcnt(0)
	v_cmp_lt_i32_e64 s[4:5], v19, v34
	s_and_b64 s[2:3], s[2:3], s[4:5]
	s_andn2_b64 s[4:5], s[6:7], exec
	s_and_b64 s[2:3], s[2:3], exec
	s_or_b64 s[6:7], s[4:5], s[2:3]
.LBB124_16:                             ;   in Loop: Header=BB124_10 Depth=1
	s_or_b64 exec, exec, s[22:23]
	s_and_saveexec_b64 s[2:3], s[6:7]
	s_cbranch_execz .LBB124_18
; %bb.17:                               ;   in Loop: Header=BB124_10 Depth=1
	v_mov_b32_e32 v33, v35
	s_waitcnt lgkmcnt(1)
	v_mov_b32_e32 v16, v20
	s_waitcnt lgkmcnt(0)
	v_mov_b32_e32 v34, v19
	v_pk_mov_b32 v[18:19], v[20:21], v[20:21] op_sel:[0,1]
.LBB124_18:                             ;   in Loop: Header=BB124_10 Depth=1
	s_or_b64 exec, exec, s[2:3]
	ds_bpermute_b32 v35, v25, v33
	s_waitcnt lgkmcnt(2)
	ds_bpermute_b32 v20, v25, v16
	s_waitcnt lgkmcnt(2)
	;; [unrolled: 2-line block ×3, first 2 shown]
	v_cmp_lt_f32_e64 s[6:7], v33, v35
	v_cmp_nlt_f32_e64 s[2:3], v33, v35
	s_and_saveexec_b64 s[22:23], s[2:3]
	s_cbranch_execz .LBB124_20
; %bb.19:                               ;   in Loop: Header=BB124_10 Depth=1
	v_cmp_eq_f32_e64 s[2:3], v33, v35
	s_waitcnt lgkmcnt(0)
	v_cmp_lt_i32_e64 s[4:5], v19, v34
	s_and_b64 s[2:3], s[2:3], s[4:5]
	s_andn2_b64 s[4:5], s[6:7], exec
	s_and_b64 s[2:3], s[2:3], exec
	s_or_b64 s[6:7], s[4:5], s[2:3]
.LBB124_20:                             ;   in Loop: Header=BB124_10 Depth=1
	s_or_b64 exec, exec, s[22:23]
	s_and_saveexec_b64 s[2:3], s[6:7]
	s_cbranch_execz .LBB124_22
; %bb.21:                               ;   in Loop: Header=BB124_10 Depth=1
	v_mov_b32_e32 v33, v35
	s_waitcnt lgkmcnt(1)
	v_mov_b32_e32 v16, v20
	s_waitcnt lgkmcnt(0)
	v_mov_b32_e32 v34, v19
	v_pk_mov_b32 v[18:19], v[20:21], v[20:21] op_sel:[0,1]
.LBB124_22:                             ;   in Loop: Header=BB124_10 Depth=1
	s_or_b64 exec, exec, s[2:3]
	s_waitcnt lgkmcnt(1)
	ds_bpermute_b32 v20, v26, v33
	ds_bpermute_b32 v35, v26, v34
	s_waitcnt lgkmcnt(2)
	ds_bpermute_b32 v19, v26, v16
	s_waitcnt lgkmcnt(2)
	v_cmp_eq_f32_e64 s[4:5], v33, v20
	s_waitcnt lgkmcnt(1)
	v_cmp_lt_i32_e64 s[6:7], v35, v34
	v_cmp_lt_f32_e64 s[2:3], v33, v20
	s_and_b64 s[4:5], s[4:5], s[6:7]
	s_or_b64 s[2:3], s[2:3], s[4:5]
	v_cndmask_b32_e64 v16, v34, v35, s[2:3]
	s_and_saveexec_b64 s[6:7], s[0:1]
	s_cbranch_execnz .LBB124_24
; %bb.23:                               ;   in Loop: Header=BB124_10 Depth=1
	s_or_b64 exec, exec, s[6:7]
	s_add_i32 s25, s25, 1
	s_cmp_ge_i32 s25, s8
	s_cbranch_scc1 .LBB124_9
	s_branch .LBB124_25
.LBB124_24:                             ;   in Loop: Header=BB124_10 Depth=1
	s_waitcnt lgkmcnt(0)
	v_cndmask_b32_e64 v20, v18, v19, s[2:3]
	v_add_u32_e32 v18, s25, v29
	v_ashrrev_i32_e32 v19, 31, v18
	v_cmp_le_i32_e64 s[2:3], s9, v16
	v_cmp_gt_i32_e64 s[4:5], s10, v16
	v_lshlrev_b64 v[34:35], 2, v[18:19]
	s_and_b64 s[4:5], s[2:3], s[4:5]
	v_mov_b32_e32 v33, s17
	v_add_co_u32_e64 v36, s[2:3], s16, v34
	v_addc_co_u32_e64 v37, s[2:3], v33, v35, s[2:3]
	v_subrev_u32_e32 v33, s9, v16
	global_store_dword v[36:37], v20, off
	v_ashrrev_i32_e32 v36, 31, v33
	s_and_b64 s[2:3], s[18:19], s[4:5]
	v_lshlrev_b64 v[18:19], 3, v[18:19]
	v_cndmask_b32_e64 v37, 0, v36, s[2:3]
	v_cndmask_b32_e64 v36, v30, v33, s[2:3]
	v_mov_b32_e32 v33, s13
	v_add_co_u32_e64 v18, s[2:3], s12, v18
	v_addc_co_u32_e64 v19, s[2:3], v33, v19, s[2:3]
	global_store_dwordx2 v[18:19], v[36:37], off
	v_mov_b32_e32 v19, s15
	v_add_co_u32_e64 v18, s[2:3], s14, v34
	v_addc_co_u32_e64 v19, s[2:3], v19, v35, s[2:3]
	global_store_dword v[18:19], v32, off
	v_add_f32_e32 v18, v28, v20
	v_cndmask_b32_e32 v28, v28, v18, vcc
	s_or_b64 exec, exec, s[6:7]
	s_add_i32 s25, s25, 1
	s_cmp_ge_i32 s25, s8
	s_cbranch_scc1 .LBB124_9
.LBB124_25:                             ;   in Loop: Header=BB124_10 Depth=1
	v_ashrrev_i32_e32 v18, 31, v16
	s_waitcnt lgkmcnt(0)
	v_lshrrev_b32_e32 v19, 29, v18
	v_add_u32_e32 v20, v16, v19
	v_ashrrev_i32_e32 v19, 3, v20
	v_ashrrev_i32_e32 v20, 31, v20
	v_lshrrev_b32_e32 v20, 27, v20
	v_add_u32_e32 v20, v19, v20
	v_and_b32_e32 v20, 0xffffffe0, v20
	v_sub_u32_e32 v20, v19, v20
	v_cmp_eq_u32_e64 s[2:3], v21, v20
	s_and_saveexec_b64 s[4:5], s[2:3]
	s_cbranch_execz .LBB124_8
; %bb.26:                               ;   in Loop: Header=BB124_10 Depth=1
	v_add_u32_sdwa v18, v16, v18 dst_sel:DWORD dst_unused:UNUSED_PAD src0_sel:DWORD src1_sel:BYTE_3
	v_lshlrev_b32_e32 v19, 3, v19
	v_ashrrev_i32_e32 v18, 8, v18
	v_sub_u32_e32 v16, v16, v19
	v_lshl_add_u32 v16, v18, 3, v16
	v_cmp_ne_u32_e64 s[2:3], 7, v16
	v_cndmask_b32_e64 v15, v31, v15, s[2:3]
	v_cmp_ne_u32_e64 s[2:3], 6, v16
	v_cndmask_b32_e64 v14, v31, v14, s[2:3]
	;; [unrolled: 2-line block ×8, first 2 shown]
	s_branch .LBB124_8
.LBB124_27:
                                        ; implicit-def: $vgpr8_vgpr9_vgpr10_vgpr11_vgpr12_vgpr13_vgpr14_vgpr15
	s_andn2_b64 vcc, exec, s[6:7]
	s_cbranch_vccz .LBB124_5
	s_branch .LBB124_6
.LBB124_28:
	v_mov_b32_e32 v28, 0
.LBB124_29:
	v_cmp_eq_u32_e64 s[0:1], 0, v21
	s_and_b64 s[0:1], s[0:1], vcc
	s_and_b64 exec, exec, s[0:1]
	s_cbranch_execz .LBB124_38
; %bb.30:
	s_andn2_b64 vcc, exec, s[20:21]
	s_cbranch_vccnz .LBB124_38
; %bb.31:
	v_cmp_lt_f32_e32 vcc, 0, v28
	s_mov_b32 s2, 0
	v_cndmask_b32_e32 v0, 1.0, v28, vcc
	v_mul_lo_u32 v4, v17, s8
	s_cmp_eq_u32 s8, 1
	s_mov_b64 s[0:1], -1
	s_cbranch_scc1 .LBB124_35
; %bb.32:
	s_and_b32 s2, s8, 0x7ffffffe
	v_mov_b32_e32 v1, v0
	v_mov_b32_e32 v5, s17
	s_mov_b32 s3, s2
	v_mov_b32_e32 v2, v4
.LBB124_33:                             ; =>This Inner Loop Header: Depth=1
	v_ashrrev_i32_e32 v3, 31, v2
	v_lshlrev_b64 v[6:7], 2, v[2:3]
	v_add_co_u32_e32 v6, vcc, s16, v6
	v_addc_co_u32_e32 v7, vcc, v5, v7, vcc
	global_load_dwordx2 v[8:9], v[6:7], off
	s_add_i32 s3, s3, -2
	s_cmp_lg_u32 s3, 0
	v_add_u32_e32 v2, 2, v2
	s_waitcnt vmcnt(0)
	v_div_scale_f32 v3, s[0:1], v1, v1, v9
	v_div_scale_f32 v11, s[0:1], v0, v0, v8
	v_rcp_f32_e32 v12, v3
	v_rcp_f32_e32 v13, v11
	v_div_scale_f32 v10, vcc, v9, v1, v9
	v_fma_f32 v15, -v3, v12, 1.0
	v_fma_f32 v16, -v11, v13, 1.0
	v_fmac_f32_e32 v12, v15, v12
	v_div_scale_f32 v14, s[0:1], v8, v0, v8
	v_fmac_f32_e32 v13, v16, v13
	v_mul_f32_e32 v15, v10, v12
	v_mul_f32_e32 v16, v14, v13
	v_fma_f32 v17, -v3, v15, v10
	v_fma_f32 v18, -v11, v16, v14
	v_fmac_f32_e32 v15, v17, v12
	v_fmac_f32_e32 v16, v18, v13
	v_fma_f32 v3, -v3, v15, v10
	v_fma_f32 v10, -v11, v16, v14
	v_div_fmas_f32 v3, v3, v12, v15
	s_mov_b64 vcc, s[0:1]
	v_div_fixup_f32 v9, v3, v1, v9
	v_div_fmas_f32 v3, v10, v13, v16
	v_div_fixup_f32 v8, v3, v0, v8
	global_store_dwordx2 v[6:7], v[8:9], off
	s_cbranch_scc1 .LBB124_33
; %bb.34:
	s_cmp_lg_u32 s2, s8
	s_cselect_b64 s[0:1], -1, 0
.LBB124_35:
	s_and_b64 vcc, exec, s[0:1]
	s_cbranch_vccz .LBB124_38
; %bb.36:
	v_ashrrev_i32_e32 v1, 31, v4
	v_add_co_u32_e32 v2, vcc, s2, v4
	v_addc_co_u32_e32 v3, vcc, 0, v1, vcc
	v_lshlrev_b64 v[2:3], 2, v[2:3]
	v_mov_b32_e32 v1, s17
	v_add_co_u32_e32 v2, vcc, s16, v2
	s_sub_i32 s0, s8, s2
	v_addc_co_u32_e32 v3, vcc, v1, v3, vcc
.LBB124_37:                             ; =>This Inner Loop Header: Depth=1
	global_load_dword v1, v[2:3], off
	s_add_i32 s0, s0, -1
	s_cmp_lg_u32 s0, 0
	s_waitcnt vmcnt(0)
	v_div_scale_f32 v4, s[2:3], v0, v0, v1
	v_rcp_f32_e32 v5, v4
	v_div_scale_f32 v6, vcc, v1, v0, v1
	v_fma_f32 v7, -v4, v5, 1.0
	v_fmac_f32_e32 v5, v7, v5
	v_mul_f32_e32 v7, v6, v5
	v_fma_f32 v8, -v4, v7, v6
	v_fmac_f32_e32 v7, v8, v5
	v_fma_f32 v4, -v4, v7, v6
	v_div_fmas_f32 v4, v4, v5, v7
	v_div_fixup_f32 v1, v4, v0, v1
	global_store_dword v[2:3], v1, off
	v_add_co_u32_e32 v2, vcc, 4, v2
	v_addc_co_u32_e32 v3, vcc, 0, v3, vcc
	s_cbranch_scc1 .LBB124_37
.LBB124_38:
	s_endpgm
	.section	.rodata,"a",@progbits
	.p2align	6, 0x0
	.amdhsa_kernel _ZN4vllm3moe10topkGatingILi8ELi256ELi4ELi16ELi32El6__halfLNS0_11ScoringFuncE0EEEvPKT5_PKbPfiPT4_PiiiibPKf
		.amdhsa_group_segment_fixed_size 0
		.amdhsa_private_segment_fixed_size 0
		.amdhsa_kernarg_size 72
		.amdhsa_user_sgpr_count 6
		.amdhsa_user_sgpr_private_segment_buffer 1
		.amdhsa_user_sgpr_dispatch_ptr 0
		.amdhsa_user_sgpr_queue_ptr 0
		.amdhsa_user_sgpr_kernarg_segment_ptr 1
		.amdhsa_user_sgpr_dispatch_id 0
		.amdhsa_user_sgpr_flat_scratch_init 0
		.amdhsa_user_sgpr_kernarg_preload_length 0
		.amdhsa_user_sgpr_kernarg_preload_offset 0
		.amdhsa_user_sgpr_private_segment_size 0
		.amdhsa_uses_dynamic_stack 0
		.amdhsa_system_sgpr_private_segment_wavefront_offset 0
		.amdhsa_system_sgpr_workgroup_id_x 1
		.amdhsa_system_sgpr_workgroup_id_y 0
		.amdhsa_system_sgpr_workgroup_id_z 0
		.amdhsa_system_sgpr_workgroup_info 0
		.amdhsa_system_vgpr_workitem_id 1
		.amdhsa_next_free_vgpr 38
		.amdhsa_next_free_sgpr 26
		.amdhsa_accum_offset 40
		.amdhsa_reserve_vcc 1
		.amdhsa_reserve_flat_scratch 0
		.amdhsa_float_round_mode_32 0
		.amdhsa_float_round_mode_16_64 0
		.amdhsa_float_denorm_mode_32 3
		.amdhsa_float_denorm_mode_16_64 3
		.amdhsa_dx10_clamp 1
		.amdhsa_ieee_mode 1
		.amdhsa_fp16_overflow 0
		.amdhsa_tg_split 0
		.amdhsa_exception_fp_ieee_invalid_op 0
		.amdhsa_exception_fp_denorm_src 0
		.amdhsa_exception_fp_ieee_div_zero 0
		.amdhsa_exception_fp_ieee_overflow 0
		.amdhsa_exception_fp_ieee_underflow 0
		.amdhsa_exception_fp_ieee_inexact 0
		.amdhsa_exception_int_div_zero 0
	.end_amdhsa_kernel
	.section	.text._ZN4vllm3moe10topkGatingILi8ELi256ELi4ELi16ELi32El6__halfLNS0_11ScoringFuncE0EEEvPKT5_PKbPfiPT4_PiiiibPKf,"axG",@progbits,_ZN4vllm3moe10topkGatingILi8ELi256ELi4ELi16ELi32El6__halfLNS0_11ScoringFuncE0EEEvPKT5_PKbPfiPT4_PiiiibPKf,comdat
.Lfunc_end124:
	.size	_ZN4vllm3moe10topkGatingILi8ELi256ELi4ELi16ELi32El6__halfLNS0_11ScoringFuncE0EEEvPKT5_PKbPfiPT4_PiiiibPKf, .Lfunc_end124-_ZN4vllm3moe10topkGatingILi8ELi256ELi4ELi16ELi32El6__halfLNS0_11ScoringFuncE0EEEvPKT5_PKbPfiPT4_PiiiibPKf
                                        ; -- End function
	.section	.AMDGPU.csdata,"",@progbits
; Kernel info:
; codeLenInByte = 3356
; NumSgprs: 30
; NumVgprs: 38
; NumAgprs: 0
; TotalNumVgprs: 38
; ScratchSize: 0
; MemoryBound: 0
; FloatMode: 240
; IeeeMode: 1
; LDSByteSize: 0 bytes/workgroup (compile time only)
; SGPRBlocks: 3
; VGPRBlocks: 4
; NumSGPRsForWavesPerEU: 30
; NumVGPRsForWavesPerEU: 38
; AccumOffset: 40
; Occupancy: 8
; WaveLimiterHint : 0
; COMPUTE_PGM_RSRC2:SCRATCH_EN: 0
; COMPUTE_PGM_RSRC2:USER_SGPR: 6
; COMPUTE_PGM_RSRC2:TRAP_HANDLER: 0
; COMPUTE_PGM_RSRC2:TGID_X_EN: 1
; COMPUTE_PGM_RSRC2:TGID_Y_EN: 0
; COMPUTE_PGM_RSRC2:TGID_Z_EN: 0
; COMPUTE_PGM_RSRC2:TIDIG_COMP_CNT: 1
; COMPUTE_PGM_RSRC3_GFX90A:ACCUM_OFFSET: 9
; COMPUTE_PGM_RSRC3_GFX90A:TG_SPLIT: 0
	.section	.text._ZN4vllm3moe10topkGatingILi8ELi512ELi4ELi16ELi64El6__halfLNS0_11ScoringFuncE0EEEvPKT5_PKbPfiPT4_PiiiibPKf,"axG",@progbits,_ZN4vllm3moe10topkGatingILi8ELi512ELi4ELi16ELi64El6__halfLNS0_11ScoringFuncE0EEEvPKT5_PKbPfiPT4_PiiiibPKf,comdat
	.protected	_ZN4vllm3moe10topkGatingILi8ELi512ELi4ELi16ELi64El6__halfLNS0_11ScoringFuncE0EEEvPKT5_PKbPfiPT4_PiiiibPKf ; -- Begin function _ZN4vllm3moe10topkGatingILi8ELi512ELi4ELi16ELi64El6__halfLNS0_11ScoringFuncE0EEEvPKT5_PKbPfiPT4_PiiiibPKf
	.globl	_ZN4vllm3moe10topkGatingILi8ELi512ELi4ELi16ELi64El6__halfLNS0_11ScoringFuncE0EEEvPKT5_PKbPfiPT4_PiiiibPKf
	.p2align	8
	.type	_ZN4vllm3moe10topkGatingILi8ELi512ELi4ELi16ELi64El6__halfLNS0_11ScoringFuncE0EEEvPKT5_PKbPfiPT4_PiiiibPKf,@function
_ZN4vllm3moe10topkGatingILi8ELi512ELi4ELi16ELi64El6__halfLNS0_11ScoringFuncE0EEEvPKT5_PKbPfiPT4_PiiiibPKf: ; @_ZN4vllm3moe10topkGatingILi8ELi512ELi4ELi16ELi64El6__halfLNS0_11ScoringFuncE0EEEvPKT5_PKbPfiPT4_PiiiibPKf
; %bb.0:
	s_load_dword s24, s[4:5], 0x18
	v_and_b32_e32 v1, 0x3ff, v0
	s_lshl_b32 s0, s6, 2
	v_lshrrev_b32_e32 v2, 6, v1
	v_bfe_u32 v0, v0, 10, 10
	v_add3_u32 v17, s0, v0, v2
	s_waitcnt lgkmcnt(0)
	v_cmp_gt_i32_e32 vcc, s24, v17
	s_and_saveexec_b64 s[0:1], vcc
	s_cbranch_execz .LBB125_42
; %bb.1:
	s_load_dwordx4 s[0:3], s[4:5], 0x0
	s_load_dwordx2 s[16:17], s[4:5], 0x10
	s_mov_b64 s[6:7], -1
	s_mov_b64 s[18:19], -1
	s_waitcnt lgkmcnt(0)
	s_cmp_eq_u64 s[2:3], 0
	s_cbranch_scc1 .LBB125_3
; %bb.2:
	v_ashrrev_i32_e32 v0, 31, v17
	v_mov_b32_e32 v3, s3
	v_add_co_u32_e32 v2, vcc, s2, v17
	v_addc_co_u32_e32 v3, vcc, v3, v0, vcc
	global_load_ubyte v0, v[2:3], off
	s_waitcnt vmcnt(0)
	v_and_b32_e32 v0, 1, v0
	v_cmp_eq_u32_e32 vcc, 1, v0
	s_xor_b64 s[2:3], vcc, -1
	s_orn2_b64 s[18:19], s[2:3], exec
.LBB125_3:
	v_lshlrev_b32_e32 v2, 9, v17
	v_ashrrev_i32_e32 v3, 31, v2
	v_lshlrev_b64 v[2:3], 1, v[2:3]
	v_mov_b32_e32 v0, s1
	v_add_co_u32_e32 v2, vcc, s0, v2
	v_and_b32_e32 v21, 63, v1
	v_addc_co_u32_e32 v3, vcc, v0, v3, vcc
	v_lshlrev_b32_e32 v0, 4, v21
	v_add_co_u32_e32 v0, vcc, v2, v0
	v_addc_co_u32_e32 v1, vcc, 0, v3, vcc
	global_load_dwordx4 v[0:3], v[0:1], off
	v_mbcnt_lo_u32_b32 v4, -1, 0
	v_mbcnt_hi_u32_b32 v6, -1, v4
	v_and_b32_e32 v4, 64, v6
	v_xor_b32_e32 v5, 32, v6
	v_add_u32_e32 v7, 64, v4
	v_cmp_lt_i32_e32 vcc, v5, v7
	v_cndmask_b32_e32 v4, v6, v5, vcc
	v_lshlrev_b32_e32 v22, 2, v4
	v_xor_b32_e32 v12, 16, v6
	v_cmp_lt_i32_e32 vcc, v12, v7
	v_cndmask_b32_e32 v12, v6, v12, vcc
	v_lshlrev_b32_e32 v23, 2, v12
	v_xor_b32_e32 v12, 8, v6
	;; [unrolled: 4-line block ×5, first 2 shown]
	v_cmp_lt_i32_e32 vcc, v12, v7
	v_cndmask_b32_e32 v6, v6, v12, vcc
	v_lshlrev_b32_e32 v27, 2, v6
	s_mov_b32 s2, 0x3fb8aa3b
	s_mov_b32 s0, 0xc2ce8ed0
	;; [unrolled: 1-line block ×3, first 2 shown]
	v_mov_b32_e32 v6, 0x7f800000
	s_waitcnt vmcnt(0)
	v_cvt_f32_f16_e32 v8, v0
	v_cvt_f32_f16_sdwa v9, v0 dst_sel:DWORD dst_unused:UNUSED_PAD src0_sel:WORD_1
	v_cvt_f32_f16_e32 v10, v1
	v_cvt_f32_f16_sdwa v4, v1 dst_sel:DWORD dst_unused:UNUSED_PAD src0_sel:WORD_1
	;; [unrolled: 2-line block ×3, first 2 shown]
	v_cvt_f32_f16_sdwa v11, v3 dst_sel:DWORD dst_unused:UNUSED_PAD src0_sel:WORD_1
	v_cvt_f32_f16_e32 v1, v3
	v_max_f32_e32 v2, v8, v9
	v_max3_f32 v2, v2, v10, v4
	v_max3_f32 v2, v2, v5, v0
	;; [unrolled: 1-line block ×3, first 2 shown]
	ds_bpermute_b32 v3, v22, v2
	s_waitcnt lgkmcnt(0)
	v_max_f32_e32 v3, v3, v3
	v_max_f32_e32 v2, v2, v3
	ds_bpermute_b32 v3, v23, v2
	s_waitcnt lgkmcnt(0)
	v_max_f32_e32 v3, v3, v3
	v_max_f32_e32 v2, v2, v3
	;; [unrolled: 4-line block ×6, first 2 shown]
	v_sub_f32_e32 v3, v8, v2
	v_sub_f32_e32 v7, v9, v2
	v_mul_f32_e32 v9, 0x3fb8aa3b, v3
	v_sub_f32_e32 v8, v10, v2
	v_mul_f32_e32 v10, 0x3fb8aa3b, v7
	v_fma_f32 v16, v3, s2, -v9
	v_rndne_f32_e32 v18, v9
	v_pk_add_f32 v[4:5], v[4:5], v[2:3] op_sel_hi:[1,0] neg_lo:[0,1] neg_hi:[0,1]
	v_mul_f32_e32 v12, 0x3fb8aa3b, v8
	v_fma_f32 v19, v7, s2, -v10
	v_rndne_f32_e32 v20, v10
	v_fmac_f32_e32 v16, 0x32a5705f, v3
	v_sub_f32_e32 v9, v9, v18
	v_mul_f32_e32 v13, 0x3fb8aa3b, v5
	v_fma_f32 v28, v8, s2, -v12
	v_rndne_f32_e32 v29, v12
	v_fmac_f32_e32 v19, 0x32a5705f, v7
	v_sub_f32_e32 v10, v10, v20
	v_add_f32_e32 v9, v9, v16
	v_mul_f32_e32 v14, 0x3fb8aa3b, v4
	v_fma_f32 v30, v5, s2, -v13
	v_rndne_f32_e32 v31, v13
	v_cvt_i32_f32_e32 v18, v18
	v_fmac_f32_e32 v28, 0x32a5705f, v8
	v_sub_f32_e32 v12, v12, v29
	v_add_f32_e32 v10, v10, v19
	v_exp_f32_e32 v9, v9
	v_fma_f32 v32, v4, s2, -v14
	v_rndne_f32_e32 v33, v14
	v_cvt_i32_f32_e32 v20, v20
	v_fmac_f32_e32 v30, 0x32a5705f, v5
	v_sub_f32_e32 v13, v13, v31
	v_add_f32_e32 v12, v12, v28
	v_exp_f32_e32 v10, v10
	v_cvt_i32_f32_e32 v29, v29
	v_fmac_f32_e32 v32, 0x32a5705f, v4
	v_sub_f32_e32 v14, v14, v33
	v_add_f32_e32 v13, v13, v30
	v_exp_f32_e32 v12, v12
	v_cvt_i32_f32_e32 v31, v31
	v_add_f32_e32 v14, v14, v32
	v_exp_f32_e32 v13, v13
	v_cvt_i32_f32_e32 v33, v33
	v_exp_f32_e32 v14, v14
	v_ldexp_f32 v9, v9, v18
	v_cmp_ngt_f32_e32 vcc, s0, v3
	v_ldexp_f32 v10, v10, v20
	v_cndmask_b32_e32 v9, 0, v9, vcc
	v_cmp_ngt_f32_e32 vcc, s0, v7
	v_ldexp_f32 v12, v12, v29
	v_cndmask_b32_e32 v10, 0, v10, vcc
	;; [unrolled: 3-line block ×4, first 2 shown]
	v_cmp_ngt_f32_e32 vcc, s0, v4
	v_pk_add_f32 v[0:1], v[0:1], v[2:3] op_sel_hi:[1,0] neg_lo:[0,1] neg_hi:[0,1]
	v_cndmask_b32_e32 v14, 0, v14, vcc
	v_cmp_nlt_f32_e32 vcc, s1, v3
	v_mul_f32_e32 v15, 0x3fb8aa3b, v1
	v_cndmask_b32_e32 v3, v6, v9, vcc
	v_cmp_nlt_f32_e32 vcc, s1, v7
	v_fma_f32 v34, v1, s2, -v15
	v_cndmask_b32_e32 v7, v6, v10, vcc
	v_cmp_nlt_f32_e32 vcc, s1, v8
	v_rndne_f32_e32 v10, v15
	v_cndmask_b32_e32 v8, v6, v12, vcc
	v_fmac_f32_e32 v34, 0x32a5705f, v1
	v_sub_f32_e32 v12, v15, v10
	v_add_f32_e32 v12, v12, v34
	v_exp_f32_e32 v12, v12
	v_cvt_i32_f32_e32 v10, v10
	v_cmp_nlt_f32_e32 vcc, s1, v5
	v_cndmask_b32_e32 v5, v6, v13, vcc
	v_cmp_nlt_f32_e32 vcc, s1, v4
	v_ldexp_f32 v10, v12, v10
	v_mul_f32_e32 v12, 0x3fb8aa3b, v0
	v_cndmask_b32_e32 v4, v6, v14, vcc
	v_fma_f32 v13, v0, s2, -v12
	v_rndne_f32_e32 v14, v12
	v_fmac_f32_e32 v13, 0x32a5705f, v0
	v_sub_f32_e32 v12, v12, v14
	v_add_f32_e32 v12, v12, v13
	v_exp_f32_e32 v12, v12
	v_cvt_i32_f32_e32 v13, v14
	v_cmp_ngt_f32_e32 vcc, s0, v1
	v_sub_f32_e32 v2, v11, v2
	v_cndmask_b32_e32 v10, 0, v10, vcc
	v_cmp_nlt_f32_e32 vcc, s1, v1
	v_mul_f32_e32 v11, 0x3fb8aa3b, v2
	v_cndmask_b32_e32 v1, v6, v10, vcc
	v_ldexp_f32 v10, v12, v13
	v_fma_f32 v12, v2, s2, -v11
	v_rndne_f32_e32 v13, v11
	v_fmac_f32_e32 v12, 0x32a5705f, v2
	v_sub_f32_e32 v11, v11, v13
	v_add_f32_e32 v11, v11, v12
	v_exp_f32_e32 v11, v11
	v_cvt_i32_f32_e32 v12, v13
	v_add_f32_e32 v9, v3, v7
	v_add_f32_e32 v9, v9, v8
	v_cmp_ngt_f32_e32 vcc, s0, v0
	v_add_f32_e32 v9, v9, v4
	v_cndmask_b32_e32 v10, 0, v10, vcc
	v_cmp_nlt_f32_e32 vcc, s1, v0
	v_add_f32_e32 v9, v9, v5
	v_cndmask_b32_e32 v0, v6, v10, vcc
	v_ldexp_f32 v10, v11, v12
	v_cmp_ngt_f32_e32 vcc, s0, v2
	v_add_f32_e32 v9, v9, v0
	v_cndmask_b32_e32 v10, 0, v10, vcc
	v_cmp_nlt_f32_e32 vcc, s1, v2
	v_add_f32_e32 v9, v9, v1
	v_cndmask_b32_e32 v10, v6, v10, vcc
	v_add_f32_e32 v2, v9, v10
	ds_bpermute_b32 v6, v22, v2
	s_movk_i32 s2, 0x1f8
	v_lshlrev_b32_e32 v28, 3, v21
	s_waitcnt lgkmcnt(0)
	v_add_f32_e32 v2, v2, v6
	ds_bpermute_b32 v6, v23, v2
	s_waitcnt lgkmcnt(0)
	v_add_f32_e32 v2, v2, v6
	ds_bpermute_b32 v6, v24, v2
	;; [unrolled: 3-line block ×5, first 2 shown]
	s_waitcnt lgkmcnt(0)
	v_add_f32_e32 v2, v2, v6
	v_div_scale_f32 v6, s[0:1], v2, v2, 1.0
	v_rcp_f32_e32 v9, v6
	s_load_dwordx2 s[0:1], s[4:5], 0x40
	v_fma_f32 v11, -v6, v9, 1.0
	v_fmac_f32_e32 v9, v11, v9
	v_div_scale_f32 v11, vcc, 1.0, v2, 1.0
	v_mul_f32_e32 v12, v11, v9
	v_fma_f32 v13, -v6, v12, v11
	v_fmac_f32_e32 v12, v13, v9
	v_fma_f32 v6, -v6, v12, v11
	v_div_fmas_f32 v6, v6, v9, v12
	v_div_fixup_f32 v2, v6, v2, 1.0
	v_mul_f32_e32 v3, v2, v3
	v_mul_f32_e32 v11, v2, v7
	v_cmp_class_f32_e64 vcc, v3, s2
	v_mul_f32_e32 v12, v2, v8
	v_pk_mul_f32 v[8:9], v[2:3], v[0:1] op_sel_hi:[0,1]
	v_cndmask_b32_e32 v0, 0, v3, vcc
	v_cmp_class_f32_e64 vcc, v11, s2
	v_pk_mul_f32 v[6:7], v[2:3], v[4:5] op_sel_hi:[0,1]
	v_cndmask_b32_e32 v1, 0, v11, vcc
	v_cmp_class_f32_e64 vcc, v12, s2
	v_mov_b32_e32 v5, 0x207
	v_mul_f32_e32 v10, v2, v10
	v_cndmask_b32_e32 v2, 0, v12, vcc
	v_cmp_class_f32_e32 vcc, v7, v5
	v_cndmask_b32_e64 v4, v7, 0, vcc
	v_cmp_class_f32_e32 vcc, v6, v5
	v_cndmask_b32_e64 v3, v6, 0, vcc
	;; [unrolled: 2-line block ×4, first 2 shown]
	v_cmp_class_f32_e64 vcc, v10, s2
	s_waitcnt lgkmcnt(0)
	s_cmp_eq_u64 s[0:1], 0
	v_cndmask_b32_e32 v7, 0, v10, vcc
	s_cbranch_scc1 .LBB125_31
; %bb.4:
	v_lshlrev_b32_e32 v16, 2, v28
	global_load_dwordx4 v[8:11], v16, s[0:1]
	global_load_dwordx4 v[12:15], v16, s[0:1] offset:16
	s_waitcnt vmcnt(1)
	v_pk_add_f32 v[8:9], v[8:9], v[0:1]
	v_pk_add_f32 v[10:11], v[10:11], v[2:3]
	s_waitcnt vmcnt(0)
	v_pk_add_f32 v[12:13], v[12:13], v[4:5]
	v_pk_add_f32 v[14:15], v[14:15], v[6:7]
	s_cbranch_execnz .LBB125_6
.LBB125_5:
	v_pk_mov_b32 v[14:15], v[6:7], v[6:7] op_sel:[0,1]
	v_pk_mov_b32 v[12:13], v[4:5], v[4:5] op_sel:[0,1]
	;; [unrolled: 1-line block ×4, first 2 shown]
.LBB125_6:
	s_load_dwordx4 s[8:11], s[4:5], 0x30
	s_mov_b32 s25, 0
	v_cmp_eq_u32_e64 s[0:1], 0, v21
	s_waitcnt lgkmcnt(0)
	s_bitcmp1_b32 s11, 0
	s_cselect_b64 vcc, -1, 0
	s_cmp_gt_i32 s8, 0
	s_cselect_b64 s[20:21], -1, 0
	s_cmp_lt_i32 s8, 1
	s_cbranch_scc1 .LBB125_32
; %bb.7:
	s_load_dwordx4 s[12:15], s[4:5], 0x20
	v_mul_lo_u32 v30, v17, s8
	v_mov_b32_e32 v29, 0
	v_mov_b32_e32 v31, 0x200
	;; [unrolled: 1-line block ×4, first 2 shown]
	s_branch .LBB125_10
.LBB125_8:                              ;   in Loop: Header=BB125_10 Depth=1
	s_or_b64 exec, exec, s[4:5]
.LBB125_9:                              ;   in Loop: Header=BB125_10 Depth=1
	s_cmp_eq_u32 s8, s25
	v_add_u32_e32 v33, s24, v33
	s_cbranch_scc1 .LBB125_33
.LBB125_10:                             ; =>This Inner Loop Header: Depth=1
	v_cmp_gt_f32_e64 s[2:3], v9, v8
	v_cndmask_b32_e64 v16, v8, v9, s[2:3]
	v_cndmask_b32_e64 v18, v0, v1, s[2:3]
	s_waitcnt lgkmcnt(0)
	v_cndmask_b32_e64 v19, 0, 1, s[2:3]
	v_cmp_gt_f32_e64 s[2:3], v10, v16
	v_cndmask_b32_e64 v16, v16, v10, s[2:3]
	v_cndmask_b32_e64 v18, v18, v2, s[2:3]
	v_cndmask_b32_e64 v19, v19, 2, s[2:3]
	v_cmp_gt_f32_e64 s[2:3], v11, v16
	v_cndmask_b32_e64 v16, v16, v11, s[2:3]
	v_cndmask_b32_e64 v18, v18, v3, s[2:3]
	;; [unrolled: 4-line block ×6, first 2 shown]
	v_or_b32_e32 v19, v28, v19
	ds_bpermute_b32 v20, v22, v16
	ds_bpermute_b32 v34, v22, v19
	v_cndmask_b32_e64 v18, v18, v7, s[2:3]
	ds_bpermute_b32 v36, v22, v18
	s_waitcnt lgkmcnt(0)
	v_cmp_eq_f32_e64 s[4:5], v16, v20
	v_cmp_lt_i32_e64 s[6:7], v34, v19
	v_cmp_lt_f32_e64 s[2:3], v16, v20
	s_and_b64 s[4:5], s[4:5], s[6:7]
	s_or_b64 s[2:3], s[2:3], s[4:5]
	v_cndmask_b32_e64 v35, v19, v34, s[2:3]
	v_cndmask_b32_e64 v34, v16, v20, s[2:3]
	;; [unrolled: 1-line block ×3, first 2 shown]
	ds_bpermute_b32 v37, v23, v34
	ds_bpermute_b32 v20, v23, v16
	;; [unrolled: 1-line block ×3, first 2 shown]
                                        ; implicit-def: $vgpr18_vgpr19
	s_waitcnt lgkmcnt(2)
	v_cmp_lt_f32_e64 s[6:7], v34, v37
	v_cmp_nlt_f32_e64 s[2:3], v34, v37
	s_and_saveexec_b64 s[22:23], s[2:3]
	s_cbranch_execz .LBB125_12
; %bb.11:                               ;   in Loop: Header=BB125_10 Depth=1
	v_cmp_eq_f32_e64 s[2:3], v34, v37
	s_waitcnt lgkmcnt(0)
	v_cmp_lt_i32_e64 s[4:5], v36, v35
	s_and_b64 s[2:3], s[2:3], s[4:5]
	s_andn2_b64 s[4:5], s[6:7], exec
	s_and_b64 s[2:3], s[2:3], exec
	s_or_b64 s[6:7], s[4:5], s[2:3]
	v_pk_mov_b32 v[18:19], v[16:17], v[16:17] op_sel:[0,1]
.LBB125_12:                             ;   in Loop: Header=BB125_10 Depth=1
	s_or_b64 exec, exec, s[22:23]
	s_and_saveexec_b64 s[2:3], s[6:7]
	s_cbranch_execz .LBB125_14
; %bb.13:                               ;   in Loop: Header=BB125_10 Depth=1
	v_mov_b32_e32 v34, v37
	s_waitcnt lgkmcnt(1)
	v_mov_b32_e32 v16, v20
	s_waitcnt lgkmcnt(0)
	v_mov_b32_e32 v35, v36
	v_pk_mov_b32 v[18:19], v[20:21], v[20:21] op_sel:[0,1]
.LBB125_14:                             ;   in Loop: Header=BB125_10 Depth=1
	s_or_b64 exec, exec, s[2:3]
	s_waitcnt lgkmcnt(0)
	ds_bpermute_b32 v36, v24, v34
	ds_bpermute_b32 v20, v24, v16
	;; [unrolled: 1-line block ×3, first 2 shown]
	s_waitcnt lgkmcnt(2)
	v_cmp_lt_f32_e64 s[6:7], v34, v36
	v_cmp_nlt_f32_e64 s[2:3], v34, v36
	s_and_saveexec_b64 s[22:23], s[2:3]
	s_cbranch_execz .LBB125_16
; %bb.15:                               ;   in Loop: Header=BB125_10 Depth=1
	v_cmp_eq_f32_e64 s[2:3], v34, v36
	s_waitcnt lgkmcnt(0)
	v_cmp_lt_i32_e64 s[4:5], v19, v35
	s_and_b64 s[2:3], s[2:3], s[4:5]
	s_andn2_b64 s[4:5], s[6:7], exec
	s_and_b64 s[2:3], s[2:3], exec
	s_or_b64 s[6:7], s[4:5], s[2:3]
.LBB125_16:                             ;   in Loop: Header=BB125_10 Depth=1
	s_or_b64 exec, exec, s[22:23]
	s_and_saveexec_b64 s[2:3], s[6:7]
	s_cbranch_execz .LBB125_18
; %bb.17:                               ;   in Loop: Header=BB125_10 Depth=1
	v_mov_b32_e32 v34, v36
	s_waitcnt lgkmcnt(1)
	v_mov_b32_e32 v16, v20
	s_waitcnt lgkmcnt(0)
	v_mov_b32_e32 v35, v19
	v_pk_mov_b32 v[18:19], v[20:21], v[20:21] op_sel:[0,1]
.LBB125_18:                             ;   in Loop: Header=BB125_10 Depth=1
	s_or_b64 exec, exec, s[2:3]
	ds_bpermute_b32 v36, v25, v34
	s_waitcnt lgkmcnt(2)
	ds_bpermute_b32 v20, v25, v16
	s_waitcnt lgkmcnt(2)
	;; [unrolled: 2-line block ×3, first 2 shown]
	v_cmp_lt_f32_e64 s[6:7], v34, v36
	v_cmp_nlt_f32_e64 s[2:3], v34, v36
	s_and_saveexec_b64 s[22:23], s[2:3]
	s_cbranch_execz .LBB125_20
; %bb.19:                               ;   in Loop: Header=BB125_10 Depth=1
	v_cmp_eq_f32_e64 s[2:3], v34, v36
	s_waitcnt lgkmcnt(0)
	v_cmp_lt_i32_e64 s[4:5], v19, v35
	s_and_b64 s[2:3], s[2:3], s[4:5]
	s_andn2_b64 s[4:5], s[6:7], exec
	s_and_b64 s[2:3], s[2:3], exec
	s_or_b64 s[6:7], s[4:5], s[2:3]
.LBB125_20:                             ;   in Loop: Header=BB125_10 Depth=1
	s_or_b64 exec, exec, s[22:23]
	s_and_saveexec_b64 s[2:3], s[6:7]
	s_cbranch_execz .LBB125_22
; %bb.21:                               ;   in Loop: Header=BB125_10 Depth=1
	v_mov_b32_e32 v34, v36
	s_waitcnt lgkmcnt(1)
	v_mov_b32_e32 v16, v20
	s_waitcnt lgkmcnt(0)
	v_mov_b32_e32 v35, v19
	v_pk_mov_b32 v[18:19], v[20:21], v[20:21] op_sel:[0,1]
.LBB125_22:                             ;   in Loop: Header=BB125_10 Depth=1
	s_or_b64 exec, exec, s[2:3]
	ds_bpermute_b32 v36, v26, v34
	s_waitcnt lgkmcnt(2)
	ds_bpermute_b32 v20, v26, v16
	s_waitcnt lgkmcnt(2)
	;; [unrolled: 2-line block ×3, first 2 shown]
	v_cmp_lt_f32_e64 s[6:7], v34, v36
	v_cmp_nlt_f32_e64 s[2:3], v34, v36
	s_and_saveexec_b64 s[22:23], s[2:3]
	s_cbranch_execz .LBB125_24
; %bb.23:                               ;   in Loop: Header=BB125_10 Depth=1
	v_cmp_eq_f32_e64 s[2:3], v34, v36
	s_waitcnt lgkmcnt(0)
	v_cmp_lt_i32_e64 s[4:5], v19, v35
	s_and_b64 s[2:3], s[2:3], s[4:5]
	s_andn2_b64 s[4:5], s[6:7], exec
	s_and_b64 s[2:3], s[2:3], exec
	s_or_b64 s[6:7], s[4:5], s[2:3]
.LBB125_24:                             ;   in Loop: Header=BB125_10 Depth=1
	s_or_b64 exec, exec, s[22:23]
	s_and_saveexec_b64 s[2:3], s[6:7]
	s_cbranch_execz .LBB125_26
; %bb.25:                               ;   in Loop: Header=BB125_10 Depth=1
	v_mov_b32_e32 v34, v36
	s_waitcnt lgkmcnt(1)
	v_mov_b32_e32 v16, v20
	s_waitcnt lgkmcnt(0)
	v_mov_b32_e32 v35, v19
	v_pk_mov_b32 v[18:19], v[20:21], v[20:21] op_sel:[0,1]
.LBB125_26:                             ;   in Loop: Header=BB125_10 Depth=1
	s_or_b64 exec, exec, s[2:3]
	s_waitcnt lgkmcnt(1)
	ds_bpermute_b32 v20, v27, v34
	ds_bpermute_b32 v36, v27, v35
	s_waitcnt lgkmcnt(2)
	ds_bpermute_b32 v19, v27, v16
	s_waitcnt lgkmcnt(2)
	v_cmp_eq_f32_e64 s[4:5], v34, v20
	s_waitcnt lgkmcnt(1)
	v_cmp_lt_i32_e64 s[6:7], v36, v35
	v_cmp_lt_f32_e64 s[2:3], v34, v20
	s_and_b64 s[4:5], s[4:5], s[6:7]
	s_or_b64 s[2:3], s[2:3], s[4:5]
	v_cndmask_b32_e64 v16, v35, v36, s[2:3]
	s_and_saveexec_b64 s[6:7], s[0:1]
	s_cbranch_execnz .LBB125_28
; %bb.27:                               ;   in Loop: Header=BB125_10 Depth=1
	s_or_b64 exec, exec, s[6:7]
	s_add_i32 s25, s25, 1
	s_cmp_ge_i32 s25, s8
	s_cbranch_scc1 .LBB125_9
	s_branch .LBB125_29
.LBB125_28:                             ;   in Loop: Header=BB125_10 Depth=1
	s_waitcnt lgkmcnt(0)
	v_cndmask_b32_e64 v20, v18, v19, s[2:3]
	v_add_u32_e32 v18, s25, v30
	v_ashrrev_i32_e32 v19, 31, v18
	v_cmp_le_i32_e64 s[2:3], s9, v16
	v_cmp_gt_i32_e64 s[4:5], s10, v16
	v_lshlrev_b64 v[34:35], 2, v[18:19]
	s_and_b64 s[4:5], s[2:3], s[4:5]
	v_mov_b32_e32 v37, s17
	v_add_co_u32_e64 v36, s[2:3], s16, v34
	v_addc_co_u32_e64 v37, s[2:3], v37, v35, s[2:3]
	global_store_dword v[36:37], v20, off
	v_subrev_u32_e32 v36, s9, v16
	v_ashrrev_i32_e32 v37, 31, v36
	s_and_b64 s[2:3], s[18:19], s[4:5]
	v_lshlrev_b64 v[18:19], 3, v[18:19]
	v_cndmask_b32_e64 v37, 0, v37, s[2:3]
	v_cndmask_b32_e64 v36, v31, v36, s[2:3]
	v_mov_b32_e32 v38, s13
	v_add_co_u32_e64 v18, s[2:3], s12, v18
	v_addc_co_u32_e64 v19, s[2:3], v38, v19, s[2:3]
	global_store_dwordx2 v[18:19], v[36:37], off
	v_mov_b32_e32 v19, s15
	v_add_co_u32_e64 v18, s[2:3], s14, v34
	v_addc_co_u32_e64 v19, s[2:3], v19, v35, s[2:3]
	global_store_dword v[18:19], v33, off
	v_add_f32_e32 v18, v29, v20
	v_cndmask_b32_e32 v29, v29, v18, vcc
	s_or_b64 exec, exec, s[6:7]
	s_add_i32 s25, s25, 1
	s_cmp_ge_i32 s25, s8
	s_cbranch_scc1 .LBB125_9
.LBB125_29:                             ;   in Loop: Header=BB125_10 Depth=1
	s_waitcnt lgkmcnt(0)
	v_ashrrev_i32_e32 v19, 31, v16
	v_lshrrev_b32_e32 v18, 29, v19
	v_add_u32_e32 v20, v16, v18
	v_ashrrev_i32_e32 v18, 3, v20
	v_ashrrev_i32_e32 v20, 31, v20
	v_lshrrev_b32_e32 v20, 26, v20
	v_add_u32_e32 v20, v18, v20
	v_and_b32_e32 v20, 0xffffffc0, v20
	v_sub_u32_e32 v20, v18, v20
	v_cmp_eq_u32_e64 s[2:3], v21, v20
	s_and_saveexec_b64 s[4:5], s[2:3]
	s_cbranch_execz .LBB125_8
; %bb.30:                               ;   in Loop: Header=BB125_10 Depth=1
	v_lshrrev_b32_e32 v19, 23, v19
	v_add_u32_e32 v19, v16, v19
	v_lshlrev_b32_e32 v18, 3, v18
	v_ashrrev_i32_e32 v19, 9, v19
	v_sub_u32_e32 v16, v16, v18
	v_lshl_add_u32 v16, v19, 3, v16
	v_cmp_ne_u32_e64 s[2:3], 7, v16
	v_cndmask_b32_e64 v15, v32, v15, s[2:3]
	v_cmp_ne_u32_e64 s[2:3], 6, v16
	v_cndmask_b32_e64 v14, v32, v14, s[2:3]
	;; [unrolled: 2-line block ×8, first 2 shown]
	s_branch .LBB125_8
.LBB125_31:
                                        ; implicit-def: $vgpr8_vgpr9_vgpr10_vgpr11_vgpr12_vgpr13_vgpr14_vgpr15
	s_andn2_b64 vcc, exec, s[6:7]
	s_cbranch_vccz .LBB125_5
	s_branch .LBB125_6
.LBB125_32:
	v_mov_b32_e32 v29, 0
.LBB125_33:
	v_cmp_eq_u32_e64 s[0:1], 0, v21
	s_and_b64 s[0:1], s[0:1], vcc
	s_and_b64 exec, exec, s[0:1]
	s_cbranch_execz .LBB125_42
; %bb.34:
	s_andn2_b64 vcc, exec, s[20:21]
	s_cbranch_vccnz .LBB125_42
; %bb.35:
	v_cmp_lt_f32_e32 vcc, 0, v29
	s_mov_b32 s2, 0
	v_cndmask_b32_e32 v0, 1.0, v29, vcc
	v_mul_lo_u32 v4, v17, s8
	s_cmp_eq_u32 s8, 1
	s_mov_b64 s[0:1], -1
	s_cbranch_scc1 .LBB125_39
; %bb.36:
	s_and_b32 s2, s8, 0x7ffffffe
	v_mov_b32_e32 v1, v0
	v_mov_b32_e32 v5, s17
	s_mov_b32 s3, s2
	v_mov_b32_e32 v2, v4
.LBB125_37:                             ; =>This Inner Loop Header: Depth=1
	v_ashrrev_i32_e32 v3, 31, v2
	v_lshlrev_b64 v[6:7], 2, v[2:3]
	v_add_co_u32_e32 v6, vcc, s16, v6
	v_addc_co_u32_e32 v7, vcc, v5, v7, vcc
	global_load_dwordx2 v[8:9], v[6:7], off
	s_add_i32 s3, s3, -2
	s_cmp_lg_u32 s3, 0
	v_add_u32_e32 v2, 2, v2
	s_waitcnt vmcnt(0)
	v_div_scale_f32 v3, s[0:1], v1, v1, v9
	v_div_scale_f32 v11, s[0:1], v0, v0, v8
	v_rcp_f32_e32 v12, v3
	v_rcp_f32_e32 v13, v11
	v_div_scale_f32 v10, vcc, v9, v1, v9
	v_fma_f32 v15, -v3, v12, 1.0
	v_fma_f32 v16, -v11, v13, 1.0
	v_fmac_f32_e32 v12, v15, v12
	v_div_scale_f32 v14, s[0:1], v8, v0, v8
	v_fmac_f32_e32 v13, v16, v13
	v_mul_f32_e32 v15, v10, v12
	v_mul_f32_e32 v16, v14, v13
	v_fma_f32 v17, -v3, v15, v10
	v_fma_f32 v18, -v11, v16, v14
	v_fmac_f32_e32 v15, v17, v12
	v_fmac_f32_e32 v16, v18, v13
	v_fma_f32 v3, -v3, v15, v10
	v_fma_f32 v10, -v11, v16, v14
	v_div_fmas_f32 v3, v3, v12, v15
	s_mov_b64 vcc, s[0:1]
	v_div_fixup_f32 v9, v3, v1, v9
	v_div_fmas_f32 v3, v10, v13, v16
	v_div_fixup_f32 v8, v3, v0, v8
	global_store_dwordx2 v[6:7], v[8:9], off
	s_cbranch_scc1 .LBB125_37
; %bb.38:
	s_cmp_lg_u32 s2, s8
	s_cselect_b64 s[0:1], -1, 0
.LBB125_39:
	s_and_b64 vcc, exec, s[0:1]
	s_cbranch_vccz .LBB125_42
; %bb.40:
	v_ashrrev_i32_e32 v1, 31, v4
	v_add_co_u32_e32 v2, vcc, s2, v4
	v_addc_co_u32_e32 v3, vcc, 0, v1, vcc
	v_lshlrev_b64 v[2:3], 2, v[2:3]
	v_mov_b32_e32 v1, s17
	v_add_co_u32_e32 v2, vcc, s16, v2
	s_sub_i32 s0, s8, s2
	v_addc_co_u32_e32 v3, vcc, v1, v3, vcc
.LBB125_41:                             ; =>This Inner Loop Header: Depth=1
	global_load_dword v1, v[2:3], off
	s_add_i32 s0, s0, -1
	s_cmp_lg_u32 s0, 0
	s_waitcnt vmcnt(0)
	v_div_scale_f32 v4, s[2:3], v0, v0, v1
	v_rcp_f32_e32 v5, v4
	v_div_scale_f32 v6, vcc, v1, v0, v1
	v_fma_f32 v7, -v4, v5, 1.0
	v_fmac_f32_e32 v5, v7, v5
	v_mul_f32_e32 v7, v6, v5
	v_fma_f32 v8, -v4, v7, v6
	v_fmac_f32_e32 v7, v8, v5
	v_fma_f32 v4, -v4, v7, v6
	v_div_fmas_f32 v4, v4, v5, v7
	v_div_fixup_f32 v1, v4, v0, v1
	global_store_dword v[2:3], v1, off
	v_add_co_u32_e32 v2, vcc, 4, v2
	v_addc_co_u32_e32 v3, vcc, 0, v3, vcc
	s_cbranch_scc1 .LBB125_41
.LBB125_42:
	s_endpgm
	.section	.rodata,"a",@progbits
	.p2align	6, 0x0
	.amdhsa_kernel _ZN4vllm3moe10topkGatingILi8ELi512ELi4ELi16ELi64El6__halfLNS0_11ScoringFuncE0EEEvPKT5_PKbPfiPT4_PiiiibPKf
		.amdhsa_group_segment_fixed_size 0
		.amdhsa_private_segment_fixed_size 0
		.amdhsa_kernarg_size 72
		.amdhsa_user_sgpr_count 6
		.amdhsa_user_sgpr_private_segment_buffer 1
		.amdhsa_user_sgpr_dispatch_ptr 0
		.amdhsa_user_sgpr_queue_ptr 0
		.amdhsa_user_sgpr_kernarg_segment_ptr 1
		.amdhsa_user_sgpr_dispatch_id 0
		.amdhsa_user_sgpr_flat_scratch_init 0
		.amdhsa_user_sgpr_kernarg_preload_length 0
		.amdhsa_user_sgpr_kernarg_preload_offset 0
		.amdhsa_user_sgpr_private_segment_size 0
		.amdhsa_uses_dynamic_stack 0
		.amdhsa_system_sgpr_private_segment_wavefront_offset 0
		.amdhsa_system_sgpr_workgroup_id_x 1
		.amdhsa_system_sgpr_workgroup_id_y 0
		.amdhsa_system_sgpr_workgroup_id_z 0
		.amdhsa_system_sgpr_workgroup_info 0
		.amdhsa_system_vgpr_workitem_id 1
		.amdhsa_next_free_vgpr 39
		.amdhsa_next_free_sgpr 26
		.amdhsa_accum_offset 40
		.amdhsa_reserve_vcc 1
		.amdhsa_reserve_flat_scratch 0
		.amdhsa_float_round_mode_32 0
		.amdhsa_float_round_mode_16_64 0
		.amdhsa_float_denorm_mode_32 3
		.amdhsa_float_denorm_mode_16_64 3
		.amdhsa_dx10_clamp 1
		.amdhsa_ieee_mode 1
		.amdhsa_fp16_overflow 0
		.amdhsa_tg_split 0
		.amdhsa_exception_fp_ieee_invalid_op 0
		.amdhsa_exception_fp_denorm_src 0
		.amdhsa_exception_fp_ieee_div_zero 0
		.amdhsa_exception_fp_ieee_overflow 0
		.amdhsa_exception_fp_ieee_underflow 0
		.amdhsa_exception_fp_ieee_inexact 0
		.amdhsa_exception_int_div_zero 0
	.end_amdhsa_kernel
	.section	.text._ZN4vllm3moe10topkGatingILi8ELi512ELi4ELi16ELi64El6__halfLNS0_11ScoringFuncE0EEEvPKT5_PKbPfiPT4_PiiiibPKf,"axG",@progbits,_ZN4vllm3moe10topkGatingILi8ELi512ELi4ELi16ELi64El6__halfLNS0_11ScoringFuncE0EEEvPKT5_PKbPfiPT4_PiiiibPKf,comdat
.Lfunc_end125:
	.size	_ZN4vllm3moe10topkGatingILi8ELi512ELi4ELi16ELi64El6__halfLNS0_11ScoringFuncE0EEEvPKT5_PKbPfiPT4_PiiiibPKf, .Lfunc_end125-_ZN4vllm3moe10topkGatingILi8ELi512ELi4ELi16ELi64El6__halfLNS0_11ScoringFuncE0EEEvPKT5_PKbPfiPT4_PiiiibPKf
                                        ; -- End function
	.section	.AMDGPU.csdata,"",@progbits
; Kernel info:
; codeLenInByte = 3544
; NumSgprs: 30
; NumVgprs: 39
; NumAgprs: 0
; TotalNumVgprs: 39
; ScratchSize: 0
; MemoryBound: 0
; FloatMode: 240
; IeeeMode: 1
; LDSByteSize: 0 bytes/workgroup (compile time only)
; SGPRBlocks: 3
; VGPRBlocks: 4
; NumSGPRsForWavesPerEU: 30
; NumVGPRsForWavesPerEU: 39
; AccumOffset: 40
; Occupancy: 8
; WaveLimiterHint : 0
; COMPUTE_PGM_RSRC2:SCRATCH_EN: 0
; COMPUTE_PGM_RSRC2:USER_SGPR: 6
; COMPUTE_PGM_RSRC2:TRAP_HANDLER: 0
; COMPUTE_PGM_RSRC2:TGID_X_EN: 1
; COMPUTE_PGM_RSRC2:TGID_Y_EN: 0
; COMPUTE_PGM_RSRC2:TGID_Z_EN: 0
; COMPUTE_PGM_RSRC2:TIDIG_COMP_CNT: 1
; COMPUTE_PGM_RSRC3_GFX90A:ACCUM_OFFSET: 9
; COMPUTE_PGM_RSRC3_GFX90A:TG_SPLIT: 0
	.section	.text._ZN4vllm3moe10topkGatingILi16ELi512ELi4ELi16ELi32El6__halfLNS0_11ScoringFuncE0EEEvPKT5_PKbPfiPT4_PiiiibPKf,"axG",@progbits,_ZN4vllm3moe10topkGatingILi16ELi512ELi4ELi16ELi32El6__halfLNS0_11ScoringFuncE0EEEvPKT5_PKbPfiPT4_PiiiibPKf,comdat
	.protected	_ZN4vllm3moe10topkGatingILi16ELi512ELi4ELi16ELi32El6__halfLNS0_11ScoringFuncE0EEEvPKT5_PKbPfiPT4_PiiiibPKf ; -- Begin function _ZN4vllm3moe10topkGatingILi16ELi512ELi4ELi16ELi32El6__halfLNS0_11ScoringFuncE0EEEvPKT5_PKbPfiPT4_PiiiibPKf
	.globl	_ZN4vllm3moe10topkGatingILi16ELi512ELi4ELi16ELi32El6__halfLNS0_11ScoringFuncE0EEEvPKT5_PKbPfiPT4_PiiiibPKf
	.p2align	8
	.type	_ZN4vllm3moe10topkGatingILi16ELi512ELi4ELi16ELi32El6__halfLNS0_11ScoringFuncE0EEEvPKT5_PKbPfiPT4_PiiiibPKf,@function
_ZN4vllm3moe10topkGatingILi16ELi512ELi4ELi16ELi32El6__halfLNS0_11ScoringFuncE0EEEvPKT5_PKbPfiPT4_PiiiibPKf: ; @_ZN4vllm3moe10topkGatingILi16ELi512ELi4ELi16ELi32El6__halfLNS0_11ScoringFuncE0EEEvPKT5_PKbPfiPT4_PiiiibPKf
; %bb.0:
	s_load_dword s24, s[4:5], 0x18
	v_and_b32_e32 v1, 0x3ff, v0
	s_lshl_b32 s0, s6, 2
	v_lshrrev_b32_e32 v2, 5, v1
	v_bfe_u32 v0, v0, 10, 10
	v_add3_u32 v33, s0, v0, v2
	s_waitcnt lgkmcnt(0)
	v_cmp_gt_i32_e32 vcc, s24, v33
	s_and_saveexec_b64 s[0:1], vcc
	s_cbranch_execz .LBB126_38
; %bb.1:
	s_load_dwordx4 s[0:3], s[4:5], 0x0
	s_load_dwordx2 s[16:17], s[4:5], 0x10
	s_mov_b64 s[6:7], -1
	s_mov_b64 s[18:19], -1
	s_waitcnt lgkmcnt(0)
	s_cmp_eq_u64 s[2:3], 0
	s_cbranch_scc1 .LBB126_3
; %bb.2:
	v_ashrrev_i32_e32 v0, 31, v33
	v_mov_b32_e32 v3, s3
	v_add_co_u32_e32 v2, vcc, s2, v33
	v_addc_co_u32_e32 v3, vcc, v3, v0, vcc
	global_load_ubyte v0, v[2:3], off
	s_waitcnt vmcnt(0)
	v_and_b32_e32 v0, 1, v0
	v_cmp_eq_u32_e32 vcc, 1, v0
	s_xor_b64 s[2:3], vcc, -1
	s_orn2_b64 s[18:19], s[2:3], exec
.LBB126_3:
	v_lshlrev_b32_e32 v2, 9, v33
	v_ashrrev_i32_e32 v3, 31, v2
	v_lshlrev_b64 v[2:3], 1, v[2:3]
	v_mov_b32_e32 v0, s1
	v_add_co_u32_e32 v2, vcc, s0, v2
	v_and_b32_e32 v37, 31, v1
	v_addc_co_u32_e32 v0, vcc, v0, v3, vcc
	v_lshlrev_b32_e32 v1, 4, v37
	v_add_co_u32_e32 v8, vcc, v2, v1
	v_addc_co_u32_e32 v9, vcc, 0, v0, vcc
	global_load_dwordx4 v[0:3], v[8:9], off
	global_load_dwordx4 v[4:7], v[8:9], off offset:512
	v_mbcnt_lo_u32_b32 v8, -1, 0
	v_mbcnt_hi_u32_b32 v14, -1, v8
	v_and_b32_e32 v8, 0x60, v14
	v_xor_b32_e32 v9, 16, v14
	v_add_u32_e32 v15, 32, v8
	v_cmp_lt_i32_e32 vcc, v9, v15
	v_cndmask_b32_e32 v8, v14, v9, vcc
	v_lshlrev_b32_e32 v38, 2, v8
	s_mov_b32 s2, 0x3fb8aa3b
	s_mov_b32 s0, 0xc2ce8ed0
	;; [unrolled: 1-line block ×3, first 2 shown]
	v_lshlrev_b32_e32 v43, 3, v37
	s_waitcnt vmcnt(1)
	v_cvt_f32_f16_e32 v16, v0
	v_cvt_f32_f16_sdwa v17, v0 dst_sel:DWORD dst_unused:UNUSED_PAD src0_sel:WORD_1
	v_cvt_f32_f16_e32 v18, v1
	v_cvt_f32_f16_sdwa v8, v1 dst_sel:DWORD dst_unused:UNUSED_PAD src0_sel:WORD_1
	;; [unrolled: 2-line block ×4, first 2 shown]
	s_waitcnt vmcnt(0)
	v_cvt_f32_f16_sdwa v19, v4 dst_sel:DWORD dst_unused:UNUSED_PAD src0_sel:WORD_1
	v_cvt_f32_f16_e32 v13, v4
	v_max_f32_e32 v4, v16, v17
	v_cvt_f32_f16_e32 v20, v5
	v_cvt_f32_f16_sdwa v5, v5 dst_sel:DWORD dst_unused:UNUSED_PAD src0_sel:WORD_1
	v_max3_f32 v4, v4, v18, v8
	v_cvt_f32_f16_e32 v2, v6
	v_cvt_f32_f16_sdwa v3, v6 dst_sel:DWORD dst_unused:UNUSED_PAD src0_sel:WORD_1
	v_max3_f32 v4, v4, v9, v10
	;; [unrolled: 3-line block ×3, first 2 shown]
	v_max3_f32 v4, v4, v13, v19
	v_max3_f32 v4, v4, v20, v5
	;; [unrolled: 1-line block ×4, first 2 shown]
	ds_bpermute_b32 v6, v38, v4
	v_xor_b32_e32 v7, 8, v14
	v_cmp_lt_i32_e32 vcc, v7, v15
	v_cndmask_b32_e32 v7, v14, v7, vcc
	v_lshlrev_b32_e32 v39, 2, v7
	s_waitcnt lgkmcnt(0)
	v_max_f32_e32 v6, v6, v6
	v_max_f32_e32 v4, v4, v6
	ds_bpermute_b32 v6, v39, v4
	v_xor_b32_e32 v7, 4, v14
	v_cmp_lt_i32_e32 vcc, v7, v15
	v_cndmask_b32_e32 v7, v14, v7, vcc
	v_lshlrev_b32_e32 v40, 2, v7
	s_waitcnt lgkmcnt(0)
	v_max_f32_e32 v6, v6, v6
	v_max_f32_e32 v4, v4, v6
	;; [unrolled: 8-line block ×4, first 2 shown]
	ds_bpermute_b32 v6, v42, v4
	v_mov_b32_e32 v14, 0x7f800000
	s_waitcnt lgkmcnt(0)
	v_max_f32_e32 v6, v6, v6
	v_max_f32_e32 v4, v4, v6
	v_sub_f32_e32 v15, v16, v4
	v_sub_f32_e32 v16, v17, v4
	v_pk_add_f32 v[6:7], v[8:9], v[4:5] op_sel_hi:[1,0] neg_lo:[0,1] neg_hi:[0,1]
	v_mul_f32_e32 v8, 0x3fb8aa3b, v15
	v_sub_f32_e32 v17, v18, v4
	v_mul_f32_e32 v9, 0x3fb8aa3b, v16
	v_fma_f32 v23, v15, s2, -v8
	v_rndne_f32_e32 v24, v8
	v_mul_f32_e32 v18, 0x3fb8aa3b, v17
	v_fma_f32 v25, v16, s2, -v9
	v_rndne_f32_e32 v26, v9
	v_fmac_f32_e32 v23, 0x32a5705f, v15
	v_sub_f32_e32 v8, v8, v24
	v_fma_f32 v27, v17, s2, -v18
	v_rndne_f32_e32 v28, v18
	v_fmac_f32_e32 v25, 0x32a5705f, v16
	v_sub_f32_e32 v9, v9, v26
	v_add_f32_e32 v8, v8, v23
	v_cvt_i32_f32_e32 v24, v24
	v_fmac_f32_e32 v27, 0x32a5705f, v17
	v_sub_f32_e32 v18, v18, v28
	v_add_f32_e32 v9, v9, v25
	v_exp_f32_e32 v8, v8
	v_cvt_i32_f32_e32 v26, v26
	v_add_f32_e32 v18, v18, v27
	v_exp_f32_e32 v9, v9
	v_mul_f32_e32 v21, 0x3fb8aa3b, v7
	v_cvt_i32_f32_e32 v28, v28
	v_exp_f32_e32 v18, v18
	v_fma_f32 v29, v7, s2, -v21
	v_rndne_f32_e32 v30, v21
	v_mul_f32_e32 v22, 0x3fb8aa3b, v6
	v_fmac_f32_e32 v29, 0x32a5705f, v7
	v_sub_f32_e32 v21, v21, v30
	v_ldexp_f32 v8, v8, v24
	v_cmp_ngt_f32_e32 vcc, s0, v15
	v_fma_f32 v31, v6, s2, -v22
	v_rndne_f32_e32 v32, v22
	v_add_f32_e32 v21, v21, v29
	v_ldexp_f32 v9, v9, v26
	v_cndmask_b32_e32 v8, 0, v8, vcc
	v_cmp_ngt_f32_e32 vcc, s0, v16
	v_cvt_i32_f32_e32 v30, v30
	v_fmac_f32_e32 v31, 0x32a5705f, v6
	v_sub_f32_e32 v22, v22, v32
	v_exp_f32_e32 v21, v21
	v_ldexp_f32 v18, v18, v28
	v_cndmask_b32_e32 v9, 0, v9, vcc
	v_cmp_ngt_f32_e32 vcc, s0, v17
	v_add_f32_e32 v22, v22, v31
	v_cndmask_b32_e32 v18, 0, v18, vcc
	v_cmp_nlt_f32_e32 vcc, s1, v15
	v_cvt_i32_f32_e32 v32, v32
	v_exp_f32_e32 v22, v22
	v_cndmask_b32_e32 v15, v14, v8, vcc
	v_cmp_nlt_f32_e32 vcc, s1, v16
	v_cndmask_b32_e32 v16, v14, v9, vcc
	v_cmp_nlt_f32_e32 vcc, s1, v17
	v_ldexp_f32 v21, v21, v30
	v_cndmask_b32_e32 v17, v14, v18, vcc
	v_add_f32_e32 v8, v15, v16
	v_cmp_ngt_f32_e32 vcc, s0, v7
	v_add_f32_e32 v18, v8, v17
	v_cndmask_b32_e32 v8, 0, v21, vcc
	v_cmp_nlt_f32_e32 vcc, s1, v7
	v_cndmask_b32_e32 v7, v14, v8, vcc
	v_ldexp_f32 v8, v22, v32
	v_cmp_ngt_f32_e32 vcc, s0, v6
	v_cndmask_b32_e32 v21, 0, v8, vcc
	v_pk_add_f32 v[8:9], v[10:11], v[4:5] op_sel_hi:[1,0] neg_lo:[0,1] neg_hi:[0,1]
	v_mul_f32_e32 v10, 0x3fb8aa3b, v9
	v_fma_f32 v11, v9, s2, -v10
	v_rndne_f32_e32 v22, v10
	v_fmac_f32_e32 v11, 0x32a5705f, v9
	v_sub_f32_e32 v10, v10, v22
	v_add_f32_e32 v10, v10, v11
	v_exp_f32_e32 v10, v10
	v_cvt_i32_f32_e32 v11, v22
	v_cmp_nlt_f32_e32 vcc, s1, v6
	v_cndmask_b32_e32 v6, v14, v21, vcc
	v_cmp_ngt_f32_e32 vcc, s0, v9
	v_ldexp_f32 v10, v10, v11
	v_mul_f32_e32 v11, 0x3fb8aa3b, v8
	v_fma_f32 v21, v8, s2, -v11
	v_rndne_f32_e32 v22, v11
	v_fmac_f32_e32 v21, 0x32a5705f, v8
	v_sub_f32_e32 v11, v11, v22
	v_add_f32_e32 v11, v11, v21
	v_exp_f32_e32 v11, v11
	v_cvt_i32_f32_e32 v21, v22
	v_cndmask_b32_e32 v10, 0, v10, vcc
	v_cmp_nlt_f32_e32 vcc, s1, v9
	v_cndmask_b32_e32 v9, v14, v10, vcc
	v_ldexp_f32 v10, v11, v21
	v_cmp_ngt_f32_e32 vcc, s0, v8
	v_cndmask_b32_e32 v21, 0, v10, vcc
	v_pk_add_f32 v[10:11], v[12:13], v[4:5] op_sel_hi:[1,0] neg_lo:[0,1] neg_hi:[0,1]
	v_mul_f32_e32 v12, 0x3fb8aa3b, v11
	v_fma_f32 v13, v11, s2, -v12
	v_rndne_f32_e32 v22, v12
	v_fmac_f32_e32 v13, 0x32a5705f, v11
	v_sub_f32_e32 v12, v12, v22
	v_add_f32_e32 v12, v12, v13
	v_exp_f32_e32 v12, v12
	v_cvt_i32_f32_e32 v13, v22
	v_cmp_nlt_f32_e32 vcc, s1, v8
	v_cndmask_b32_e32 v8, v14, v21, vcc
	v_cmp_ngt_f32_e32 vcc, s0, v11
	v_ldexp_f32 v12, v12, v13
	v_mul_f32_e32 v13, 0x3fb8aa3b, v10
	v_fma_f32 v21, v10, s2, -v13
	v_rndne_f32_e32 v22, v13
	v_fmac_f32_e32 v21, 0x32a5705f, v10
	v_sub_f32_e32 v13, v13, v22
	v_add_f32_e32 v13, v13, v21
	v_exp_f32_e32 v13, v13
	v_cvt_i32_f32_e32 v21, v22
	v_cndmask_b32_e32 v12, 0, v12, vcc
	v_cmp_nlt_f32_e32 vcc, s1, v11
	v_cndmask_b32_e32 v11, v14, v12, vcc
	v_ldexp_f32 v12, v13, v21
	v_sub_f32_e32 v13, v19, v4
	v_mul_f32_e32 v19, 0x3fb8aa3b, v13
	v_fma_f32 v21, v13, s2, -v19
	v_rndne_f32_e32 v22, v19
	v_fmac_f32_e32 v21, 0x32a5705f, v13
	v_sub_f32_e32 v19, v19, v22
	v_add_f32_e32 v19, v19, v21
	v_add_f32_e32 v18, v18, v6
	v_exp_f32_e32 v19, v19
	v_cvt_i32_f32_e32 v21, v22
	v_add_f32_e32 v18, v18, v7
	v_cmp_ngt_f32_e32 vcc, s0, v10
	v_add_f32_e32 v18, v18, v8
	v_cndmask_b32_e32 v12, 0, v12, vcc
	v_cmp_nlt_f32_e32 vcc, s1, v10
	v_add_f32_e32 v18, v18, v9
	v_cndmask_b32_e32 v10, v14, v12, vcc
	v_add_f32_e32 v12, v18, v10
	v_ldexp_f32 v18, v19, v21
	v_sub_f32_e32 v19, v20, v4
	v_mul_f32_e32 v20, 0x3fb8aa3b, v19
	v_fma_f32 v21, v19, s2, -v20
	v_rndne_f32_e32 v22, v20
	v_fmac_f32_e32 v21, 0x32a5705f, v19
	v_sub_f32_e32 v20, v20, v22
	v_add_f32_e32 v20, v20, v21
	v_exp_f32_e32 v20, v20
	v_cvt_i32_f32_e32 v21, v22
	v_cmp_ngt_f32_e32 vcc, s0, v13
	v_cndmask_b32_e32 v18, 0, v18, vcc
	v_cmp_nlt_f32_e32 vcc, s1, v13
	v_sub_f32_e32 v5, v5, v4
	v_cndmask_b32_e32 v13, v14, v18, vcc
	v_ldexp_f32 v18, v20, v21
	v_mul_f32_e32 v20, 0x3fb8aa3b, v5
	v_fma_f32 v21, v5, s2, -v20
	v_rndne_f32_e32 v22, v20
	v_fmac_f32_e32 v21, 0x32a5705f, v5
	v_sub_f32_e32 v20, v20, v22
	v_add_f32_e32 v20, v20, v21
	v_exp_f32_e32 v20, v20
	v_cvt_i32_f32_e32 v21, v22
	v_cmp_ngt_f32_e32 vcc, s0, v19
	v_pk_add_f32 v[2:3], v[2:3], v[4:5] op_sel_hi:[1,0] neg_lo:[0,1] neg_hi:[0,1]
	v_cndmask_b32_e32 v18, 0, v18, vcc
	v_cmp_nlt_f32_e32 vcc, s1, v19
	v_ldexp_f32 v19, v20, v21
	v_mul_f32_e32 v20, 0x3fb8aa3b, v3
	v_fma_f32 v21, v3, s2, -v20
	v_rndne_f32_e32 v22, v20
	v_fmac_f32_e32 v21, 0x32a5705f, v3
	v_sub_f32_e32 v20, v20, v22
	v_add_f32_e32 v20, v20, v21
	v_exp_f32_e32 v20, v20
	v_cvt_i32_f32_e32 v21, v22
	v_cndmask_b32_e32 v18, v14, v18, vcc
	v_cmp_ngt_f32_e32 vcc, s0, v5
	v_cndmask_b32_e32 v19, 0, v19, vcc
	v_cmp_nlt_f32_e32 vcc, s1, v5
	v_cndmask_b32_e32 v5, v14, v19, vcc
	v_ldexp_f32 v19, v20, v21
	v_mul_f32_e32 v20, 0x3fb8aa3b, v2
	v_fma_f32 v21, v2, s2, -v20
	v_rndne_f32_e32 v22, v20
	v_fmac_f32_e32 v21, 0x32a5705f, v2
	v_sub_f32_e32 v20, v20, v22
	v_add_f32_e32 v20, v20, v21
	v_exp_f32_e32 v20, v20
	v_cvt_i32_f32_e32 v21, v22
	v_cmp_ngt_f32_e32 vcc, s0, v3
	v_pk_add_f32 v[0:1], v[0:1], v[4:5] op_sel_hi:[1,0] neg_lo:[0,1] neg_hi:[0,1]
	v_cndmask_b32_e32 v19, 0, v19, vcc
	v_cmp_nlt_f32_e32 vcc, s1, v3
	v_mul_f32_e32 v4, 0x3fb8aa3b, v1
	v_cndmask_b32_e32 v3, v14, v19, vcc
	v_ldexp_f32 v19, v20, v21
	v_fma_f32 v20, v1, s2, -v4
	v_rndne_f32_e32 v21, v4
	v_fmac_f32_e32 v20, 0x32a5705f, v1
	v_sub_f32_e32 v4, v4, v21
	v_add_f32_e32 v4, v4, v20
	v_exp_f32_e32 v4, v4
	v_cvt_i32_f32_e32 v20, v21
	v_cmp_ngt_f32_e32 vcc, s0, v2
	v_cndmask_b32_e32 v19, 0, v19, vcc
	v_cmp_nlt_f32_e32 vcc, s1, v2
	v_cndmask_b32_e32 v2, v14, v19, vcc
	v_mul_f32_e32 v19, 0x3fb8aa3b, v0
	v_ldexp_f32 v4, v4, v20
	v_fma_f32 v20, v0, s2, -v19
	v_rndne_f32_e32 v21, v19
	v_fmac_f32_e32 v20, 0x32a5705f, v0
	v_sub_f32_e32 v19, v19, v21
	v_add_f32_e32 v19, v19, v20
	v_exp_f32_e32 v19, v19
	v_cvt_i32_f32_e32 v20, v21
	v_add_f32_e32 v12, v12, v11
	v_add_f32_e32 v12, v12, v13
	v_cmp_ngt_f32_e32 vcc, s0, v1
	v_add_f32_e32 v12, v12, v18
	v_cndmask_b32_e32 v4, 0, v4, vcc
	v_cmp_nlt_f32_e32 vcc, s1, v1
	v_add_f32_e32 v12, v12, v5
	v_cndmask_b32_e32 v1, v14, v4, vcc
	v_ldexp_f32 v4, v19, v20
	v_cmp_ngt_f32_e32 vcc, s0, v0
	v_add_f32_e32 v12, v12, v2
	v_cndmask_b32_e32 v4, 0, v4, vcc
	v_cmp_nlt_f32_e32 vcc, s1, v0
	v_add_f32_e32 v12, v12, v3
	v_cndmask_b32_e32 v0, v14, v4, vcc
	v_add_f32_e32 v4, v12, v0
	v_add_f32_e32 v4, v4, v1
	ds_bpermute_b32 v12, v38, v4
	s_movk_i32 s2, 0x1f8
	s_waitcnt lgkmcnt(0)
	v_add_f32_e32 v4, v4, v12
	ds_bpermute_b32 v12, v39, v4
	s_waitcnt lgkmcnt(0)
	v_add_f32_e32 v4, v4, v12
	ds_bpermute_b32 v12, v40, v4
	;; [unrolled: 3-line block ×4, first 2 shown]
	s_waitcnt lgkmcnt(0)
	v_add_f32_e32 v4, v4, v12
	v_div_scale_f32 v12, s[0:1], v4, v4, 1.0
	v_rcp_f32_e32 v14, v12
	s_load_dwordx2 s[0:1], s[4:5], 0x40
	v_fma_f32 v19, -v12, v14, 1.0
	v_fmac_f32_e32 v14, v19, v14
	v_div_scale_f32 v19, vcc, 1.0, v4, 1.0
	v_mul_f32_e32 v20, v19, v14
	v_fma_f32 v21, -v12, v20, v19
	v_fmac_f32_e32 v20, v21, v14
	v_fma_f32 v12, -v12, v20, v19
	v_div_fmas_f32 v12, v12, v14, v20
	v_div_fixup_f32 v4, v12, v4, 1.0
	v_mul_f32_e32 v19, v4, v15
	v_mul_f32_e32 v16, v4, v16
	v_cmp_class_f32_e64 vcc, v19, s2
	v_mul_f32_e32 v17, v4, v17
	v_pk_mul_f32 v[14:15], v[4:5], v[0:1] op_sel_hi:[0,1]
	v_cndmask_b32_e32 v0, 0, v19, vcc
	v_cmp_class_f32_e64 vcc, v16, s2
	v_pk_mul_f32 v[6:7], v[4:5], v[6:7] op_sel_hi:[0,1]
	v_cndmask_b32_e32 v1, 0, v16, vcc
	v_cmp_class_f32_e64 vcc, v17, s2
	v_mov_b32_e32 v16, 0x207
	v_mul_f32_e32 v20, v4, v13
	v_pk_mul_f32 v[12:13], v[4:5], v[2:3] op_sel_hi:[0,1]
	v_cndmask_b32_e32 v2, 0, v17, vcc
	v_cmp_class_f32_e32 vcc, v7, v16
	v_pk_mul_f32 v[8:9], v[4:5], v[8:9] op_sel_hi:[0,1]
	v_pk_mul_f32 v[10:11], v[4:5], v[10:11] op_sel_hi:[0,1]
	v_mul_f32_e32 v18, v4, v18
	v_mul_f32_e32 v21, v4, v5
	v_cndmask_b32_e64 v4, v7, 0, vcc
	v_cmp_class_f32_e32 vcc, v6, v16
	v_cndmask_b32_e64 v3, v6, 0, vcc
	v_cmp_class_f32_e32 vcc, v9, v16
	;; [unrolled: 2-line block ×5, first 2 shown]
	v_cndmask_b32_e64 v7, v10, 0, vcc
	v_cmp_class_f32_e64 vcc, v20, s2
	v_cndmask_b32_e32 v9, 0, v20, vcc
	v_cmp_class_f32_e64 vcc, v18, s2
	v_cndmask_b32_e32 v10, 0, v18, vcc
	;; [unrolled: 2-line block ×3, first 2 shown]
	v_cmp_class_f32_e32 vcc, v13, v16
	v_cndmask_b32_e64 v13, v13, 0, vcc
	v_cmp_class_f32_e32 vcc, v12, v16
	v_cndmask_b32_e64 v12, v12, 0, vcc
	v_cmp_class_f32_e32 vcc, v15, v16
	v_cndmask_b32_e64 v15, v15, 0, vcc
	v_cmp_class_f32_e32 vcc, v14, v16
	s_waitcnt lgkmcnt(0)
	s_cmp_eq_u64 s[0:1], 0
	v_cndmask_b32_e64 v14, v14, 0, vcc
	s_cbranch_scc1 .LBB126_27
; %bb.4:
	v_lshlrev_b32_e32 v32, 2, v43
	global_load_dwordx4 v[16:19], v32, s[0:1]
	global_load_dwordx4 v[20:23], v32, s[0:1] offset:16
	global_load_dwordx4 v[24:27], v32, s[0:1] offset:1024
	;; [unrolled: 1-line block ×3, first 2 shown]
	s_waitcnt vmcnt(3)
	v_pk_add_f32 v[16:17], v[16:17], v[0:1]
	v_pk_add_f32 v[18:19], v[18:19], v[2:3]
	s_waitcnt vmcnt(2)
	v_pk_add_f32 v[20:21], v[20:21], v[4:5]
	v_pk_add_f32 v[22:23], v[22:23], v[6:7]
	;; [unrolled: 3-line block ×4, first 2 shown]
	s_cbranch_execnz .LBB126_6
.LBB126_5:
	v_pk_mov_b32 v[30:31], v[14:15], v[14:15] op_sel:[0,1]
	v_pk_mov_b32 v[28:29], v[12:13], v[12:13] op_sel:[0,1]
	;; [unrolled: 1-line block ×8, first 2 shown]
.LBB126_6:
	s_load_dwordx4 s[8:11], s[4:5], 0x30
	s_mov_b32 s25, 0
	v_cmp_eq_u32_e64 s[0:1], 0, v37
	s_waitcnt lgkmcnt(0)
	s_bitcmp1_b32 s11, 0
	s_cselect_b64 vcc, -1, 0
	s_cmp_gt_i32 s8, 0
	s_cselect_b64 s[20:21], -1, 0
	s_cmp_lt_i32 s8, 1
	s_cbranch_scc1 .LBB126_28
; %bb.7:
	s_load_dwordx4 s[12:15], s[4:5], 0x20
	v_mul_lo_u32 v45, v33, s8
	v_mov_b32_e32 v44, 0
	v_mov_b32_e32 v46, 0x100
	;; [unrolled: 1-line block ×3, first 2 shown]
	v_bfrev_b32_e32 v48, 4.0
	v_bfrev_b32_e32 v49, -4.0
	v_mov_b32_e32 v50, 0x104
	v_mov_b32_e32 v51, 0x105
	;; [unrolled: 1-line block ×7, first 2 shown]
	s_branch .LBB126_10
.LBB126_8:                              ;   in Loop: Header=BB126_10 Depth=1
	s_or_b64 exec, exec, s[4:5]
.LBB126_9:                              ;   in Loop: Header=BB126_10 Depth=1
	s_cmp_eq_u32 s8, s25
	v_add_u32_e32 v56, s24, v56
	s_cbranch_scc1 .LBB126_29
.LBB126_10:                             ; =>This Inner Loop Header: Depth=1
	v_cmp_gt_f32_e64 s[2:3], v17, v16
	v_cndmask_b32_e64 v32, v16, v17, s[2:3]
	v_cndmask_b32_e64 v34, v0, v1, s[2:3]
	s_waitcnt lgkmcnt(0)
	v_cndmask_b32_e64 v35, 0, 1, s[2:3]
	v_cmp_gt_f32_e64 s[2:3], v18, v32
	v_cndmask_b32_e64 v32, v32, v18, s[2:3]
	v_cndmask_b32_e64 v34, v34, v2, s[2:3]
	v_cndmask_b32_e64 v35, v35, 2, s[2:3]
	v_cmp_gt_f32_e64 s[2:3], v19, v32
	v_cndmask_b32_e64 v32, v32, v19, s[2:3]
	v_cndmask_b32_e64 v34, v34, v3, s[2:3]
	v_cndmask_b32_e64 v35, v35, 3, s[2:3]
	v_cmp_gt_f32_e64 s[2:3], v20, v32
	v_cndmask_b32_e64 v32, v32, v20, s[2:3]
	v_cndmask_b32_e64 v34, v34, v4, s[2:3]
	v_cndmask_b32_e64 v35, v35, 4, s[2:3]
	v_cmp_gt_f32_e64 s[2:3], v21, v32
	v_cndmask_b32_e64 v32, v32, v21, s[2:3]
	v_cndmask_b32_e64 v34, v34, v5, s[2:3]
	v_cndmask_b32_e64 v35, v35, 5, s[2:3]
	v_cmp_gt_f32_e64 s[2:3], v22, v32
	v_cndmask_b32_e64 v32, v32, v22, s[2:3]
	v_cndmask_b32_e64 v34, v34, v6, s[2:3]
	v_cndmask_b32_e64 v35, v35, 6, s[2:3]
	v_cmp_gt_f32_e64 s[2:3], v23, v32
	v_cndmask_b32_e64 v32, v32, v23, s[2:3]
	v_cndmask_b32_e64 v34, v34, v7, s[2:3]
	v_cndmask_b32_e64 v35, v35, 7, s[2:3]
	v_cmp_gt_f32_e64 s[2:3], v24, v32
	v_cndmask_b32_e64 v32, v32, v24, s[2:3]
	v_cndmask_b32_e64 v34, v34, v8, s[2:3]
	v_cndmask_b32_e64 v35, v35, v46, s[2:3]
	v_cmp_gt_f32_e64 s[2:3], v25, v32
	v_cndmask_b32_e64 v32, v32, v25, s[2:3]
	v_cndmask_b32_e64 v34, v34, v9, s[2:3]
	v_cndmask_b32_e64 v35, v35, v47, s[2:3]
	v_cmp_gt_f32_e64 s[2:3], v26, v32
	v_cndmask_b32_e64 v32, v32, v26, s[2:3]
	v_cndmask_b32_e64 v34, v34, v10, s[2:3]
	v_cndmask_b32_e64 v35, v35, v48, s[2:3]
	v_cmp_gt_f32_e64 s[2:3], v27, v32
	v_cndmask_b32_e64 v32, v32, v27, s[2:3]
	v_cndmask_b32_e64 v34, v34, v11, s[2:3]
	v_cndmask_b32_e64 v35, v35, v49, s[2:3]
	v_cmp_gt_f32_e64 s[2:3], v28, v32
	v_cndmask_b32_e64 v32, v32, v28, s[2:3]
	v_cndmask_b32_e64 v34, v34, v12, s[2:3]
	v_cndmask_b32_e64 v35, v35, v50, s[2:3]
	v_cmp_gt_f32_e64 s[2:3], v29, v32
	v_cndmask_b32_e64 v32, v32, v29, s[2:3]
	v_cndmask_b32_e64 v34, v34, v13, s[2:3]
	v_cndmask_b32_e64 v35, v35, v51, s[2:3]
	v_cmp_gt_f32_e64 s[2:3], v30, v32
	v_cndmask_b32_e64 v32, v32, v30, s[2:3]
	v_cndmask_b32_e64 v34, v34, v14, s[2:3]
	v_cndmask_b32_e64 v35, v35, v52, s[2:3]
	v_cmp_gt_f32_e64 s[2:3], v31, v32
	v_cndmask_b32_e64 v35, v35, v53, s[2:3]
	v_cndmask_b32_e64 v32, v32, v31, s[2:3]
	v_or_b32_e32 v35, v43, v35
	ds_bpermute_b32 v36, v38, v32
	ds_bpermute_b32 v57, v38, v35
	v_cndmask_b32_e64 v34, v34, v15, s[2:3]
	ds_bpermute_b32 v59, v38, v34
	s_waitcnt lgkmcnt(0)
	v_cmp_eq_f32_e64 s[4:5], v32, v36
	v_cmp_lt_i32_e64 s[6:7], v57, v35
	v_cmp_lt_f32_e64 s[2:3], v32, v36
	s_and_b64 s[4:5], s[4:5], s[6:7]
	s_or_b64 s[2:3], s[2:3], s[4:5]
	v_cndmask_b32_e64 v58, v35, v57, s[2:3]
	v_cndmask_b32_e64 v57, v32, v36, s[2:3]
	;; [unrolled: 1-line block ×3, first 2 shown]
	ds_bpermute_b32 v60, v39, v57
	ds_bpermute_b32 v36, v39, v32
	;; [unrolled: 1-line block ×3, first 2 shown]
                                        ; implicit-def: $vgpr34_vgpr35
	s_waitcnt lgkmcnt(2)
	v_cmp_lt_f32_e64 s[6:7], v57, v60
	v_cmp_nlt_f32_e64 s[2:3], v57, v60
	s_and_saveexec_b64 s[22:23], s[2:3]
	s_cbranch_execz .LBB126_12
; %bb.11:                               ;   in Loop: Header=BB126_10 Depth=1
	v_cmp_eq_f32_e64 s[2:3], v57, v60
	s_waitcnt lgkmcnt(0)
	v_cmp_lt_i32_e64 s[4:5], v59, v58
	s_and_b64 s[2:3], s[2:3], s[4:5]
	s_andn2_b64 s[4:5], s[6:7], exec
	s_and_b64 s[2:3], s[2:3], exec
	s_or_b64 s[6:7], s[4:5], s[2:3]
	v_pk_mov_b32 v[34:35], v[32:33], v[32:33] op_sel:[0,1]
.LBB126_12:                             ;   in Loop: Header=BB126_10 Depth=1
	s_or_b64 exec, exec, s[22:23]
	s_and_saveexec_b64 s[2:3], s[6:7]
	s_cbranch_execz .LBB126_14
; %bb.13:                               ;   in Loop: Header=BB126_10 Depth=1
	v_mov_b32_e32 v57, v60
	s_waitcnt lgkmcnt(1)
	v_mov_b32_e32 v32, v36
	s_waitcnt lgkmcnt(0)
	v_mov_b32_e32 v58, v59
	v_pk_mov_b32 v[34:35], v[36:37], v[36:37] op_sel:[0,1]
.LBB126_14:                             ;   in Loop: Header=BB126_10 Depth=1
	s_or_b64 exec, exec, s[2:3]
	s_waitcnt lgkmcnt(0)
	ds_bpermute_b32 v59, v40, v57
	ds_bpermute_b32 v36, v40, v32
	;; [unrolled: 1-line block ×3, first 2 shown]
	s_waitcnt lgkmcnt(2)
	v_cmp_lt_f32_e64 s[6:7], v57, v59
	v_cmp_nlt_f32_e64 s[2:3], v57, v59
	s_and_saveexec_b64 s[22:23], s[2:3]
	s_cbranch_execz .LBB126_16
; %bb.15:                               ;   in Loop: Header=BB126_10 Depth=1
	v_cmp_eq_f32_e64 s[2:3], v57, v59
	s_waitcnt lgkmcnt(0)
	v_cmp_lt_i32_e64 s[4:5], v35, v58
	s_and_b64 s[2:3], s[2:3], s[4:5]
	s_andn2_b64 s[4:5], s[6:7], exec
	s_and_b64 s[2:3], s[2:3], exec
	s_or_b64 s[6:7], s[4:5], s[2:3]
.LBB126_16:                             ;   in Loop: Header=BB126_10 Depth=1
	s_or_b64 exec, exec, s[22:23]
	s_and_saveexec_b64 s[2:3], s[6:7]
	s_cbranch_execz .LBB126_18
; %bb.17:                               ;   in Loop: Header=BB126_10 Depth=1
	v_mov_b32_e32 v57, v59
	s_waitcnt lgkmcnt(1)
	v_mov_b32_e32 v32, v36
	s_waitcnt lgkmcnt(0)
	v_mov_b32_e32 v58, v35
	v_pk_mov_b32 v[34:35], v[36:37], v[36:37] op_sel:[0,1]
.LBB126_18:                             ;   in Loop: Header=BB126_10 Depth=1
	s_or_b64 exec, exec, s[2:3]
	ds_bpermute_b32 v59, v41, v57
	s_waitcnt lgkmcnt(2)
	ds_bpermute_b32 v36, v41, v32
	s_waitcnt lgkmcnt(2)
	;; [unrolled: 2-line block ×3, first 2 shown]
	v_cmp_lt_f32_e64 s[6:7], v57, v59
	v_cmp_nlt_f32_e64 s[2:3], v57, v59
	s_and_saveexec_b64 s[22:23], s[2:3]
	s_cbranch_execz .LBB126_20
; %bb.19:                               ;   in Loop: Header=BB126_10 Depth=1
	v_cmp_eq_f32_e64 s[2:3], v57, v59
	s_waitcnt lgkmcnt(0)
	v_cmp_lt_i32_e64 s[4:5], v35, v58
	s_and_b64 s[2:3], s[2:3], s[4:5]
	s_andn2_b64 s[4:5], s[6:7], exec
	s_and_b64 s[2:3], s[2:3], exec
	s_or_b64 s[6:7], s[4:5], s[2:3]
.LBB126_20:                             ;   in Loop: Header=BB126_10 Depth=1
	s_or_b64 exec, exec, s[22:23]
	s_and_saveexec_b64 s[2:3], s[6:7]
	s_cbranch_execz .LBB126_22
; %bb.21:                               ;   in Loop: Header=BB126_10 Depth=1
	v_mov_b32_e32 v57, v59
	s_waitcnt lgkmcnt(1)
	v_mov_b32_e32 v32, v36
	s_waitcnt lgkmcnt(0)
	v_mov_b32_e32 v58, v35
	v_pk_mov_b32 v[34:35], v[36:37], v[36:37] op_sel:[0,1]
.LBB126_22:                             ;   in Loop: Header=BB126_10 Depth=1
	s_or_b64 exec, exec, s[2:3]
	s_waitcnt lgkmcnt(1)
	ds_bpermute_b32 v36, v42, v57
	ds_bpermute_b32 v59, v42, v58
	s_waitcnt lgkmcnt(2)
	ds_bpermute_b32 v35, v42, v32
	s_waitcnt lgkmcnt(2)
	v_cmp_eq_f32_e64 s[4:5], v57, v36
	s_waitcnt lgkmcnt(1)
	v_cmp_lt_i32_e64 s[6:7], v59, v58
	v_cmp_lt_f32_e64 s[2:3], v57, v36
	s_and_b64 s[4:5], s[4:5], s[6:7]
	s_or_b64 s[2:3], s[2:3], s[4:5]
	v_cndmask_b32_e64 v32, v58, v59, s[2:3]
	s_and_saveexec_b64 s[6:7], s[0:1]
	s_cbranch_execnz .LBB126_24
; %bb.23:                               ;   in Loop: Header=BB126_10 Depth=1
	s_or_b64 exec, exec, s[6:7]
	s_add_i32 s25, s25, 1
	s_cmp_ge_i32 s25, s8
	s_cbranch_scc1 .LBB126_9
	s_branch .LBB126_25
.LBB126_24:                             ;   in Loop: Header=BB126_10 Depth=1
	s_waitcnt lgkmcnt(0)
	v_cndmask_b32_e64 v36, v34, v35, s[2:3]
	v_add_u32_e32 v34, s25, v45
	v_ashrrev_i32_e32 v35, 31, v34
	v_cmp_le_i32_e64 s[2:3], s9, v32
	v_cmp_gt_i32_e64 s[4:5], s10, v32
	v_lshlrev_b64 v[58:59], 2, v[34:35]
	s_and_b64 s[4:5], s[2:3], s[4:5]
	v_mov_b32_e32 v57, s17
	v_add_co_u32_e64 v60, s[2:3], s16, v58
	v_addc_co_u32_e64 v61, s[2:3], v57, v59, s[2:3]
	v_subrev_u32_e32 v57, s9, v32
	global_store_dword v[60:61], v36, off
	v_ashrrev_i32_e32 v60, 31, v57
	s_and_b64 s[2:3], s[18:19], s[4:5]
	v_lshlrev_b64 v[34:35], 3, v[34:35]
	v_cndmask_b32_e64 v61, 0, v60, s[2:3]
	v_cndmask_b32_e64 v60, v54, v57, s[2:3]
	v_mov_b32_e32 v57, s13
	v_add_co_u32_e64 v34, s[2:3], s12, v34
	v_addc_co_u32_e64 v35, s[2:3], v57, v35, s[2:3]
	global_store_dwordx2 v[34:35], v[60:61], off
	v_mov_b32_e32 v35, s15
	v_add_co_u32_e64 v34, s[2:3], s14, v58
	v_addc_co_u32_e64 v35, s[2:3], v35, v59, s[2:3]
	global_store_dword v[34:35], v56, off
	v_add_f32_e32 v34, v44, v36
	v_cndmask_b32_e32 v44, v44, v34, vcc
	s_or_b64 exec, exec, s[6:7]
	s_add_i32 s25, s25, 1
	s_cmp_ge_i32 s25, s8
	s_cbranch_scc1 .LBB126_9
.LBB126_25:                             ;   in Loop: Header=BB126_10 Depth=1
	v_ashrrev_i32_e32 v34, 31, v32
	s_waitcnt lgkmcnt(0)
	v_lshrrev_b32_e32 v35, 29, v34
	v_add_u32_e32 v36, v32, v35
	v_ashrrev_i32_e32 v35, 3, v36
	v_ashrrev_i32_e32 v36, 31, v36
	v_lshrrev_b32_e32 v36, 27, v36
	v_add_u32_e32 v36, v35, v36
	v_and_b32_e32 v36, 0xffffffe0, v36
	v_sub_u32_e32 v36, v35, v36
	v_cmp_eq_u32_e64 s[2:3], v37, v36
	s_and_saveexec_b64 s[4:5], s[2:3]
	s_cbranch_execz .LBB126_8
; %bb.26:                               ;   in Loop: Header=BB126_10 Depth=1
	v_add_u32_sdwa v34, v32, v34 dst_sel:DWORD dst_unused:UNUSED_PAD src0_sel:DWORD src1_sel:BYTE_3
	v_lshlrev_b32_e32 v35, 3, v35
	v_ashrrev_i32_e32 v34, 8, v34
	v_sub_u32_e32 v32, v32, v35
	v_lshl_add_u32 v32, v34, 3, v32
	v_cmp_ne_u32_e64 s[2:3], 15, v32
	v_cndmask_b32_e64 v31, v55, v31, s[2:3]
	v_cmp_ne_u32_e64 s[2:3], 14, v32
	v_cndmask_b32_e64 v30, v55, v30, s[2:3]
	;; [unrolled: 2-line block ×16, first 2 shown]
	s_branch .LBB126_8
.LBB126_27:
                                        ; implicit-def: $vgpr16_vgpr17_vgpr18_vgpr19_vgpr20_vgpr21_vgpr22_vgpr23_vgpr24_vgpr25_vgpr26_vgpr27_vgpr28_vgpr29_vgpr30_vgpr31
	s_andn2_b64 vcc, exec, s[6:7]
	s_cbranch_vccz .LBB126_5
	s_branch .LBB126_6
.LBB126_28:
	v_mov_b32_e32 v44, 0
.LBB126_29:
	v_cmp_eq_u32_e64 s[0:1], 0, v37
	s_and_b64 s[0:1], s[0:1], vcc
	s_and_b64 exec, exec, s[0:1]
	s_cbranch_execz .LBB126_38
; %bb.30:
	s_andn2_b64 vcc, exec, s[20:21]
	s_cbranch_vccnz .LBB126_38
; %bb.31:
	v_cmp_lt_f32_e32 vcc, 0, v44
	s_mov_b32 s2, 0
	v_cndmask_b32_e32 v0, 1.0, v44, vcc
	v_mul_lo_u32 v4, v33, s8
	s_cmp_eq_u32 s8, 1
	s_mov_b64 s[0:1], -1
	s_cbranch_scc1 .LBB126_35
; %bb.32:
	s_and_b32 s2, s8, 0x7ffffffe
	v_mov_b32_e32 v1, v0
	v_mov_b32_e32 v5, s17
	s_mov_b32 s3, s2
	v_mov_b32_e32 v2, v4
.LBB126_33:                             ; =>This Inner Loop Header: Depth=1
	v_ashrrev_i32_e32 v3, 31, v2
	v_lshlrev_b64 v[6:7], 2, v[2:3]
	v_add_co_u32_e32 v6, vcc, s16, v6
	v_addc_co_u32_e32 v7, vcc, v5, v7, vcc
	global_load_dwordx2 v[8:9], v[6:7], off
	s_add_i32 s3, s3, -2
	s_cmp_lg_u32 s3, 0
	v_add_u32_e32 v2, 2, v2
	s_waitcnt vmcnt(0)
	v_div_scale_f32 v3, s[0:1], v1, v1, v9
	v_div_scale_f32 v11, s[0:1], v0, v0, v8
	v_rcp_f32_e32 v12, v3
	v_rcp_f32_e32 v13, v11
	v_div_scale_f32 v10, vcc, v9, v1, v9
	v_fma_f32 v15, -v3, v12, 1.0
	v_fma_f32 v16, -v11, v13, 1.0
	v_fmac_f32_e32 v12, v15, v12
	v_div_scale_f32 v14, s[0:1], v8, v0, v8
	v_fmac_f32_e32 v13, v16, v13
	v_mul_f32_e32 v15, v10, v12
	v_mul_f32_e32 v16, v14, v13
	v_fma_f32 v17, -v3, v15, v10
	v_fma_f32 v18, -v11, v16, v14
	v_fmac_f32_e32 v15, v17, v12
	v_fmac_f32_e32 v16, v18, v13
	v_fma_f32 v3, -v3, v15, v10
	v_fma_f32 v10, -v11, v16, v14
	v_div_fmas_f32 v3, v3, v12, v15
	s_mov_b64 vcc, s[0:1]
	v_div_fixup_f32 v9, v3, v1, v9
	v_div_fmas_f32 v3, v10, v13, v16
	v_div_fixup_f32 v8, v3, v0, v8
	global_store_dwordx2 v[6:7], v[8:9], off
	s_cbranch_scc1 .LBB126_33
; %bb.34:
	s_cmp_lg_u32 s2, s8
	s_cselect_b64 s[0:1], -1, 0
.LBB126_35:
	s_and_b64 vcc, exec, s[0:1]
	s_cbranch_vccz .LBB126_38
; %bb.36:
	v_ashrrev_i32_e32 v1, 31, v4
	v_add_co_u32_e32 v2, vcc, s2, v4
	v_addc_co_u32_e32 v3, vcc, 0, v1, vcc
	v_lshlrev_b64 v[2:3], 2, v[2:3]
	v_mov_b32_e32 v1, s17
	v_add_co_u32_e32 v2, vcc, s16, v2
	s_sub_i32 s0, s8, s2
	v_addc_co_u32_e32 v3, vcc, v1, v3, vcc
.LBB126_37:                             ; =>This Inner Loop Header: Depth=1
	global_load_dword v1, v[2:3], off
	s_add_i32 s0, s0, -1
	s_cmp_lg_u32 s0, 0
	s_waitcnt vmcnt(0)
	v_div_scale_f32 v4, s[2:3], v0, v0, v1
	v_rcp_f32_e32 v5, v4
	v_div_scale_f32 v6, vcc, v1, v0, v1
	v_fma_f32 v7, -v4, v5, 1.0
	v_fmac_f32_e32 v5, v7, v5
	v_mul_f32_e32 v7, v6, v5
	v_fma_f32 v8, -v4, v7, v6
	v_fmac_f32_e32 v7, v8, v5
	v_fma_f32 v4, -v4, v7, v6
	v_div_fmas_f32 v4, v4, v5, v7
	v_div_fixup_f32 v1, v4, v0, v1
	global_store_dword v[2:3], v1, off
	v_add_co_u32_e32 v2, vcc, 4, v2
	v_addc_co_u32_e32 v3, vcc, 0, v3, vcc
	s_cbranch_scc1 .LBB126_37
.LBB126_38:
	s_endpgm
	.section	.rodata,"a",@progbits
	.p2align	6, 0x0
	.amdhsa_kernel _ZN4vllm3moe10topkGatingILi16ELi512ELi4ELi16ELi32El6__halfLNS0_11ScoringFuncE0EEEvPKT5_PKbPfiPT4_PiiiibPKf
		.amdhsa_group_segment_fixed_size 0
		.amdhsa_private_segment_fixed_size 0
		.amdhsa_kernarg_size 72
		.amdhsa_user_sgpr_count 6
		.amdhsa_user_sgpr_private_segment_buffer 1
		.amdhsa_user_sgpr_dispatch_ptr 0
		.amdhsa_user_sgpr_queue_ptr 0
		.amdhsa_user_sgpr_kernarg_segment_ptr 1
		.amdhsa_user_sgpr_dispatch_id 0
		.amdhsa_user_sgpr_flat_scratch_init 0
		.amdhsa_user_sgpr_kernarg_preload_length 0
		.amdhsa_user_sgpr_kernarg_preload_offset 0
		.amdhsa_user_sgpr_private_segment_size 0
		.amdhsa_uses_dynamic_stack 0
		.amdhsa_system_sgpr_private_segment_wavefront_offset 0
		.amdhsa_system_sgpr_workgroup_id_x 1
		.amdhsa_system_sgpr_workgroup_id_y 0
		.amdhsa_system_sgpr_workgroup_id_z 0
		.amdhsa_system_sgpr_workgroup_info 0
		.amdhsa_system_vgpr_workitem_id 1
		.amdhsa_next_free_vgpr 62
		.amdhsa_next_free_sgpr 26
		.amdhsa_accum_offset 64
		.amdhsa_reserve_vcc 1
		.amdhsa_reserve_flat_scratch 0
		.amdhsa_float_round_mode_32 0
		.amdhsa_float_round_mode_16_64 0
		.amdhsa_float_denorm_mode_32 3
		.amdhsa_float_denorm_mode_16_64 3
		.amdhsa_dx10_clamp 1
		.amdhsa_ieee_mode 1
		.amdhsa_fp16_overflow 0
		.amdhsa_tg_split 0
		.amdhsa_exception_fp_ieee_invalid_op 0
		.amdhsa_exception_fp_denorm_src 0
		.amdhsa_exception_fp_ieee_div_zero 0
		.amdhsa_exception_fp_ieee_overflow 0
		.amdhsa_exception_fp_ieee_underflow 0
		.amdhsa_exception_fp_ieee_inexact 0
		.amdhsa_exception_int_div_zero 0
	.end_amdhsa_kernel
	.section	.text._ZN4vllm3moe10topkGatingILi16ELi512ELi4ELi16ELi32El6__halfLNS0_11ScoringFuncE0EEEvPKT5_PKbPfiPT4_PiiiibPKf,"axG",@progbits,_ZN4vllm3moe10topkGatingILi16ELi512ELi4ELi16ELi32El6__halfLNS0_11ScoringFuncE0EEEvPKT5_PKbPfiPT4_PiiiibPKf,comdat
.Lfunc_end126:
	.size	_ZN4vllm3moe10topkGatingILi16ELi512ELi4ELi16ELi32El6__halfLNS0_11ScoringFuncE0EEEvPKT5_PKbPfiPT4_PiiiibPKf, .Lfunc_end126-_ZN4vllm3moe10topkGatingILi16ELi512ELi4ELi16ELi32El6__halfLNS0_11ScoringFuncE0EEEvPKT5_PKbPfiPT4_PiiiibPKf
                                        ; -- End function
	.section	.AMDGPU.csdata,"",@progbits
; Kernel info:
; codeLenInByte = 4712
; NumSgprs: 30
; NumVgprs: 62
; NumAgprs: 0
; TotalNumVgprs: 62
; ScratchSize: 0
; MemoryBound: 0
; FloatMode: 240
; IeeeMode: 1
; LDSByteSize: 0 bytes/workgroup (compile time only)
; SGPRBlocks: 3
; VGPRBlocks: 7
; NumSGPRsForWavesPerEU: 30
; NumVGPRsForWavesPerEU: 62
; AccumOffset: 64
; Occupancy: 8
; WaveLimiterHint : 1
; COMPUTE_PGM_RSRC2:SCRATCH_EN: 0
; COMPUTE_PGM_RSRC2:USER_SGPR: 6
; COMPUTE_PGM_RSRC2:TRAP_HANDLER: 0
; COMPUTE_PGM_RSRC2:TGID_X_EN: 1
; COMPUTE_PGM_RSRC2:TGID_Y_EN: 0
; COMPUTE_PGM_RSRC2:TGID_Z_EN: 0
; COMPUTE_PGM_RSRC2:TIDIG_COMP_CNT: 1
; COMPUTE_PGM_RSRC3_GFX90A:ACCUM_OFFSET: 15
; COMPUTE_PGM_RSRC3_GFX90A:TG_SPLIT: 0
	.section	.text._ZN4vllm3moe10topkGatingILi1ELi1ELi4ELi2ELi64Ei14__hip_bfloat16LNS0_11ScoringFuncE0EEEvPKT5_PKbPfiPT4_PiiiibPKf,"axG",@progbits,_ZN4vllm3moe10topkGatingILi1ELi1ELi4ELi2ELi64Ei14__hip_bfloat16LNS0_11ScoringFuncE0EEEvPKT5_PKbPfiPT4_PiiiibPKf,comdat
	.protected	_ZN4vllm3moe10topkGatingILi1ELi1ELi4ELi2ELi64Ei14__hip_bfloat16LNS0_11ScoringFuncE0EEEvPKT5_PKbPfiPT4_PiiiibPKf ; -- Begin function _ZN4vllm3moe10topkGatingILi1ELi1ELi4ELi2ELi64Ei14__hip_bfloat16LNS0_11ScoringFuncE0EEEvPKT5_PKbPfiPT4_PiiiibPKf
	.globl	_ZN4vllm3moe10topkGatingILi1ELi1ELi4ELi2ELi64Ei14__hip_bfloat16LNS0_11ScoringFuncE0EEEvPKT5_PKbPfiPT4_PiiiibPKf
	.p2align	8
	.type	_ZN4vllm3moe10topkGatingILi1ELi1ELi4ELi2ELi64Ei14__hip_bfloat16LNS0_11ScoringFuncE0EEEvPKT5_PKbPfiPT4_PiiiibPKf,@function
_ZN4vllm3moe10topkGatingILi1ELi1ELi4ELi2ELi64Ei14__hip_bfloat16LNS0_11ScoringFuncE0EEEvPKT5_PKbPfiPT4_PiiiibPKf: ; @_ZN4vllm3moe10topkGatingILi1ELi1ELi4ELi2ELi64Ei14__hip_bfloat16LNS0_11ScoringFuncE0EEEvPKT5_PKbPfiPT4_PiiiibPKf
; %bb.0:
	s_load_dword s18, s[4:5], 0x18
	v_bfe_u32 v1, v0, 10, 10
	s_lshl_b32 s0, s6, 8
	v_lshlrev_b32_e32 v1, 6, v1
	v_and_b32_e32 v0, 0x3ff, v0
	v_add3_u32 v0, v1, v0, s0
	s_waitcnt lgkmcnt(0)
	v_cmp_gt_i32_e32 vcc, s18, v0
	s_and_saveexec_b64 s[0:1], vcc
	s_cbranch_execz .LBB127_17
; %bb.1:
	s_load_dwordx4 s[12:15], s[4:5], 0x0
	s_load_dwordx2 s[2:3], s[4:5], 0x10
	v_ashrrev_i32_e32 v1, 31, v0
	s_waitcnt lgkmcnt(0)
	s_cmp_eq_u64 s[14:15], 0
	s_cbranch_scc1 .LBB127_3
; %bb.2:
	v_mov_b32_e32 v3, s15
	v_add_co_u32_e32 v2, vcc, s14, v0
	v_addc_co_u32_e32 v3, vcc, v3, v1, vcc
	global_load_ubyte v2, v[2:3], off
	s_waitcnt vmcnt(0)
	v_and_b32_e32 v2, 1, v2
	v_cmp_eq_u32_e32 vcc, 1, v2
	s_xor_b64 s[0:1], vcc, -1
	s_orn2_b64 s[16:17], s[0:1], exec
	s_branch .LBB127_4
.LBB127_3:
	s_mov_b64 s[16:17], -1
.LBB127_4:
	s_load_dwordx4 s[8:11], s[4:5], 0x30
	s_waitcnt lgkmcnt(0)
	s_bitcmp1_b32 s11, 0
	s_cselect_b64 s[0:1], -1, 0
	s_cmp_gt_i32 s8, 0
	s_cselect_b64 s[14:15], -1, 0
	s_cmp_lt_i32 s8, 1
	s_cbranch_scc1 .LBB127_8
; %bb.5:
	v_lshlrev_b64 v[2:3], 1, v[0:1]
	v_mov_b32_e32 v1, s13
	v_add_co_u32_e32 v2, vcc, s12, v2
	v_addc_co_u32_e32 v3, vcc, v1, v3, vcc
	global_load_ushort v4, v[2:3], off
	s_mov_b32 s19, 0x3fb8aa3b
	v_mul_lo_u32 v2, v0, s8
	s_load_dwordx4 s[4:7], s[4:5], 0x20
	s_cmp_lt_i32 s9, 1
	v_ashrrev_i32_e32 v3, 31, v2
	s_cselect_b64 s[12:13], -1, 0
	s_cmp_gt_i32 s10, 0
	v_lshlrev_b64 v[6:7], 2, v[2:3]
	v_mov_b32_e32 v5, s3
	s_cselect_b64 s[10:11], -1, 0
	v_add_co_u32_e32 v2, vcc, s2, v6
	s_sub_i32 s9, 0, s9
	s_and_b64 s[10:11], s[12:13], s[10:11]
	v_addc_co_u32_e32 v3, vcc, v5, v7, vcc
	v_mov_b32_e32 v9, s9
	s_and_b64 vcc, s[16:17], s[10:11]
	v_cndmask_b32_e32 v9, 1, v9, vcc
	s_waitcnt lgkmcnt(0)
	v_mov_b32_e32 v5, s5
	s_mov_b32 s20, 0xc2ce8ed0
	s_mov_b32 s21, 0x42b17218
	v_mov_b32_e32 v10, 0x7f800000
	v_mov_b32_e32 v11, s7
	s_movk_i32 s22, 0x1f8
	v_mov_b32_e32 v1, 0
	v_mov_b32_e32 v8, v0
	s_waitcnt vmcnt(0)
	v_lshlrev_b32_e32 v4, 16, v4
	v_sub_f32_e32 v12, v4, v4
	v_mul_f32_e32 v4, 0x3fb8aa3b, v12
	v_fma_f32 v13, v12, s19, -v4
	v_rndne_f32_e32 v14, v4
	v_fmac_f32_e32 v13, 0x32a5705f, v12
	v_sub_f32_e32 v4, v4, v14
	v_add_f32_e32 v4, v4, v13
	v_cvt_i32_f32_e32 v14, v14
	v_exp_f32_e32 v13, v4
	v_add_co_u32_e32 v4, vcc, s4, v6
	v_addc_co_u32_e32 v5, vcc, v5, v7, vcc
	v_ldexp_f32 v13, v13, v14
	v_cmp_ngt_f32_e32 vcc, s20, v12
	v_cndmask_b32_e32 v13, 0, v13, vcc
	v_cmp_nlt_f32_e32 vcc, s21, v12
	v_cndmask_b32_e32 v10, v10, v13, vcc
	v_div_scale_f32 v12, s[4:5], v10, v10, 1.0
	v_rcp_f32_e32 v13, v12
	v_add_co_u32_e32 v6, vcc, s6, v6
	v_addc_co_u32_e32 v7, vcc, v11, v7, vcc
	v_fma_f32 v14, -v12, v13, 1.0
	v_div_scale_f32 v11, vcc, 1.0, v10, 1.0
	v_fmac_f32_e32 v13, v14, v13
	v_mul_f32_e32 v14, v11, v13
	v_fma_f32 v15, -v12, v14, v11
	v_fmac_f32_e32 v14, v15, v13
	v_fma_f32 v11, -v12, v14, v11
	v_div_fmas_f32 v11, v11, v13, v14
	v_div_fixup_f32 v11, v11, v10, 1.0
	v_mul_f32_e32 v10, v10, v11
	v_cmp_class_f32_e64 vcc, v10, s22
	v_cndmask_b32_e32 v10, 0, v10, vcc
	s_mov_b32 s4, s8
.LBB127_6:                              ; =>This Inner Loop Header: Depth=1
	global_store_dword v[2:3], v10, off
	global_store_dword v[4:5], v9, off
	;; [unrolled: 1-line block ×3, first 2 shown]
	v_add_co_u32_e32 v2, vcc, 4, v2
	v_addc_co_u32_e32 v3, vcc, 0, v3, vcc
	v_add_co_u32_e32 v4, vcc, 4, v4
	v_addc_co_u32_e32 v5, vcc, 0, v5, vcc
	v_add_f32_e32 v11, v1, v10
	s_add_i32 s4, s4, -1
	v_add_co_u32_e32 v6, vcc, 4, v6
	v_cndmask_b32_e64 v1, v1, v11, s[0:1]
	v_add_u32_e32 v8, s18, v8
	s_cmp_lg_u32 s4, 0
	v_addc_co_u32_e32 v7, vcc, 0, v7, vcc
	s_cbranch_scc1 .LBB127_6
; %bb.7:
	s_andn2_b64 vcc, exec, s[0:1]
	s_cbranch_vccz .LBB127_9
	s_branch .LBB127_17
.LBB127_8:
	v_mov_b32_e32 v1, 0
	s_andn2_b64 vcc, exec, s[0:1]
	s_cbranch_vccnz .LBB127_17
.LBB127_9:
	s_andn2_b64 vcc, exec, s[14:15]
	s_cbranch_vccnz .LBB127_17
; %bb.10:
	v_cmp_lt_f32_e32 vcc, 0, v1
	s_mov_b32 s4, 0
	v_cndmask_b32_e32 v2, 1.0, v1, vcc
	v_mul_lo_u32 v0, v0, s8
	s_cmp_eq_u32 s8, 1
	s_mov_b64 s[0:1], -1
	s_cbranch_scc1 .LBB127_14
; %bb.11:
	s_and_b32 s4, s8, 0x7ffffffe
	v_mov_b32_e32 v1, v2
	v_mov_b32_e32 v3, s3
	s_mov_b32 s5, s4
	v_mov_b32_e32 v4, v0
.LBB127_12:                             ; =>This Inner Loop Header: Depth=1
	v_ashrrev_i32_e32 v5, 31, v4
	v_lshlrev_b64 v[6:7], 2, v[4:5]
	v_add_co_u32_e32 v6, vcc, s2, v6
	v_addc_co_u32_e32 v7, vcc, v3, v7, vcc
	global_load_dwordx2 v[8:9], v[6:7], off
	s_add_i32 s5, s5, -2
	s_cmp_lg_u32 s5, 0
	v_add_u32_e32 v4, 2, v4
	s_waitcnt vmcnt(0)
	v_div_scale_f32 v5, s[0:1], v1, v1, v9
	v_div_scale_f32 v11, s[0:1], v2, v2, v8
	v_rcp_f32_e32 v12, v5
	v_rcp_f32_e32 v13, v11
	v_div_scale_f32 v10, vcc, v9, v1, v9
	v_fma_f32 v15, -v5, v12, 1.0
	v_fma_f32 v16, -v11, v13, 1.0
	v_fmac_f32_e32 v12, v15, v12
	v_div_scale_f32 v14, s[0:1], v8, v2, v8
	v_fmac_f32_e32 v13, v16, v13
	v_mul_f32_e32 v15, v10, v12
	v_mul_f32_e32 v16, v14, v13
	v_fma_f32 v17, -v5, v15, v10
	v_fma_f32 v18, -v11, v16, v14
	v_fmac_f32_e32 v15, v17, v12
	v_fmac_f32_e32 v16, v18, v13
	v_fma_f32 v5, -v5, v15, v10
	v_fma_f32 v10, -v11, v16, v14
	v_div_fmas_f32 v5, v5, v12, v15
	s_mov_b64 vcc, s[0:1]
	v_div_fixup_f32 v9, v5, v1, v9
	v_div_fmas_f32 v5, v10, v13, v16
	v_div_fixup_f32 v8, v5, v2, v8
	global_store_dwordx2 v[6:7], v[8:9], off
	s_cbranch_scc1 .LBB127_12
; %bb.13:
	s_cmp_lg_u32 s4, s8
	s_cselect_b64 s[0:1], -1, 0
.LBB127_14:
	s_and_b64 vcc, exec, s[0:1]
	s_cbranch_vccz .LBB127_17
; %bb.15:
	v_ashrrev_i32_e32 v1, 31, v0
	v_add_co_u32_e32 v0, vcc, s4, v0
	v_addc_co_u32_e32 v1, vcc, 0, v1, vcc
	v_lshlrev_b64 v[0:1], 2, v[0:1]
	v_mov_b32_e32 v3, s3
	v_add_co_u32_e32 v0, vcc, s2, v0
	s_sub_i32 s0, s8, s4
	v_addc_co_u32_e32 v1, vcc, v3, v1, vcc
.LBB127_16:                             ; =>This Inner Loop Header: Depth=1
	global_load_dword v3, v[0:1], off
	s_add_i32 s0, s0, -1
	s_cmp_lg_u32 s0, 0
	s_waitcnt vmcnt(0)
	v_div_scale_f32 v4, s[2:3], v2, v2, v3
	v_rcp_f32_e32 v5, v4
	v_div_scale_f32 v6, vcc, v3, v2, v3
	v_fma_f32 v7, -v4, v5, 1.0
	v_fmac_f32_e32 v5, v7, v5
	v_mul_f32_e32 v7, v6, v5
	v_fma_f32 v8, -v4, v7, v6
	v_fmac_f32_e32 v7, v8, v5
	v_fma_f32 v4, -v4, v7, v6
	v_div_fmas_f32 v4, v4, v5, v7
	v_div_fixup_f32 v3, v4, v2, v3
	global_store_dword v[0:1], v3, off
	v_add_co_u32_e32 v0, vcc, 4, v0
	v_addc_co_u32_e32 v1, vcc, 0, v1, vcc
	s_cbranch_scc1 .LBB127_16
.LBB127_17:
	s_endpgm
	.section	.rodata,"a",@progbits
	.p2align	6, 0x0
	.amdhsa_kernel _ZN4vllm3moe10topkGatingILi1ELi1ELi4ELi2ELi64Ei14__hip_bfloat16LNS0_11ScoringFuncE0EEEvPKT5_PKbPfiPT4_PiiiibPKf
		.amdhsa_group_segment_fixed_size 0
		.amdhsa_private_segment_fixed_size 0
		.amdhsa_kernarg_size 72
		.amdhsa_user_sgpr_count 6
		.amdhsa_user_sgpr_private_segment_buffer 1
		.amdhsa_user_sgpr_dispatch_ptr 0
		.amdhsa_user_sgpr_queue_ptr 0
		.amdhsa_user_sgpr_kernarg_segment_ptr 1
		.amdhsa_user_sgpr_dispatch_id 0
		.amdhsa_user_sgpr_flat_scratch_init 0
		.amdhsa_user_sgpr_kernarg_preload_length 0
		.amdhsa_user_sgpr_kernarg_preload_offset 0
		.amdhsa_user_sgpr_private_segment_size 0
		.amdhsa_uses_dynamic_stack 0
		.amdhsa_system_sgpr_private_segment_wavefront_offset 0
		.amdhsa_system_sgpr_workgroup_id_x 1
		.amdhsa_system_sgpr_workgroup_id_y 0
		.amdhsa_system_sgpr_workgroup_id_z 0
		.amdhsa_system_sgpr_workgroup_info 0
		.amdhsa_system_vgpr_workitem_id 1
		.amdhsa_next_free_vgpr 19
		.amdhsa_next_free_sgpr 23
		.amdhsa_accum_offset 20
		.amdhsa_reserve_vcc 1
		.amdhsa_reserve_flat_scratch 0
		.amdhsa_float_round_mode_32 0
		.amdhsa_float_round_mode_16_64 0
		.amdhsa_float_denorm_mode_32 3
		.amdhsa_float_denorm_mode_16_64 3
		.amdhsa_dx10_clamp 1
		.amdhsa_ieee_mode 1
		.amdhsa_fp16_overflow 0
		.amdhsa_tg_split 0
		.amdhsa_exception_fp_ieee_invalid_op 0
		.amdhsa_exception_fp_denorm_src 0
		.amdhsa_exception_fp_ieee_div_zero 0
		.amdhsa_exception_fp_ieee_overflow 0
		.amdhsa_exception_fp_ieee_underflow 0
		.amdhsa_exception_fp_ieee_inexact 0
		.amdhsa_exception_int_div_zero 0
	.end_amdhsa_kernel
	.section	.text._ZN4vllm3moe10topkGatingILi1ELi1ELi4ELi2ELi64Ei14__hip_bfloat16LNS0_11ScoringFuncE0EEEvPKT5_PKbPfiPT4_PiiiibPKf,"axG",@progbits,_ZN4vllm3moe10topkGatingILi1ELi1ELi4ELi2ELi64Ei14__hip_bfloat16LNS0_11ScoringFuncE0EEEvPKT5_PKbPfiPT4_PiiiibPKf,comdat
.Lfunc_end127:
	.size	_ZN4vllm3moe10topkGatingILi1ELi1ELi4ELi2ELi64Ei14__hip_bfloat16LNS0_11ScoringFuncE0EEEvPKT5_PKbPfiPT4_PiiiibPKf, .Lfunc_end127-_ZN4vllm3moe10topkGatingILi1ELi1ELi4ELi2ELi64Ei14__hip_bfloat16LNS0_11ScoringFuncE0EEEvPKT5_PKbPfiPT4_PiiiibPKf
                                        ; -- End function
	.section	.AMDGPU.csdata,"",@progbits
; Kernel info:
; codeLenInByte = 1056
; NumSgprs: 27
; NumVgprs: 19
; NumAgprs: 0
; TotalNumVgprs: 19
; ScratchSize: 0
; MemoryBound: 0
; FloatMode: 240
; IeeeMode: 1
; LDSByteSize: 0 bytes/workgroup (compile time only)
; SGPRBlocks: 3
; VGPRBlocks: 2
; NumSGPRsForWavesPerEU: 27
; NumVGPRsForWavesPerEU: 19
; AccumOffset: 20
; Occupancy: 8
; WaveLimiterHint : 0
; COMPUTE_PGM_RSRC2:SCRATCH_EN: 0
; COMPUTE_PGM_RSRC2:USER_SGPR: 6
; COMPUTE_PGM_RSRC2:TRAP_HANDLER: 0
; COMPUTE_PGM_RSRC2:TGID_X_EN: 1
; COMPUTE_PGM_RSRC2:TGID_Y_EN: 0
; COMPUTE_PGM_RSRC2:TGID_Z_EN: 0
; COMPUTE_PGM_RSRC2:TIDIG_COMP_CNT: 1
; COMPUTE_PGM_RSRC3_GFX90A:ACCUM_OFFSET: 4
; COMPUTE_PGM_RSRC3_GFX90A:TG_SPLIT: 0
	.section	.text._ZN4vllm3moe10topkGatingILi1ELi1ELi4ELi2ELi32Ei14__hip_bfloat16LNS0_11ScoringFuncE0EEEvPKT5_PKbPfiPT4_PiiiibPKf,"axG",@progbits,_ZN4vllm3moe10topkGatingILi1ELi1ELi4ELi2ELi32Ei14__hip_bfloat16LNS0_11ScoringFuncE0EEEvPKT5_PKbPfiPT4_PiiiibPKf,comdat
	.protected	_ZN4vllm3moe10topkGatingILi1ELi1ELi4ELi2ELi32Ei14__hip_bfloat16LNS0_11ScoringFuncE0EEEvPKT5_PKbPfiPT4_PiiiibPKf ; -- Begin function _ZN4vllm3moe10topkGatingILi1ELi1ELi4ELi2ELi32Ei14__hip_bfloat16LNS0_11ScoringFuncE0EEEvPKT5_PKbPfiPT4_PiiiibPKf
	.globl	_ZN4vllm3moe10topkGatingILi1ELi1ELi4ELi2ELi32Ei14__hip_bfloat16LNS0_11ScoringFuncE0EEEvPKT5_PKbPfiPT4_PiiiibPKf
	.p2align	8
	.type	_ZN4vllm3moe10topkGatingILi1ELi1ELi4ELi2ELi32Ei14__hip_bfloat16LNS0_11ScoringFuncE0EEEvPKT5_PKbPfiPT4_PiiiibPKf,@function
_ZN4vllm3moe10topkGatingILi1ELi1ELi4ELi2ELi32Ei14__hip_bfloat16LNS0_11ScoringFuncE0EEEvPKT5_PKbPfiPT4_PiiiibPKf: ; @_ZN4vllm3moe10topkGatingILi1ELi1ELi4ELi2ELi32Ei14__hip_bfloat16LNS0_11ScoringFuncE0EEEvPKT5_PKbPfiPT4_PiiiibPKf
; %bb.0:
	s_load_dword s18, s[4:5], 0x18
	v_bfe_u32 v1, v0, 10, 10
	s_lshl_b32 s0, s6, 7
	v_lshlrev_b32_e32 v1, 5, v1
	v_and_b32_e32 v0, 0x3ff, v0
	v_add3_u32 v0, v1, v0, s0
	s_waitcnt lgkmcnt(0)
	v_cmp_gt_i32_e32 vcc, s18, v0
	s_and_saveexec_b64 s[0:1], vcc
	s_cbranch_execz .LBB128_17
; %bb.1:
	s_load_dwordx4 s[12:15], s[4:5], 0x0
	s_load_dwordx2 s[2:3], s[4:5], 0x10
	v_ashrrev_i32_e32 v1, 31, v0
	s_waitcnt lgkmcnt(0)
	s_cmp_eq_u64 s[14:15], 0
	s_cbranch_scc1 .LBB128_3
; %bb.2:
	v_mov_b32_e32 v3, s15
	v_add_co_u32_e32 v2, vcc, s14, v0
	v_addc_co_u32_e32 v3, vcc, v3, v1, vcc
	global_load_ubyte v2, v[2:3], off
	s_waitcnt vmcnt(0)
	v_and_b32_e32 v2, 1, v2
	v_cmp_eq_u32_e32 vcc, 1, v2
	s_xor_b64 s[0:1], vcc, -1
	s_orn2_b64 s[16:17], s[0:1], exec
	s_branch .LBB128_4
.LBB128_3:
	s_mov_b64 s[16:17], -1
.LBB128_4:
	s_load_dwordx4 s[8:11], s[4:5], 0x30
	s_waitcnt lgkmcnt(0)
	s_bitcmp1_b32 s11, 0
	s_cselect_b64 s[0:1], -1, 0
	s_cmp_gt_i32 s8, 0
	s_cselect_b64 s[14:15], -1, 0
	s_cmp_lt_i32 s8, 1
	s_cbranch_scc1 .LBB128_8
; %bb.5:
	v_lshlrev_b64 v[2:3], 1, v[0:1]
	v_mov_b32_e32 v1, s13
	v_add_co_u32_e32 v2, vcc, s12, v2
	v_addc_co_u32_e32 v3, vcc, v1, v3, vcc
	global_load_ushort v4, v[2:3], off
	s_mov_b32 s19, 0x3fb8aa3b
	v_mul_lo_u32 v2, v0, s8
	s_load_dwordx4 s[4:7], s[4:5], 0x20
	s_cmp_lt_i32 s9, 1
	v_ashrrev_i32_e32 v3, 31, v2
	s_cselect_b64 s[12:13], -1, 0
	s_cmp_gt_i32 s10, 0
	v_lshlrev_b64 v[6:7], 2, v[2:3]
	v_mov_b32_e32 v5, s3
	s_cselect_b64 s[10:11], -1, 0
	v_add_co_u32_e32 v2, vcc, s2, v6
	s_sub_i32 s9, 0, s9
	s_and_b64 s[10:11], s[12:13], s[10:11]
	v_addc_co_u32_e32 v3, vcc, v5, v7, vcc
	v_mov_b32_e32 v9, s9
	s_and_b64 vcc, s[16:17], s[10:11]
	v_cndmask_b32_e32 v9, 1, v9, vcc
	s_waitcnt lgkmcnt(0)
	v_mov_b32_e32 v5, s5
	s_mov_b32 s20, 0xc2ce8ed0
	s_mov_b32 s21, 0x42b17218
	v_mov_b32_e32 v10, 0x7f800000
	v_mov_b32_e32 v11, s7
	s_movk_i32 s22, 0x1f8
	v_mov_b32_e32 v1, 0
	v_mov_b32_e32 v8, v0
	s_waitcnt vmcnt(0)
	v_lshlrev_b32_e32 v4, 16, v4
	v_sub_f32_e32 v12, v4, v4
	v_mul_f32_e32 v4, 0x3fb8aa3b, v12
	v_fma_f32 v13, v12, s19, -v4
	v_rndne_f32_e32 v14, v4
	v_fmac_f32_e32 v13, 0x32a5705f, v12
	v_sub_f32_e32 v4, v4, v14
	v_add_f32_e32 v4, v4, v13
	v_cvt_i32_f32_e32 v14, v14
	v_exp_f32_e32 v13, v4
	v_add_co_u32_e32 v4, vcc, s4, v6
	v_addc_co_u32_e32 v5, vcc, v5, v7, vcc
	v_ldexp_f32 v13, v13, v14
	v_cmp_ngt_f32_e32 vcc, s20, v12
	v_cndmask_b32_e32 v13, 0, v13, vcc
	v_cmp_nlt_f32_e32 vcc, s21, v12
	v_cndmask_b32_e32 v10, v10, v13, vcc
	v_div_scale_f32 v12, s[4:5], v10, v10, 1.0
	v_rcp_f32_e32 v13, v12
	v_add_co_u32_e32 v6, vcc, s6, v6
	v_addc_co_u32_e32 v7, vcc, v11, v7, vcc
	v_fma_f32 v14, -v12, v13, 1.0
	v_div_scale_f32 v11, vcc, 1.0, v10, 1.0
	v_fmac_f32_e32 v13, v14, v13
	v_mul_f32_e32 v14, v11, v13
	v_fma_f32 v15, -v12, v14, v11
	v_fmac_f32_e32 v14, v15, v13
	v_fma_f32 v11, -v12, v14, v11
	v_div_fmas_f32 v11, v11, v13, v14
	v_div_fixup_f32 v11, v11, v10, 1.0
	v_mul_f32_e32 v10, v10, v11
	v_cmp_class_f32_e64 vcc, v10, s22
	v_cndmask_b32_e32 v10, 0, v10, vcc
	s_mov_b32 s4, s8
.LBB128_6:                              ; =>This Inner Loop Header: Depth=1
	global_store_dword v[2:3], v10, off
	global_store_dword v[4:5], v9, off
	;; [unrolled: 1-line block ×3, first 2 shown]
	v_add_co_u32_e32 v2, vcc, 4, v2
	v_addc_co_u32_e32 v3, vcc, 0, v3, vcc
	v_add_co_u32_e32 v4, vcc, 4, v4
	v_addc_co_u32_e32 v5, vcc, 0, v5, vcc
	v_add_f32_e32 v11, v1, v10
	s_add_i32 s4, s4, -1
	v_add_co_u32_e32 v6, vcc, 4, v6
	v_cndmask_b32_e64 v1, v1, v11, s[0:1]
	v_add_u32_e32 v8, s18, v8
	s_cmp_lg_u32 s4, 0
	v_addc_co_u32_e32 v7, vcc, 0, v7, vcc
	s_cbranch_scc1 .LBB128_6
; %bb.7:
	s_andn2_b64 vcc, exec, s[0:1]
	s_cbranch_vccz .LBB128_9
	s_branch .LBB128_17
.LBB128_8:
	v_mov_b32_e32 v1, 0
	s_andn2_b64 vcc, exec, s[0:1]
	s_cbranch_vccnz .LBB128_17
.LBB128_9:
	s_andn2_b64 vcc, exec, s[14:15]
	s_cbranch_vccnz .LBB128_17
; %bb.10:
	v_cmp_lt_f32_e32 vcc, 0, v1
	s_mov_b32 s4, 0
	v_cndmask_b32_e32 v2, 1.0, v1, vcc
	v_mul_lo_u32 v0, v0, s8
	s_cmp_eq_u32 s8, 1
	s_mov_b64 s[0:1], -1
	s_cbranch_scc1 .LBB128_14
; %bb.11:
	s_and_b32 s4, s8, 0x7ffffffe
	v_mov_b32_e32 v1, v2
	v_mov_b32_e32 v3, s3
	s_mov_b32 s5, s4
	v_mov_b32_e32 v4, v0
.LBB128_12:                             ; =>This Inner Loop Header: Depth=1
	v_ashrrev_i32_e32 v5, 31, v4
	v_lshlrev_b64 v[6:7], 2, v[4:5]
	v_add_co_u32_e32 v6, vcc, s2, v6
	v_addc_co_u32_e32 v7, vcc, v3, v7, vcc
	global_load_dwordx2 v[8:9], v[6:7], off
	s_add_i32 s5, s5, -2
	s_cmp_lg_u32 s5, 0
	v_add_u32_e32 v4, 2, v4
	s_waitcnt vmcnt(0)
	v_div_scale_f32 v5, s[0:1], v1, v1, v9
	v_div_scale_f32 v11, s[0:1], v2, v2, v8
	v_rcp_f32_e32 v12, v5
	v_rcp_f32_e32 v13, v11
	v_div_scale_f32 v10, vcc, v9, v1, v9
	v_fma_f32 v15, -v5, v12, 1.0
	v_fma_f32 v16, -v11, v13, 1.0
	v_fmac_f32_e32 v12, v15, v12
	v_div_scale_f32 v14, s[0:1], v8, v2, v8
	v_fmac_f32_e32 v13, v16, v13
	v_mul_f32_e32 v15, v10, v12
	v_mul_f32_e32 v16, v14, v13
	v_fma_f32 v17, -v5, v15, v10
	v_fma_f32 v18, -v11, v16, v14
	v_fmac_f32_e32 v15, v17, v12
	v_fmac_f32_e32 v16, v18, v13
	v_fma_f32 v5, -v5, v15, v10
	v_fma_f32 v10, -v11, v16, v14
	v_div_fmas_f32 v5, v5, v12, v15
	s_mov_b64 vcc, s[0:1]
	v_div_fixup_f32 v9, v5, v1, v9
	v_div_fmas_f32 v5, v10, v13, v16
	v_div_fixup_f32 v8, v5, v2, v8
	global_store_dwordx2 v[6:7], v[8:9], off
	s_cbranch_scc1 .LBB128_12
; %bb.13:
	s_cmp_lg_u32 s4, s8
	s_cselect_b64 s[0:1], -1, 0
.LBB128_14:
	s_and_b64 vcc, exec, s[0:1]
	s_cbranch_vccz .LBB128_17
; %bb.15:
	v_ashrrev_i32_e32 v1, 31, v0
	v_add_co_u32_e32 v0, vcc, s4, v0
	v_addc_co_u32_e32 v1, vcc, 0, v1, vcc
	v_lshlrev_b64 v[0:1], 2, v[0:1]
	v_mov_b32_e32 v3, s3
	v_add_co_u32_e32 v0, vcc, s2, v0
	s_sub_i32 s0, s8, s4
	v_addc_co_u32_e32 v1, vcc, v3, v1, vcc
.LBB128_16:                             ; =>This Inner Loop Header: Depth=1
	global_load_dword v3, v[0:1], off
	s_add_i32 s0, s0, -1
	s_cmp_lg_u32 s0, 0
	s_waitcnt vmcnt(0)
	v_div_scale_f32 v4, s[2:3], v2, v2, v3
	v_rcp_f32_e32 v5, v4
	v_div_scale_f32 v6, vcc, v3, v2, v3
	v_fma_f32 v7, -v4, v5, 1.0
	v_fmac_f32_e32 v5, v7, v5
	v_mul_f32_e32 v7, v6, v5
	v_fma_f32 v8, -v4, v7, v6
	v_fmac_f32_e32 v7, v8, v5
	v_fma_f32 v4, -v4, v7, v6
	v_div_fmas_f32 v4, v4, v5, v7
	v_div_fixup_f32 v3, v4, v2, v3
	global_store_dword v[0:1], v3, off
	v_add_co_u32_e32 v0, vcc, 4, v0
	v_addc_co_u32_e32 v1, vcc, 0, v1, vcc
	s_cbranch_scc1 .LBB128_16
.LBB128_17:
	s_endpgm
	.section	.rodata,"a",@progbits
	.p2align	6, 0x0
	.amdhsa_kernel _ZN4vllm3moe10topkGatingILi1ELi1ELi4ELi2ELi32Ei14__hip_bfloat16LNS0_11ScoringFuncE0EEEvPKT5_PKbPfiPT4_PiiiibPKf
		.amdhsa_group_segment_fixed_size 0
		.amdhsa_private_segment_fixed_size 0
		.amdhsa_kernarg_size 72
		.amdhsa_user_sgpr_count 6
		.amdhsa_user_sgpr_private_segment_buffer 1
		.amdhsa_user_sgpr_dispatch_ptr 0
		.amdhsa_user_sgpr_queue_ptr 0
		.amdhsa_user_sgpr_kernarg_segment_ptr 1
		.amdhsa_user_sgpr_dispatch_id 0
		.amdhsa_user_sgpr_flat_scratch_init 0
		.amdhsa_user_sgpr_kernarg_preload_length 0
		.amdhsa_user_sgpr_kernarg_preload_offset 0
		.amdhsa_user_sgpr_private_segment_size 0
		.amdhsa_uses_dynamic_stack 0
		.amdhsa_system_sgpr_private_segment_wavefront_offset 0
		.amdhsa_system_sgpr_workgroup_id_x 1
		.amdhsa_system_sgpr_workgroup_id_y 0
		.amdhsa_system_sgpr_workgroup_id_z 0
		.amdhsa_system_sgpr_workgroup_info 0
		.amdhsa_system_vgpr_workitem_id 1
		.amdhsa_next_free_vgpr 19
		.amdhsa_next_free_sgpr 23
		.amdhsa_accum_offset 20
		.amdhsa_reserve_vcc 1
		.amdhsa_reserve_flat_scratch 0
		.amdhsa_float_round_mode_32 0
		.amdhsa_float_round_mode_16_64 0
		.amdhsa_float_denorm_mode_32 3
		.amdhsa_float_denorm_mode_16_64 3
		.amdhsa_dx10_clamp 1
		.amdhsa_ieee_mode 1
		.amdhsa_fp16_overflow 0
		.amdhsa_tg_split 0
		.amdhsa_exception_fp_ieee_invalid_op 0
		.amdhsa_exception_fp_denorm_src 0
		.amdhsa_exception_fp_ieee_div_zero 0
		.amdhsa_exception_fp_ieee_overflow 0
		.amdhsa_exception_fp_ieee_underflow 0
		.amdhsa_exception_fp_ieee_inexact 0
		.amdhsa_exception_int_div_zero 0
	.end_amdhsa_kernel
	.section	.text._ZN4vllm3moe10topkGatingILi1ELi1ELi4ELi2ELi32Ei14__hip_bfloat16LNS0_11ScoringFuncE0EEEvPKT5_PKbPfiPT4_PiiiibPKf,"axG",@progbits,_ZN4vllm3moe10topkGatingILi1ELi1ELi4ELi2ELi32Ei14__hip_bfloat16LNS0_11ScoringFuncE0EEEvPKT5_PKbPfiPT4_PiiiibPKf,comdat
.Lfunc_end128:
	.size	_ZN4vllm3moe10topkGatingILi1ELi1ELi4ELi2ELi32Ei14__hip_bfloat16LNS0_11ScoringFuncE0EEEvPKT5_PKbPfiPT4_PiiiibPKf, .Lfunc_end128-_ZN4vllm3moe10topkGatingILi1ELi1ELi4ELi2ELi32Ei14__hip_bfloat16LNS0_11ScoringFuncE0EEEvPKT5_PKbPfiPT4_PiiiibPKf
                                        ; -- End function
	.section	.AMDGPU.csdata,"",@progbits
; Kernel info:
; codeLenInByte = 1056
; NumSgprs: 27
; NumVgprs: 19
; NumAgprs: 0
; TotalNumVgprs: 19
; ScratchSize: 0
; MemoryBound: 0
; FloatMode: 240
; IeeeMode: 1
; LDSByteSize: 0 bytes/workgroup (compile time only)
; SGPRBlocks: 3
; VGPRBlocks: 2
; NumSGPRsForWavesPerEU: 27
; NumVGPRsForWavesPerEU: 19
; AccumOffset: 20
; Occupancy: 8
; WaveLimiterHint : 0
; COMPUTE_PGM_RSRC2:SCRATCH_EN: 0
; COMPUTE_PGM_RSRC2:USER_SGPR: 6
; COMPUTE_PGM_RSRC2:TRAP_HANDLER: 0
; COMPUTE_PGM_RSRC2:TGID_X_EN: 1
; COMPUTE_PGM_RSRC2:TGID_Y_EN: 0
; COMPUTE_PGM_RSRC2:TGID_Z_EN: 0
; COMPUTE_PGM_RSRC2:TIDIG_COMP_CNT: 1
; COMPUTE_PGM_RSRC3_GFX90A:ACCUM_OFFSET: 4
; COMPUTE_PGM_RSRC3_GFX90A:TG_SPLIT: 0
	.section	.text._ZN4vllm3moe10topkGatingILi2ELi2ELi4ELi4ELi64Ei14__hip_bfloat16LNS0_11ScoringFuncE0EEEvPKT5_PKbPfiPT4_PiiiibPKf,"axG",@progbits,_ZN4vllm3moe10topkGatingILi2ELi2ELi4ELi4ELi64Ei14__hip_bfloat16LNS0_11ScoringFuncE0EEEvPKT5_PKbPfiPT4_PiiiibPKf,comdat
	.protected	_ZN4vllm3moe10topkGatingILi2ELi2ELi4ELi4ELi64Ei14__hip_bfloat16LNS0_11ScoringFuncE0EEEvPKT5_PKbPfiPT4_PiiiibPKf ; -- Begin function _ZN4vllm3moe10topkGatingILi2ELi2ELi4ELi4ELi64Ei14__hip_bfloat16LNS0_11ScoringFuncE0EEEvPKT5_PKbPfiPT4_PiiiibPKf
	.globl	_ZN4vllm3moe10topkGatingILi2ELi2ELi4ELi4ELi64Ei14__hip_bfloat16LNS0_11ScoringFuncE0EEEvPKT5_PKbPfiPT4_PiiiibPKf
	.p2align	8
	.type	_ZN4vllm3moe10topkGatingILi2ELi2ELi4ELi4ELi64Ei14__hip_bfloat16LNS0_11ScoringFuncE0EEEvPKT5_PKbPfiPT4_PiiiibPKf,@function
_ZN4vllm3moe10topkGatingILi2ELi2ELi4ELi4ELi64Ei14__hip_bfloat16LNS0_11ScoringFuncE0EEEvPKT5_PKbPfiPT4_PiiiibPKf: ; @_ZN4vllm3moe10topkGatingILi2ELi2ELi4ELi4ELi64Ei14__hip_bfloat16LNS0_11ScoringFuncE0EEEvPKT5_PKbPfiPT4_PiiiibPKf
; %bb.0:
	s_load_dword s16, s[4:5], 0x18
	v_bfe_u32 v1, v0, 10, 10
	s_lshl_b32 s0, s6, 8
	v_lshlrev_b32_e32 v1, 6, v1
	v_and_b32_e32 v0, 0x3ff, v0
	v_add3_u32 v10, v1, v0, s0
	s_waitcnt lgkmcnt(0)
	v_cmp_gt_i32_e32 vcc, s16, v10
	s_and_saveexec_b64 s[0:1], vcc
	s_cbranch_execz .LBB129_19
; %bb.1:
	s_load_dwordx4 s[0:3], s[4:5], 0x0
	s_load_dwordx2 s[6:7], s[4:5], 0x10
	s_waitcnt lgkmcnt(0)
	s_cmp_eq_u64 s[2:3], 0
	s_cbranch_scc1 .LBB129_3
; %bb.2:
	v_ashrrev_i32_e32 v1, 31, v10
	v_mov_b32_e32 v2, s3
	v_add_co_u32_e32 v0, vcc, s2, v10
	v_addc_co_u32_e32 v1, vcc, v2, v1, vcc
	global_load_ubyte v0, v[0:1], off
	s_waitcnt vmcnt(0)
	v_and_b32_e32 v0, 1, v0
	v_cmp_eq_u32_e32 vcc, 1, v0
	s_xor_b64 s[2:3], vcc, -1
	s_orn2_b64 s[12:13], s[2:3], exec
	s_branch .LBB129_4
.LBB129_3:
	s_mov_b64 s[12:13], -1
.LBB129_4:
	v_lshlrev_b32_e32 v0, 1, v10
	v_ashrrev_i32_e32 v1, 31, v0
	v_lshlrev_b64 v[0:1], 1, v[0:1]
	v_mov_b32_e32 v2, s1
	v_add_co_u32_e32 v0, vcc, s0, v0
	v_addc_co_u32_e32 v1, vcc, v2, v1, vcc
	global_load_dword v0, v[0:1], off
	s_mov_b32 s2, 0x3fb8aa3b
	s_mov_b32 s3, 0xc2ce8ed0
	;; [unrolled: 1-line block ×3, first 2 shown]
	s_load_dwordx2 s[0:1], s[4:5], 0x40
	s_mov_b32 s9, 0x7f800000
	s_waitcnt lgkmcnt(0)
	s_cmp_eq_u64 s[0:1], 0
	s_waitcnt vmcnt(0)
	v_and_b32_e32 v1, 0xffff0000, v0
	v_lshlrev_b32_e32 v0, 16, v0
	v_max_f32_e32 v2, v1, v1
	v_max_f32_e32 v3, v0, v0
	;; [unrolled: 1-line block ×3, first 2 shown]
	v_pk_add_f32 v[0:1], v[0:1], v[2:3] op_sel_hi:[1,0] neg_lo:[0,1] neg_hi:[0,1]
	v_mul_f32_e32 v2, 0x3fb8aa3b, v1
	v_mul_f32_e32 v3, 0x3fb8aa3b, v0
	v_fma_f32 v4, v1, s2, -v2
	v_rndne_f32_e32 v5, v2
	v_fma_f32 v6, v0, s2, -v3
	v_rndne_f32_e32 v7, v3
	v_fmac_f32_e32 v4, 0x32a5705f, v1
	v_sub_f32_e32 v2, v2, v5
	v_fmac_f32_e32 v6, 0x32a5705f, v0
	v_sub_f32_e32 v3, v3, v7
	v_add_f32_e32 v2, v2, v4
	v_cvt_i32_f32_e32 v5, v5
	v_add_f32_e32 v3, v3, v6
	v_exp_f32_e32 v2, v2
	v_cvt_i32_f32_e32 v7, v7
	v_exp_f32_e32 v3, v3
	v_cmp_ngt_f32_e32 vcc, s3, v1
	v_ldexp_f32 v2, v2, v5
	v_cndmask_b32_e32 v2, 0, v2, vcc
	v_ldexp_f32 v3, v3, v7
	v_cmp_ngt_f32_e32 vcc, s3, v0
	v_mov_b32_e32 v4, 0x7f800000
	v_cndmask_b32_e32 v3, 0, v3, vcc
	v_cmp_nlt_f32_e32 vcc, s8, v1
	v_cndmask_b32_e32 v1, v4, v2, vcc
	v_cmp_nlt_f32_e32 vcc, s8, v0
	v_cndmask_b32_e32 v0, v4, v3, vcc
	v_add_f32_e32 v2, v0, v1
	v_div_scale_f32 v3, s[2:3], v2, v2, 1.0
	v_rcp_f32_e32 v4, v3
	v_div_scale_f32 v5, vcc, 1.0, v2, 1.0
	s_movk_i32 s2, 0x1f8
	v_fma_f32 v6, -v3, v4, 1.0
	v_fmac_f32_e32 v4, v6, v4
	v_mul_f32_e32 v6, v5, v4
	v_fma_f32 v7, -v3, v6, v5
	v_fmac_f32_e32 v6, v7, v4
	v_fma_f32 v3, -v3, v6, v5
	v_div_fmas_f32 v3, v3, v4, v6
	v_div_fixup_f32 v2, v3, v2, 1.0
	v_pk_mul_f32 v[0:1], v[2:3], v[0:1] op_sel_hi:[0,1]
	v_cmp_nlg_f32_e64 vcc, |v0|, s9
	v_cndmask_b32_e32 v1, v1, v1, vcc
	v_cndmask_b32_e64 v0, v0, 0, vcc
	v_cmp_class_f32_e64 vcc, v1, s2
	v_cndmask_b32_e32 v1, 0, v1, vcc
	v_pk_mov_b32 v[2:3], v[0:1], v[0:1] op_sel:[0,1]
	s_cbranch_scc1 .LBB129_6
; %bb.5:
	s_load_dwordx2 s[0:1], s[0:1], 0x0
	s_waitcnt lgkmcnt(0)
	v_pk_add_f32 v[2:3], v[0:1], s[0:1]
.LBB129_6:
	s_load_dwordx4 s[8:11], s[4:5], 0x30
	s_waitcnt lgkmcnt(0)
	s_bitcmp1_b32 s11, 0
	s_cselect_b64 vcc, -1, 0
	s_cmp_gt_i32 s8, 0
	s_cselect_b64 s[14:15], -1, 0
	s_cmp_lt_i32 s8, 1
	s_cbranch_scc1 .LBB129_10
; %bb.7:
	s_load_dwordx4 s[20:23], s[4:5], 0x20
	v_mul_lo_u32 v4, v10, s8
	v_ashrrev_i32_e32 v5, 31, v4
	v_lshlrev_b64 v[8:9], 2, v[4:5]
	v_mov_b32_e32 v5, s7
	v_add_co_u32_e64 v4, s[0:1], s6, v8
	v_addc_co_u32_e64 v5, s[0:1], v5, v9, s[0:1]
	s_waitcnt lgkmcnt(0)
	v_mov_b32_e32 v7, s21
	v_add_co_u32_e64 v6, s[0:1], s20, v8
	v_addc_co_u32_e64 v7, s[0:1], v7, v9, s[0:1]
	v_mov_b32_e32 v11, s23
	v_add_co_u32_e64 v8, s[0:1], s22, v8
	v_addc_co_u32_e64 v9, s[0:1], v11, v9, s[0:1]
	s_mov_b32 s11, 0
	v_mov_b32_e32 v11, 0
	v_mov_b32_e32 v12, 0xc61c4000
	;; [unrolled: 1-line block ×3, first 2 shown]
.LBB129_8:                              ; =>This Inner Loop Header: Depth=1
	v_cmp_gt_f32_e64 s[0:1], v3, v2
	v_cndmask_b32_e64 v15, 0, 1, s[0:1]
	v_cmp_le_i32_e64 s[2:3], s9, v15
	v_cmp_gt_i32_e64 s[4:5], s10, v15
	s_and_b64 s[2:3], s[2:3], s[4:5]
	v_cndmask_b32_e64 v14, v0, v1, s[0:1]
	v_subrev_u32_e32 v15, s9, v15
	s_and_b64 s[2:3], s[12:13], s[2:3]
	s_add_i32 s11, s11, 1
	global_store_dword v[4:5], v14, off
	v_cndmask_b32_e64 v15, 2, v15, s[2:3]
	v_add_f32_e32 v14, v11, v14
	s_cmp_lt_i32 s11, s8
	global_store_dword v[6:7], v15, off
	global_store_dword v[8:9], v13, off
	v_cndmask_b32_e32 v11, v11, v14, vcc
	v_cndmask_b32_e64 v14, v12, v2, s[0:1]
	v_cndmask_b32_e64 v15, v3, v12, s[0:1]
	s_cselect_b64 s[0:1], -1, 0
	v_cndmask_b32_e64 v3, v3, v15, s[0:1]
	v_cndmask_b32_e64 v2, v2, v14, s[0:1]
	v_add_co_u32_e64 v4, s[0:1], 4, v4
	v_addc_co_u32_e64 v5, s[0:1], 0, v5, s[0:1]
	v_add_co_u32_e64 v6, s[0:1], 4, v6
	v_addc_co_u32_e64 v7, s[0:1], 0, v7, s[0:1]
	v_add_co_u32_e64 v8, s[0:1], 4, v8
	v_add_u32_e32 v13, s16, v13
	s_cmp_eq_u32 s8, s11
	v_addc_co_u32_e64 v9, s[0:1], 0, v9, s[0:1]
	s_cbranch_scc0 .LBB129_8
; %bb.9:
	s_and_b64 vcc, exec, vcc
	s_cbranch_vccnz .LBB129_11
	s_branch .LBB129_19
.LBB129_10:
	v_mov_b32_e32 v11, 0
	s_and_b64 vcc, exec, vcc
	s_cbranch_vccz .LBB129_19
.LBB129_11:
	s_andn2_b64 vcc, exec, s[14:15]
	s_cbranch_vccnz .LBB129_19
; %bb.12:
	v_cmp_lt_f32_e32 vcc, 0, v11
	s_mov_b32 s2, 0
	v_cndmask_b32_e32 v0, 1.0, v11, vcc
	v_mul_lo_u32 v4, v10, s8
	s_cmp_eq_u32 s8, 1
	s_mov_b64 s[0:1], -1
	s_cbranch_scc1 .LBB129_16
; %bb.13:
	s_and_b32 s2, s8, 0x7ffffffe
	v_mov_b32_e32 v1, v0
	v_mov_b32_e32 v5, s7
	s_mov_b32 s3, s2
	v_mov_b32_e32 v2, v4
.LBB129_14:                             ; =>This Inner Loop Header: Depth=1
	v_ashrrev_i32_e32 v3, 31, v2
	v_lshlrev_b64 v[6:7], 2, v[2:3]
	v_add_co_u32_e32 v6, vcc, s6, v6
	v_addc_co_u32_e32 v7, vcc, v5, v7, vcc
	global_load_dwordx2 v[8:9], v[6:7], off
	s_add_i32 s3, s3, -2
	s_cmp_lg_u32 s3, 0
	v_add_u32_e32 v2, 2, v2
	s_waitcnt vmcnt(0)
	v_div_scale_f32 v3, s[0:1], v1, v1, v9
	v_div_scale_f32 v11, s[0:1], v0, v0, v8
	v_rcp_f32_e32 v12, v3
	v_rcp_f32_e32 v13, v11
	v_div_scale_f32 v10, vcc, v9, v1, v9
	v_fma_f32 v15, -v3, v12, 1.0
	v_fma_f32 v16, -v11, v13, 1.0
	v_fmac_f32_e32 v12, v15, v12
	v_div_scale_f32 v14, s[0:1], v8, v0, v8
	v_fmac_f32_e32 v13, v16, v13
	v_mul_f32_e32 v15, v10, v12
	v_mul_f32_e32 v16, v14, v13
	v_fma_f32 v17, -v3, v15, v10
	v_fma_f32 v18, -v11, v16, v14
	v_fmac_f32_e32 v15, v17, v12
	v_fmac_f32_e32 v16, v18, v13
	v_fma_f32 v3, -v3, v15, v10
	v_fma_f32 v10, -v11, v16, v14
	v_div_fmas_f32 v3, v3, v12, v15
	s_mov_b64 vcc, s[0:1]
	v_div_fixup_f32 v9, v3, v1, v9
	v_div_fmas_f32 v3, v10, v13, v16
	v_div_fixup_f32 v8, v3, v0, v8
	global_store_dwordx2 v[6:7], v[8:9], off
	s_cbranch_scc1 .LBB129_14
; %bb.15:
	s_cmp_lg_u32 s2, s8
	s_cselect_b64 s[0:1], -1, 0
.LBB129_16:
	s_and_b64 vcc, exec, s[0:1]
	s_cbranch_vccz .LBB129_19
; %bb.17:
	v_ashrrev_i32_e32 v1, 31, v4
	v_add_co_u32_e32 v2, vcc, s2, v4
	v_addc_co_u32_e32 v3, vcc, 0, v1, vcc
	v_lshlrev_b64 v[2:3], 2, v[2:3]
	v_mov_b32_e32 v1, s7
	v_add_co_u32_e32 v2, vcc, s6, v2
	s_sub_i32 s0, s8, s2
	v_addc_co_u32_e32 v3, vcc, v1, v3, vcc
.LBB129_18:                             ; =>This Inner Loop Header: Depth=1
	global_load_dword v1, v[2:3], off
	s_add_i32 s0, s0, -1
	s_cmp_lg_u32 s0, 0
	s_waitcnt vmcnt(0)
	v_div_scale_f32 v4, s[2:3], v0, v0, v1
	v_rcp_f32_e32 v5, v4
	v_div_scale_f32 v6, vcc, v1, v0, v1
	v_fma_f32 v7, -v4, v5, 1.0
	v_fmac_f32_e32 v5, v7, v5
	v_mul_f32_e32 v7, v6, v5
	v_fma_f32 v8, -v4, v7, v6
	v_fmac_f32_e32 v7, v8, v5
	v_fma_f32 v4, -v4, v7, v6
	v_div_fmas_f32 v4, v4, v5, v7
	v_div_fixup_f32 v1, v4, v0, v1
	global_store_dword v[2:3], v1, off
	v_add_co_u32_e32 v2, vcc, 4, v2
	v_addc_co_u32_e32 v3, vcc, 0, v3, vcc
	s_cbranch_scc1 .LBB129_18
.LBB129_19:
	s_endpgm
	.section	.rodata,"a",@progbits
	.p2align	6, 0x0
	.amdhsa_kernel _ZN4vllm3moe10topkGatingILi2ELi2ELi4ELi4ELi64Ei14__hip_bfloat16LNS0_11ScoringFuncE0EEEvPKT5_PKbPfiPT4_PiiiibPKf
		.amdhsa_group_segment_fixed_size 0
		.amdhsa_private_segment_fixed_size 0
		.amdhsa_kernarg_size 72
		.amdhsa_user_sgpr_count 6
		.amdhsa_user_sgpr_private_segment_buffer 1
		.amdhsa_user_sgpr_dispatch_ptr 0
		.amdhsa_user_sgpr_queue_ptr 0
		.amdhsa_user_sgpr_kernarg_segment_ptr 1
		.amdhsa_user_sgpr_dispatch_id 0
		.amdhsa_user_sgpr_flat_scratch_init 0
		.amdhsa_user_sgpr_kernarg_preload_length 0
		.amdhsa_user_sgpr_kernarg_preload_offset 0
		.amdhsa_user_sgpr_private_segment_size 0
		.amdhsa_uses_dynamic_stack 0
		.amdhsa_system_sgpr_private_segment_wavefront_offset 0
		.amdhsa_system_sgpr_workgroup_id_x 1
		.amdhsa_system_sgpr_workgroup_id_y 0
		.amdhsa_system_sgpr_workgroup_id_z 0
		.amdhsa_system_sgpr_workgroup_info 0
		.amdhsa_system_vgpr_workitem_id 1
		.amdhsa_next_free_vgpr 19
		.amdhsa_next_free_sgpr 24
		.amdhsa_accum_offset 20
		.amdhsa_reserve_vcc 1
		.amdhsa_reserve_flat_scratch 0
		.amdhsa_float_round_mode_32 0
		.amdhsa_float_round_mode_16_64 0
		.amdhsa_float_denorm_mode_32 3
		.amdhsa_float_denorm_mode_16_64 3
		.amdhsa_dx10_clamp 1
		.amdhsa_ieee_mode 1
		.amdhsa_fp16_overflow 0
		.amdhsa_tg_split 0
		.amdhsa_exception_fp_ieee_invalid_op 0
		.amdhsa_exception_fp_denorm_src 0
		.amdhsa_exception_fp_ieee_div_zero 0
		.amdhsa_exception_fp_ieee_overflow 0
		.amdhsa_exception_fp_ieee_underflow 0
		.amdhsa_exception_fp_ieee_inexact 0
		.amdhsa_exception_int_div_zero 0
	.end_amdhsa_kernel
	.section	.text._ZN4vllm3moe10topkGatingILi2ELi2ELi4ELi4ELi64Ei14__hip_bfloat16LNS0_11ScoringFuncE0EEEvPKT5_PKbPfiPT4_PiiiibPKf,"axG",@progbits,_ZN4vllm3moe10topkGatingILi2ELi2ELi4ELi4ELi64Ei14__hip_bfloat16LNS0_11ScoringFuncE0EEEvPKT5_PKbPfiPT4_PiiiibPKf,comdat
.Lfunc_end129:
	.size	_ZN4vllm3moe10topkGatingILi2ELi2ELi4ELi4ELi64Ei14__hip_bfloat16LNS0_11ScoringFuncE0EEEvPKT5_PKbPfiPT4_PiiiibPKf, .Lfunc_end129-_ZN4vllm3moe10topkGatingILi2ELi2ELi4ELi4ELi64Ei14__hip_bfloat16LNS0_11ScoringFuncE0EEEvPKT5_PKbPfiPT4_PiiiibPKf
                                        ; -- End function
	.section	.AMDGPU.csdata,"",@progbits
; Kernel info:
; codeLenInByte = 1356
; NumSgprs: 28
; NumVgprs: 19
; NumAgprs: 0
; TotalNumVgprs: 19
; ScratchSize: 0
; MemoryBound: 1
; FloatMode: 240
; IeeeMode: 1
; LDSByteSize: 0 bytes/workgroup (compile time only)
; SGPRBlocks: 3
; VGPRBlocks: 2
; NumSGPRsForWavesPerEU: 28
; NumVGPRsForWavesPerEU: 19
; AccumOffset: 20
; Occupancy: 8
; WaveLimiterHint : 0
; COMPUTE_PGM_RSRC2:SCRATCH_EN: 0
; COMPUTE_PGM_RSRC2:USER_SGPR: 6
; COMPUTE_PGM_RSRC2:TRAP_HANDLER: 0
; COMPUTE_PGM_RSRC2:TGID_X_EN: 1
; COMPUTE_PGM_RSRC2:TGID_Y_EN: 0
; COMPUTE_PGM_RSRC2:TGID_Z_EN: 0
; COMPUTE_PGM_RSRC2:TIDIG_COMP_CNT: 1
; COMPUTE_PGM_RSRC3_GFX90A:ACCUM_OFFSET: 4
; COMPUTE_PGM_RSRC3_GFX90A:TG_SPLIT: 0
	.section	.text._ZN4vllm3moe10topkGatingILi2ELi2ELi4ELi4ELi32Ei14__hip_bfloat16LNS0_11ScoringFuncE0EEEvPKT5_PKbPfiPT4_PiiiibPKf,"axG",@progbits,_ZN4vllm3moe10topkGatingILi2ELi2ELi4ELi4ELi32Ei14__hip_bfloat16LNS0_11ScoringFuncE0EEEvPKT5_PKbPfiPT4_PiiiibPKf,comdat
	.protected	_ZN4vllm3moe10topkGatingILi2ELi2ELi4ELi4ELi32Ei14__hip_bfloat16LNS0_11ScoringFuncE0EEEvPKT5_PKbPfiPT4_PiiiibPKf ; -- Begin function _ZN4vllm3moe10topkGatingILi2ELi2ELi4ELi4ELi32Ei14__hip_bfloat16LNS0_11ScoringFuncE0EEEvPKT5_PKbPfiPT4_PiiiibPKf
	.globl	_ZN4vllm3moe10topkGatingILi2ELi2ELi4ELi4ELi32Ei14__hip_bfloat16LNS0_11ScoringFuncE0EEEvPKT5_PKbPfiPT4_PiiiibPKf
	.p2align	8
	.type	_ZN4vllm3moe10topkGatingILi2ELi2ELi4ELi4ELi32Ei14__hip_bfloat16LNS0_11ScoringFuncE0EEEvPKT5_PKbPfiPT4_PiiiibPKf,@function
_ZN4vllm3moe10topkGatingILi2ELi2ELi4ELi4ELi32Ei14__hip_bfloat16LNS0_11ScoringFuncE0EEEvPKT5_PKbPfiPT4_PiiiibPKf: ; @_ZN4vllm3moe10topkGatingILi2ELi2ELi4ELi4ELi32Ei14__hip_bfloat16LNS0_11ScoringFuncE0EEEvPKT5_PKbPfiPT4_PiiiibPKf
; %bb.0:
	s_load_dword s16, s[4:5], 0x18
	v_bfe_u32 v1, v0, 10, 10
	s_lshl_b32 s0, s6, 7
	v_lshlrev_b32_e32 v1, 5, v1
	v_and_b32_e32 v0, 0x3ff, v0
	v_add3_u32 v10, v1, v0, s0
	s_waitcnt lgkmcnt(0)
	v_cmp_gt_i32_e32 vcc, s16, v10
	s_and_saveexec_b64 s[0:1], vcc
	s_cbranch_execz .LBB130_19
; %bb.1:
	s_load_dwordx4 s[0:3], s[4:5], 0x0
	s_load_dwordx2 s[6:7], s[4:5], 0x10
	s_waitcnt lgkmcnt(0)
	s_cmp_eq_u64 s[2:3], 0
	s_cbranch_scc1 .LBB130_3
; %bb.2:
	v_ashrrev_i32_e32 v1, 31, v10
	v_mov_b32_e32 v2, s3
	v_add_co_u32_e32 v0, vcc, s2, v10
	v_addc_co_u32_e32 v1, vcc, v2, v1, vcc
	global_load_ubyte v0, v[0:1], off
	s_waitcnt vmcnt(0)
	v_and_b32_e32 v0, 1, v0
	v_cmp_eq_u32_e32 vcc, 1, v0
	s_xor_b64 s[2:3], vcc, -1
	s_orn2_b64 s[12:13], s[2:3], exec
	s_branch .LBB130_4
.LBB130_3:
	s_mov_b64 s[12:13], -1
.LBB130_4:
	v_lshlrev_b32_e32 v0, 1, v10
	v_ashrrev_i32_e32 v1, 31, v0
	v_lshlrev_b64 v[0:1], 1, v[0:1]
	v_mov_b32_e32 v2, s1
	v_add_co_u32_e32 v0, vcc, s0, v0
	v_addc_co_u32_e32 v1, vcc, v2, v1, vcc
	global_load_dword v0, v[0:1], off
	s_mov_b32 s2, 0x3fb8aa3b
	s_mov_b32 s3, 0xc2ce8ed0
	;; [unrolled: 1-line block ×3, first 2 shown]
	s_load_dwordx2 s[0:1], s[4:5], 0x40
	s_mov_b32 s9, 0x7f800000
	s_waitcnt lgkmcnt(0)
	s_cmp_eq_u64 s[0:1], 0
	s_waitcnt vmcnt(0)
	v_and_b32_e32 v1, 0xffff0000, v0
	v_lshlrev_b32_e32 v0, 16, v0
	v_max_f32_e32 v2, v1, v1
	v_max_f32_e32 v3, v0, v0
	;; [unrolled: 1-line block ×3, first 2 shown]
	v_pk_add_f32 v[0:1], v[0:1], v[2:3] op_sel_hi:[1,0] neg_lo:[0,1] neg_hi:[0,1]
	v_mul_f32_e32 v2, 0x3fb8aa3b, v1
	v_mul_f32_e32 v3, 0x3fb8aa3b, v0
	v_fma_f32 v4, v1, s2, -v2
	v_rndne_f32_e32 v5, v2
	v_fma_f32 v6, v0, s2, -v3
	v_rndne_f32_e32 v7, v3
	v_fmac_f32_e32 v4, 0x32a5705f, v1
	v_sub_f32_e32 v2, v2, v5
	v_fmac_f32_e32 v6, 0x32a5705f, v0
	v_sub_f32_e32 v3, v3, v7
	v_add_f32_e32 v2, v2, v4
	v_cvt_i32_f32_e32 v5, v5
	v_add_f32_e32 v3, v3, v6
	v_exp_f32_e32 v2, v2
	v_cvt_i32_f32_e32 v7, v7
	v_exp_f32_e32 v3, v3
	v_cmp_ngt_f32_e32 vcc, s3, v1
	v_ldexp_f32 v2, v2, v5
	v_cndmask_b32_e32 v2, 0, v2, vcc
	v_ldexp_f32 v3, v3, v7
	v_cmp_ngt_f32_e32 vcc, s3, v0
	v_mov_b32_e32 v4, 0x7f800000
	v_cndmask_b32_e32 v3, 0, v3, vcc
	v_cmp_nlt_f32_e32 vcc, s8, v1
	v_cndmask_b32_e32 v1, v4, v2, vcc
	v_cmp_nlt_f32_e32 vcc, s8, v0
	v_cndmask_b32_e32 v0, v4, v3, vcc
	v_add_f32_e32 v2, v0, v1
	v_div_scale_f32 v3, s[2:3], v2, v2, 1.0
	v_rcp_f32_e32 v4, v3
	v_div_scale_f32 v5, vcc, 1.0, v2, 1.0
	s_movk_i32 s2, 0x1f8
	v_fma_f32 v6, -v3, v4, 1.0
	v_fmac_f32_e32 v4, v6, v4
	v_mul_f32_e32 v6, v5, v4
	v_fma_f32 v7, -v3, v6, v5
	v_fmac_f32_e32 v6, v7, v4
	v_fma_f32 v3, -v3, v6, v5
	v_div_fmas_f32 v3, v3, v4, v6
	v_div_fixup_f32 v2, v3, v2, 1.0
	v_pk_mul_f32 v[0:1], v[2:3], v[0:1] op_sel_hi:[0,1]
	v_cmp_nlg_f32_e64 vcc, |v0|, s9
	v_cndmask_b32_e32 v1, v1, v1, vcc
	v_cndmask_b32_e64 v0, v0, 0, vcc
	v_cmp_class_f32_e64 vcc, v1, s2
	v_cndmask_b32_e32 v1, 0, v1, vcc
	v_pk_mov_b32 v[2:3], v[0:1], v[0:1] op_sel:[0,1]
	s_cbranch_scc1 .LBB130_6
; %bb.5:
	s_load_dwordx2 s[0:1], s[0:1], 0x0
	s_waitcnt lgkmcnt(0)
	v_pk_add_f32 v[2:3], v[0:1], s[0:1]
.LBB130_6:
	s_load_dwordx4 s[8:11], s[4:5], 0x30
	s_waitcnt lgkmcnt(0)
	s_bitcmp1_b32 s11, 0
	s_cselect_b64 vcc, -1, 0
	s_cmp_gt_i32 s8, 0
	s_cselect_b64 s[14:15], -1, 0
	s_cmp_lt_i32 s8, 1
	s_cbranch_scc1 .LBB130_10
; %bb.7:
	s_load_dwordx4 s[20:23], s[4:5], 0x20
	v_mul_lo_u32 v4, v10, s8
	v_ashrrev_i32_e32 v5, 31, v4
	v_lshlrev_b64 v[8:9], 2, v[4:5]
	v_mov_b32_e32 v5, s7
	v_add_co_u32_e64 v4, s[0:1], s6, v8
	v_addc_co_u32_e64 v5, s[0:1], v5, v9, s[0:1]
	s_waitcnt lgkmcnt(0)
	v_mov_b32_e32 v7, s21
	v_add_co_u32_e64 v6, s[0:1], s20, v8
	v_addc_co_u32_e64 v7, s[0:1], v7, v9, s[0:1]
	v_mov_b32_e32 v11, s23
	v_add_co_u32_e64 v8, s[0:1], s22, v8
	v_addc_co_u32_e64 v9, s[0:1], v11, v9, s[0:1]
	s_mov_b32 s11, 0
	v_mov_b32_e32 v11, 0
	v_mov_b32_e32 v12, 0xc61c4000
	v_mov_b32_e32 v13, v10
.LBB130_8:                              ; =>This Inner Loop Header: Depth=1
	v_cmp_gt_f32_e64 s[0:1], v3, v2
	v_cndmask_b32_e64 v15, 0, 1, s[0:1]
	v_cmp_le_i32_e64 s[2:3], s9, v15
	v_cmp_gt_i32_e64 s[4:5], s10, v15
	s_and_b64 s[2:3], s[2:3], s[4:5]
	v_cndmask_b32_e64 v14, v0, v1, s[0:1]
	v_subrev_u32_e32 v15, s9, v15
	s_and_b64 s[2:3], s[12:13], s[2:3]
	s_add_i32 s11, s11, 1
	global_store_dword v[4:5], v14, off
	v_cndmask_b32_e64 v15, 2, v15, s[2:3]
	v_add_f32_e32 v14, v11, v14
	s_cmp_lt_i32 s11, s8
	global_store_dword v[6:7], v15, off
	global_store_dword v[8:9], v13, off
	v_cndmask_b32_e32 v11, v11, v14, vcc
	v_cndmask_b32_e64 v14, v12, v2, s[0:1]
	v_cndmask_b32_e64 v15, v3, v12, s[0:1]
	s_cselect_b64 s[0:1], -1, 0
	v_cndmask_b32_e64 v3, v3, v15, s[0:1]
	v_cndmask_b32_e64 v2, v2, v14, s[0:1]
	v_add_co_u32_e64 v4, s[0:1], 4, v4
	v_addc_co_u32_e64 v5, s[0:1], 0, v5, s[0:1]
	v_add_co_u32_e64 v6, s[0:1], 4, v6
	v_addc_co_u32_e64 v7, s[0:1], 0, v7, s[0:1]
	v_add_co_u32_e64 v8, s[0:1], 4, v8
	v_add_u32_e32 v13, s16, v13
	s_cmp_eq_u32 s8, s11
	v_addc_co_u32_e64 v9, s[0:1], 0, v9, s[0:1]
	s_cbranch_scc0 .LBB130_8
; %bb.9:
	s_and_b64 vcc, exec, vcc
	s_cbranch_vccnz .LBB130_11
	s_branch .LBB130_19
.LBB130_10:
	v_mov_b32_e32 v11, 0
	s_and_b64 vcc, exec, vcc
	s_cbranch_vccz .LBB130_19
.LBB130_11:
	s_andn2_b64 vcc, exec, s[14:15]
	s_cbranch_vccnz .LBB130_19
; %bb.12:
	v_cmp_lt_f32_e32 vcc, 0, v11
	s_mov_b32 s2, 0
	v_cndmask_b32_e32 v0, 1.0, v11, vcc
	v_mul_lo_u32 v4, v10, s8
	s_cmp_eq_u32 s8, 1
	s_mov_b64 s[0:1], -1
	s_cbranch_scc1 .LBB130_16
; %bb.13:
	s_and_b32 s2, s8, 0x7ffffffe
	v_mov_b32_e32 v1, v0
	v_mov_b32_e32 v5, s7
	s_mov_b32 s3, s2
	v_mov_b32_e32 v2, v4
.LBB130_14:                             ; =>This Inner Loop Header: Depth=1
	v_ashrrev_i32_e32 v3, 31, v2
	v_lshlrev_b64 v[6:7], 2, v[2:3]
	v_add_co_u32_e32 v6, vcc, s6, v6
	v_addc_co_u32_e32 v7, vcc, v5, v7, vcc
	global_load_dwordx2 v[8:9], v[6:7], off
	s_add_i32 s3, s3, -2
	s_cmp_lg_u32 s3, 0
	v_add_u32_e32 v2, 2, v2
	s_waitcnt vmcnt(0)
	v_div_scale_f32 v3, s[0:1], v1, v1, v9
	v_div_scale_f32 v11, s[0:1], v0, v0, v8
	v_rcp_f32_e32 v12, v3
	v_rcp_f32_e32 v13, v11
	v_div_scale_f32 v10, vcc, v9, v1, v9
	v_fma_f32 v15, -v3, v12, 1.0
	v_fma_f32 v16, -v11, v13, 1.0
	v_fmac_f32_e32 v12, v15, v12
	v_div_scale_f32 v14, s[0:1], v8, v0, v8
	v_fmac_f32_e32 v13, v16, v13
	v_mul_f32_e32 v15, v10, v12
	v_mul_f32_e32 v16, v14, v13
	v_fma_f32 v17, -v3, v15, v10
	v_fma_f32 v18, -v11, v16, v14
	v_fmac_f32_e32 v15, v17, v12
	v_fmac_f32_e32 v16, v18, v13
	v_fma_f32 v3, -v3, v15, v10
	v_fma_f32 v10, -v11, v16, v14
	v_div_fmas_f32 v3, v3, v12, v15
	s_mov_b64 vcc, s[0:1]
	v_div_fixup_f32 v9, v3, v1, v9
	v_div_fmas_f32 v3, v10, v13, v16
	v_div_fixup_f32 v8, v3, v0, v8
	global_store_dwordx2 v[6:7], v[8:9], off
	s_cbranch_scc1 .LBB130_14
; %bb.15:
	s_cmp_lg_u32 s2, s8
	s_cselect_b64 s[0:1], -1, 0
.LBB130_16:
	s_and_b64 vcc, exec, s[0:1]
	s_cbranch_vccz .LBB130_19
; %bb.17:
	v_ashrrev_i32_e32 v1, 31, v4
	v_add_co_u32_e32 v2, vcc, s2, v4
	v_addc_co_u32_e32 v3, vcc, 0, v1, vcc
	v_lshlrev_b64 v[2:3], 2, v[2:3]
	v_mov_b32_e32 v1, s7
	v_add_co_u32_e32 v2, vcc, s6, v2
	s_sub_i32 s0, s8, s2
	v_addc_co_u32_e32 v3, vcc, v1, v3, vcc
.LBB130_18:                             ; =>This Inner Loop Header: Depth=1
	global_load_dword v1, v[2:3], off
	s_add_i32 s0, s0, -1
	s_cmp_lg_u32 s0, 0
	s_waitcnt vmcnt(0)
	v_div_scale_f32 v4, s[2:3], v0, v0, v1
	v_rcp_f32_e32 v5, v4
	v_div_scale_f32 v6, vcc, v1, v0, v1
	v_fma_f32 v7, -v4, v5, 1.0
	v_fmac_f32_e32 v5, v7, v5
	v_mul_f32_e32 v7, v6, v5
	v_fma_f32 v8, -v4, v7, v6
	v_fmac_f32_e32 v7, v8, v5
	v_fma_f32 v4, -v4, v7, v6
	v_div_fmas_f32 v4, v4, v5, v7
	v_div_fixup_f32 v1, v4, v0, v1
	global_store_dword v[2:3], v1, off
	v_add_co_u32_e32 v2, vcc, 4, v2
	v_addc_co_u32_e32 v3, vcc, 0, v3, vcc
	s_cbranch_scc1 .LBB130_18
.LBB130_19:
	s_endpgm
	.section	.rodata,"a",@progbits
	.p2align	6, 0x0
	.amdhsa_kernel _ZN4vllm3moe10topkGatingILi2ELi2ELi4ELi4ELi32Ei14__hip_bfloat16LNS0_11ScoringFuncE0EEEvPKT5_PKbPfiPT4_PiiiibPKf
		.amdhsa_group_segment_fixed_size 0
		.amdhsa_private_segment_fixed_size 0
		.amdhsa_kernarg_size 72
		.amdhsa_user_sgpr_count 6
		.amdhsa_user_sgpr_private_segment_buffer 1
		.amdhsa_user_sgpr_dispatch_ptr 0
		.amdhsa_user_sgpr_queue_ptr 0
		.amdhsa_user_sgpr_kernarg_segment_ptr 1
		.amdhsa_user_sgpr_dispatch_id 0
		.amdhsa_user_sgpr_flat_scratch_init 0
		.amdhsa_user_sgpr_kernarg_preload_length 0
		.amdhsa_user_sgpr_kernarg_preload_offset 0
		.amdhsa_user_sgpr_private_segment_size 0
		.amdhsa_uses_dynamic_stack 0
		.amdhsa_system_sgpr_private_segment_wavefront_offset 0
		.amdhsa_system_sgpr_workgroup_id_x 1
		.amdhsa_system_sgpr_workgroup_id_y 0
		.amdhsa_system_sgpr_workgroup_id_z 0
		.amdhsa_system_sgpr_workgroup_info 0
		.amdhsa_system_vgpr_workitem_id 1
		.amdhsa_next_free_vgpr 19
		.amdhsa_next_free_sgpr 24
		.amdhsa_accum_offset 20
		.amdhsa_reserve_vcc 1
		.amdhsa_reserve_flat_scratch 0
		.amdhsa_float_round_mode_32 0
		.amdhsa_float_round_mode_16_64 0
		.amdhsa_float_denorm_mode_32 3
		.amdhsa_float_denorm_mode_16_64 3
		.amdhsa_dx10_clamp 1
		.amdhsa_ieee_mode 1
		.amdhsa_fp16_overflow 0
		.amdhsa_tg_split 0
		.amdhsa_exception_fp_ieee_invalid_op 0
		.amdhsa_exception_fp_denorm_src 0
		.amdhsa_exception_fp_ieee_div_zero 0
		.amdhsa_exception_fp_ieee_overflow 0
		.amdhsa_exception_fp_ieee_underflow 0
		.amdhsa_exception_fp_ieee_inexact 0
		.amdhsa_exception_int_div_zero 0
	.end_amdhsa_kernel
	.section	.text._ZN4vllm3moe10topkGatingILi2ELi2ELi4ELi4ELi32Ei14__hip_bfloat16LNS0_11ScoringFuncE0EEEvPKT5_PKbPfiPT4_PiiiibPKf,"axG",@progbits,_ZN4vllm3moe10topkGatingILi2ELi2ELi4ELi4ELi32Ei14__hip_bfloat16LNS0_11ScoringFuncE0EEEvPKT5_PKbPfiPT4_PiiiibPKf,comdat
.Lfunc_end130:
	.size	_ZN4vllm3moe10topkGatingILi2ELi2ELi4ELi4ELi32Ei14__hip_bfloat16LNS0_11ScoringFuncE0EEEvPKT5_PKbPfiPT4_PiiiibPKf, .Lfunc_end130-_ZN4vllm3moe10topkGatingILi2ELi2ELi4ELi4ELi32Ei14__hip_bfloat16LNS0_11ScoringFuncE0EEEvPKT5_PKbPfiPT4_PiiiibPKf
                                        ; -- End function
	.section	.AMDGPU.csdata,"",@progbits
; Kernel info:
; codeLenInByte = 1356
; NumSgprs: 28
; NumVgprs: 19
; NumAgprs: 0
; TotalNumVgprs: 19
; ScratchSize: 0
; MemoryBound: 1
; FloatMode: 240
; IeeeMode: 1
; LDSByteSize: 0 bytes/workgroup (compile time only)
; SGPRBlocks: 3
; VGPRBlocks: 2
; NumSGPRsForWavesPerEU: 28
; NumVGPRsForWavesPerEU: 19
; AccumOffset: 20
; Occupancy: 8
; WaveLimiterHint : 0
; COMPUTE_PGM_RSRC2:SCRATCH_EN: 0
; COMPUTE_PGM_RSRC2:USER_SGPR: 6
; COMPUTE_PGM_RSRC2:TRAP_HANDLER: 0
; COMPUTE_PGM_RSRC2:TGID_X_EN: 1
; COMPUTE_PGM_RSRC2:TGID_Y_EN: 0
; COMPUTE_PGM_RSRC2:TGID_Z_EN: 0
; COMPUTE_PGM_RSRC2:TIDIG_COMP_CNT: 1
; COMPUTE_PGM_RSRC3_GFX90A:ACCUM_OFFSET: 4
; COMPUTE_PGM_RSRC3_GFX90A:TG_SPLIT: 0
	.section	.text._ZN4vllm3moe10topkGatingILi4ELi4ELi4ELi8ELi64Ei14__hip_bfloat16LNS0_11ScoringFuncE0EEEvPKT5_PKbPfiPT4_PiiiibPKf,"axG",@progbits,_ZN4vllm3moe10topkGatingILi4ELi4ELi4ELi8ELi64Ei14__hip_bfloat16LNS0_11ScoringFuncE0EEEvPKT5_PKbPfiPT4_PiiiibPKf,comdat
	.protected	_ZN4vllm3moe10topkGatingILi4ELi4ELi4ELi8ELi64Ei14__hip_bfloat16LNS0_11ScoringFuncE0EEEvPKT5_PKbPfiPT4_PiiiibPKf ; -- Begin function _ZN4vllm3moe10topkGatingILi4ELi4ELi4ELi8ELi64Ei14__hip_bfloat16LNS0_11ScoringFuncE0EEEvPKT5_PKbPfiPT4_PiiiibPKf
	.globl	_ZN4vllm3moe10topkGatingILi4ELi4ELi4ELi8ELi64Ei14__hip_bfloat16LNS0_11ScoringFuncE0EEEvPKT5_PKbPfiPT4_PiiiibPKf
	.p2align	8
	.type	_ZN4vllm3moe10topkGatingILi4ELi4ELi4ELi8ELi64Ei14__hip_bfloat16LNS0_11ScoringFuncE0EEEvPKT5_PKbPfiPT4_PiiiibPKf,@function
_ZN4vllm3moe10topkGatingILi4ELi4ELi4ELi8ELi64Ei14__hip_bfloat16LNS0_11ScoringFuncE0EEEvPKT5_PKbPfiPT4_PiiiibPKf: ; @_ZN4vllm3moe10topkGatingILi4ELi4ELi4ELi8ELi64Ei14__hip_bfloat16LNS0_11ScoringFuncE0EEEvPKT5_PKbPfiPT4_PiiiibPKf
; %bb.0:
	s_load_dword s16, s[4:5], 0x18
	v_bfe_u32 v1, v0, 10, 10
	s_lshl_b32 s0, s6, 8
	v_lshlrev_b32_e32 v1, 6, v1
	v_and_b32_e32 v0, 0x3ff, v0
	v_add3_u32 v14, v1, v0, s0
	s_waitcnt lgkmcnt(0)
	v_cmp_gt_i32_e32 vcc, s16, v14
	s_and_saveexec_b64 s[0:1], vcc
	s_cbranch_execz .LBB131_20
; %bb.1:
	s_load_dwordx4 s[0:3], s[4:5], 0x0
	s_load_dwordx2 s[6:7], s[4:5], 0x10
	s_mov_b64 s[8:9], -1
	s_mov_b64 s[12:13], -1
	s_waitcnt lgkmcnt(0)
	s_cmp_eq_u64 s[2:3], 0
	s_cbranch_scc1 .LBB131_3
; %bb.2:
	v_ashrrev_i32_e32 v1, 31, v14
	v_mov_b32_e32 v2, s3
	v_add_co_u32_e32 v0, vcc, s2, v14
	v_addc_co_u32_e32 v1, vcc, v2, v1, vcc
	global_load_ubyte v0, v[0:1], off
	s_waitcnt vmcnt(0)
	v_and_b32_e32 v0, 1, v0
	v_cmp_eq_u32_e32 vcc, 1, v0
	s_xor_b64 s[2:3], vcc, -1
	s_orn2_b64 s[12:13], s[2:3], exec
.LBB131_3:
	v_lshlrev_b32_e32 v0, 2, v14
	v_ashrrev_i32_e32 v1, 31, v0
	v_lshlrev_b64 v[0:1], 1, v[0:1]
	v_mov_b32_e32 v2, s1
	v_add_co_u32_e32 v0, vcc, s0, v0
	v_addc_co_u32_e32 v1, vcc, v2, v1, vcc
	global_load_dwordx2 v[0:1], v[0:1], off
	v_mov_b32_e32 v5, 0x7f800000
	s_mov_b32 s2, 0x3fb8aa3b
	s_mov_b32 s3, 0xc2ce8ed0
	s_mov_b32 s10, 0x42b17218
	s_load_dwordx2 s[0:1], s[4:5], 0x40
	v_mov_b32_e32 v6, 0x207
	s_waitcnt lgkmcnt(0)
	s_cmp_eq_u64 s[0:1], 0
	s_waitcnt vmcnt(0)
	v_lshlrev_b32_e32 v2, 16, v0
	v_and_b32_e32 v3, 0xffff0000, v0
	v_alignbit_b32 v0, v1, v0, 16
	v_max_f32_e32 v4, v3, v3
	v_max_f32_e32 v7, v2, v2
	v_and_b32_e32 v1, 0xffff0000, v1
	v_and_b32_e32 v0, 0xffff0000, v0
	v_max_f32_e32 v4, v7, v4
	v_max3_f32 v4, v4, v0, v1
	v_pk_add_f32 v[2:3], v[2:3], v[4:5] op_sel_hi:[1,0] neg_lo:[0,1] neg_hi:[0,1]
	v_pk_add_f32 v[0:1], v[0:1], v[4:5] op_sel_hi:[1,0] neg_lo:[0,1] neg_hi:[0,1]
	v_mul_f32_e32 v4, 0x3fb8aa3b, v3
	v_mul_f32_e32 v7, 0x3fb8aa3b, v2
	v_fma_f32 v10, v3, s2, -v4
	v_rndne_f32_e32 v11, v4
	v_mul_f32_e32 v8, 0x3fb8aa3b, v1
	v_fma_f32 v12, v2, s2, -v7
	v_rndne_f32_e32 v13, v7
	v_fmac_f32_e32 v10, 0x32a5705f, v3
	v_sub_f32_e32 v4, v4, v11
	v_mul_f32_e32 v9, 0x3fb8aa3b, v0
	v_fma_f32 v15, v1, s2, -v8
	v_rndne_f32_e32 v16, v8
	v_fmac_f32_e32 v12, 0x32a5705f, v2
	v_sub_f32_e32 v7, v7, v13
	v_add_f32_e32 v4, v4, v10
	v_fma_f32 v17, v0, s2, -v9
	v_rndne_f32_e32 v18, v9
	v_cvt_i32_f32_e32 v11, v11
	v_fmac_f32_e32 v15, 0x32a5705f, v1
	v_sub_f32_e32 v8, v8, v16
	v_add_f32_e32 v7, v7, v12
	v_exp_f32_e32 v4, v4
	v_cvt_i32_f32_e32 v13, v13
	v_fmac_f32_e32 v17, 0x32a5705f, v0
	v_sub_f32_e32 v9, v9, v18
	v_add_f32_e32 v8, v8, v15
	v_exp_f32_e32 v7, v7
	v_cvt_i32_f32_e32 v16, v16
	v_add_f32_e32 v9, v9, v17
	v_exp_f32_e32 v8, v8
	v_cvt_i32_f32_e32 v18, v18
	v_exp_f32_e32 v9, v9
	v_ldexp_f32 v4, v4, v11
	v_cmp_ngt_f32_e32 vcc, s3, v3
	v_ldexp_f32 v7, v7, v13
	v_cndmask_b32_e32 v4, 0, v4, vcc
	v_cmp_ngt_f32_e32 vcc, s3, v2
	v_ldexp_f32 v8, v8, v16
	v_cndmask_b32_e32 v7, 0, v7, vcc
	;; [unrolled: 3-line block ×3, first 2 shown]
	v_cmp_ngt_f32_e32 vcc, s3, v0
	v_cndmask_b32_e32 v9, 0, v9, vcc
	v_cmp_nlt_f32_e32 vcc, s10, v3
	v_cndmask_b32_e32 v3, v5, v4, vcc
	v_cmp_nlt_f32_e32 vcc, s10, v2
	;; [unrolled: 2-line block ×4, first 2 shown]
	v_cndmask_b32_e32 v0, v5, v9, vcc
	v_add_f32_e32 v4, v2, v3
	v_add_f32_e32 v4, v4, v0
	;; [unrolled: 1-line block ×3, first 2 shown]
	v_div_scale_f32 v5, s[2:3], v4, v4, 1.0
	v_rcp_f32_e32 v7, v5
	v_div_scale_f32 v8, vcc, 1.0, v4, 1.0
	v_fma_f32 v9, -v5, v7, 1.0
	v_fmac_f32_e32 v7, v9, v7
	v_mul_f32_e32 v9, v8, v7
	v_fma_f32 v10, -v5, v9, v8
	v_fmac_f32_e32 v9, v10, v7
	v_fma_f32 v5, -v5, v9, v8
	v_div_fmas_f32 v5, v5, v7, v9
	v_div_fixup_f32 v4, v5, v4, 1.0
	v_pk_mul_f32 v[2:3], v[4:5], v[2:3] op_sel_hi:[0,1]
	v_cmp_class_f32_e32 vcc, v3, v6
	v_pk_mul_f32 v[4:5], v[4:5], v[0:1] op_sel_hi:[0,1]
	v_cndmask_b32_e64 v1, v3, 0, vcc
	v_cmp_class_f32_e32 vcc, v2, v6
	v_cndmask_b32_e64 v0, v2, 0, vcc
	v_cmp_class_f32_e32 vcc, v5, v6
	;; [unrolled: 2-line block ×3, first 2 shown]
	v_cndmask_b32_e64 v2, v4, 0, vcc
	s_cbranch_scc1 .LBB131_10
; %bb.4:
	s_load_dwordx4 s[0:3], s[0:1], 0x0
	s_waitcnt lgkmcnt(0)
	v_pk_add_f32 v[4:5], s[0:1], v[0:1]
	v_pk_add_f32 v[6:7], s[2:3], v[2:3]
	s_cbranch_execnz .LBB131_6
.LBB131_5:
	v_pk_mov_b32 v[6:7], v[2:3], v[2:3] op_sel:[0,1]
	v_pk_mov_b32 v[4:5], v[0:1], v[0:1] op_sel:[0,1]
.LBB131_6:
	s_load_dwordx4 s[8:11], s[4:5], 0x30
	s_waitcnt lgkmcnt(0)
	s_bitcmp1_b32 s11, 0
	s_cselect_b64 vcc, -1, 0
	s_cmp_gt_i32 s8, 0
	s_cselect_b64 s[14:15], -1, 0
	s_cmp_lt_i32 s8, 1
	s_mov_b32 s11, 0
	s_cbranch_scc1 .LBB131_11
; %bb.7:
	s_load_dwordx4 s[20:23], s[4:5], 0x20
	v_mul_lo_u32 v8, v14, s8
	v_ashrrev_i32_e32 v9, 31, v8
	v_lshlrev_b64 v[12:13], 2, v[8:9]
	v_mov_b32_e32 v9, s7
	v_add_co_u32_e64 v8, s[0:1], s6, v12
	v_addc_co_u32_e64 v9, s[0:1], v9, v13, s[0:1]
	s_waitcnt lgkmcnt(0)
	v_mov_b32_e32 v11, s21
	v_add_co_u32_e64 v10, s[0:1], s20, v12
	v_addc_co_u32_e64 v11, s[0:1], v11, v13, s[0:1]
	v_mov_b32_e32 v15, s23
	v_add_co_u32_e64 v12, s[0:1], s22, v12
	v_addc_co_u32_e64 v13, s[0:1], v15, v13, s[0:1]
	v_mov_b32_e32 v15, 0
	v_mov_b32_e32 v16, 0xc61c4000
	;; [unrolled: 1-line block ×3, first 2 shown]
.LBB131_8:                              ; =>This Inner Loop Header: Depth=1
	v_cmp_gt_f32_e64 s[0:1], v5, v4
	v_cndmask_b32_e64 v18, v4, v5, s[0:1]
	v_cndmask_b32_e64 v19, v0, v1, s[0:1]
	;; [unrolled: 1-line block ×3, first 2 shown]
	v_cmp_gt_f32_e64 s[0:1], v6, v18
	v_cndmask_b32_e64 v18, v18, v6, s[0:1]
	v_cndmask_b32_e64 v19, v19, v2, s[0:1]
	;; [unrolled: 1-line block ×3, first 2 shown]
	v_cmp_gt_f32_e64 s[0:1], v7, v18
	v_cndmask_b32_e64 v18, v19, v3, s[0:1]
	v_cndmask_b32_e64 v19, v20, 3, s[0:1]
	v_cmp_le_i32_e64 s[0:1], s9, v19
	v_cmp_gt_i32_e64 s[2:3], s10, v19
	s_and_b64 s[0:1], s[0:1], s[2:3]
	v_subrev_u32_e32 v20, s9, v19
	s_and_b64 s[0:1], s[12:13], s[0:1]
	global_store_dword v[8:9], v18, off
	v_cndmask_b32_e64 v20, 4, v20, s[0:1]
	v_add_f32_e32 v18, v15, v18
	v_cmp_ne_u32_e64 s[0:1], 0, v19
	v_cndmask_b32_e32 v15, v15, v18, vcc
	v_cndmask_b32_e64 v18, v16, v4, s[0:1]
	v_cmp_ne_u32_e64 s[0:1], 1, v19
	global_store_dword v[10:11], v20, off
	global_store_dword v[12:13], v17, off
	s_add_i32 s11, s11, 1
	v_cndmask_b32_e64 v20, v16, v5, s[0:1]
	v_cmp_ne_u32_e64 s[0:1], 2, v19
	s_cmp_lt_i32 s11, s8
	v_cndmask_b32_e64 v21, v16, v6, s[0:1]
	v_cmp_ne_u32_e64 s[0:1], 3, v19
	v_cndmask_b32_e64 v19, v16, v7, s[0:1]
	s_cselect_b64 s[0:1], -1, 0
	v_cndmask_b32_e64 v7, v7, v19, s[0:1]
	v_cndmask_b32_e64 v6, v6, v21, s[0:1]
	;; [unrolled: 1-line block ×4, first 2 shown]
	v_add_co_u32_e64 v8, s[0:1], 4, v8
	v_addc_co_u32_e64 v9, s[0:1], 0, v9, s[0:1]
	v_add_co_u32_e64 v10, s[0:1], 4, v10
	v_addc_co_u32_e64 v11, s[0:1], 0, v11, s[0:1]
	v_add_co_u32_e64 v12, s[0:1], 4, v12
	v_add_u32_e32 v17, s16, v17
	s_cmp_eq_u32 s8, s11
	v_addc_co_u32_e64 v13, s[0:1], 0, v13, s[0:1]
	s_cbranch_scc0 .LBB131_8
; %bb.9:
	s_and_b64 vcc, exec, vcc
	s_cbranch_vccnz .LBB131_12
	s_branch .LBB131_20
.LBB131_10:
                                        ; implicit-def: $vgpr4_vgpr5_vgpr6_vgpr7
	s_andn2_b64 vcc, exec, s[8:9]
	s_cbranch_vccz .LBB131_5
	s_branch .LBB131_6
.LBB131_11:
	v_mov_b32_e32 v15, 0
	s_and_b64 vcc, exec, vcc
	s_cbranch_vccz .LBB131_20
.LBB131_12:
	s_andn2_b64 vcc, exec, s[14:15]
	s_cbranch_vccnz .LBB131_20
; %bb.13:
	v_cmp_lt_f32_e32 vcc, 0, v15
	s_mov_b32 s2, 0
	v_cndmask_b32_e32 v0, 1.0, v15, vcc
	v_mul_lo_u32 v4, v14, s8
	s_cmp_eq_u32 s8, 1
	s_mov_b64 s[0:1], -1
	s_cbranch_scc1 .LBB131_17
; %bb.14:
	s_and_b32 s2, s8, 0x7ffffffe
	v_mov_b32_e32 v1, v0
	v_mov_b32_e32 v5, s7
	s_mov_b32 s3, s2
	v_mov_b32_e32 v2, v4
.LBB131_15:                             ; =>This Inner Loop Header: Depth=1
	v_ashrrev_i32_e32 v3, 31, v2
	v_lshlrev_b64 v[6:7], 2, v[2:3]
	v_add_co_u32_e32 v6, vcc, s6, v6
	v_addc_co_u32_e32 v7, vcc, v5, v7, vcc
	global_load_dwordx2 v[8:9], v[6:7], off
	s_add_i32 s3, s3, -2
	s_cmp_lg_u32 s3, 0
	v_add_u32_e32 v2, 2, v2
	s_waitcnt vmcnt(0)
	v_div_scale_f32 v3, s[0:1], v1, v1, v9
	v_div_scale_f32 v11, s[0:1], v0, v0, v8
	v_rcp_f32_e32 v12, v3
	v_rcp_f32_e32 v13, v11
	v_div_scale_f32 v10, vcc, v9, v1, v9
	v_fma_f32 v15, -v3, v12, 1.0
	v_fma_f32 v16, -v11, v13, 1.0
	v_fmac_f32_e32 v12, v15, v12
	v_div_scale_f32 v14, s[0:1], v8, v0, v8
	v_fmac_f32_e32 v13, v16, v13
	v_mul_f32_e32 v15, v10, v12
	v_mul_f32_e32 v16, v14, v13
	v_fma_f32 v17, -v3, v15, v10
	v_fma_f32 v18, -v11, v16, v14
	v_fmac_f32_e32 v15, v17, v12
	v_fmac_f32_e32 v16, v18, v13
	v_fma_f32 v3, -v3, v15, v10
	v_fma_f32 v10, -v11, v16, v14
	v_div_fmas_f32 v3, v3, v12, v15
	s_mov_b64 vcc, s[0:1]
	v_div_fixup_f32 v9, v3, v1, v9
	v_div_fmas_f32 v3, v10, v13, v16
	v_div_fixup_f32 v8, v3, v0, v8
	global_store_dwordx2 v[6:7], v[8:9], off
	s_cbranch_scc1 .LBB131_15
; %bb.16:
	s_cmp_lg_u32 s2, s8
	s_cselect_b64 s[0:1], -1, 0
.LBB131_17:
	s_and_b64 vcc, exec, s[0:1]
	s_cbranch_vccz .LBB131_20
; %bb.18:
	v_ashrrev_i32_e32 v1, 31, v4
	v_add_co_u32_e32 v2, vcc, s2, v4
	v_addc_co_u32_e32 v3, vcc, 0, v1, vcc
	v_lshlrev_b64 v[2:3], 2, v[2:3]
	v_mov_b32_e32 v1, s7
	v_add_co_u32_e32 v2, vcc, s6, v2
	s_sub_i32 s0, s8, s2
	v_addc_co_u32_e32 v3, vcc, v1, v3, vcc
.LBB131_19:                             ; =>This Inner Loop Header: Depth=1
	global_load_dword v1, v[2:3], off
	s_add_i32 s0, s0, -1
	s_cmp_lg_u32 s0, 0
	s_waitcnt vmcnt(0)
	v_div_scale_f32 v4, s[2:3], v0, v0, v1
	v_rcp_f32_e32 v5, v4
	v_div_scale_f32 v6, vcc, v1, v0, v1
	v_fma_f32 v7, -v4, v5, 1.0
	v_fmac_f32_e32 v5, v7, v5
	v_mul_f32_e32 v7, v6, v5
	v_fma_f32 v8, -v4, v7, v6
	v_fmac_f32_e32 v7, v8, v5
	v_fma_f32 v4, -v4, v7, v6
	v_div_fmas_f32 v4, v4, v5, v7
	v_div_fixup_f32 v1, v4, v0, v1
	global_store_dword v[2:3], v1, off
	v_add_co_u32_e32 v2, vcc, 4, v2
	v_addc_co_u32_e32 v3, vcc, 0, v3, vcc
	s_cbranch_scc1 .LBB131_19
.LBB131_20:
	s_endpgm
	.section	.rodata,"a",@progbits
	.p2align	6, 0x0
	.amdhsa_kernel _ZN4vllm3moe10topkGatingILi4ELi4ELi4ELi8ELi64Ei14__hip_bfloat16LNS0_11ScoringFuncE0EEEvPKT5_PKbPfiPT4_PiiiibPKf
		.amdhsa_group_segment_fixed_size 0
		.amdhsa_private_segment_fixed_size 0
		.amdhsa_kernarg_size 72
		.amdhsa_user_sgpr_count 6
		.amdhsa_user_sgpr_private_segment_buffer 1
		.amdhsa_user_sgpr_dispatch_ptr 0
		.amdhsa_user_sgpr_queue_ptr 0
		.amdhsa_user_sgpr_kernarg_segment_ptr 1
		.amdhsa_user_sgpr_dispatch_id 0
		.amdhsa_user_sgpr_flat_scratch_init 0
		.amdhsa_user_sgpr_kernarg_preload_length 0
		.amdhsa_user_sgpr_kernarg_preload_offset 0
		.amdhsa_user_sgpr_private_segment_size 0
		.amdhsa_uses_dynamic_stack 0
		.amdhsa_system_sgpr_private_segment_wavefront_offset 0
		.amdhsa_system_sgpr_workgroup_id_x 1
		.amdhsa_system_sgpr_workgroup_id_y 0
		.amdhsa_system_sgpr_workgroup_id_z 0
		.amdhsa_system_sgpr_workgroup_info 0
		.amdhsa_system_vgpr_workitem_id 1
		.amdhsa_next_free_vgpr 22
		.amdhsa_next_free_sgpr 24
		.amdhsa_accum_offset 24
		.amdhsa_reserve_vcc 1
		.amdhsa_reserve_flat_scratch 0
		.amdhsa_float_round_mode_32 0
		.amdhsa_float_round_mode_16_64 0
		.amdhsa_float_denorm_mode_32 3
		.amdhsa_float_denorm_mode_16_64 3
		.amdhsa_dx10_clamp 1
		.amdhsa_ieee_mode 1
		.amdhsa_fp16_overflow 0
		.amdhsa_tg_split 0
		.amdhsa_exception_fp_ieee_invalid_op 0
		.amdhsa_exception_fp_denorm_src 0
		.amdhsa_exception_fp_ieee_div_zero 0
		.amdhsa_exception_fp_ieee_overflow 0
		.amdhsa_exception_fp_ieee_underflow 0
		.amdhsa_exception_fp_ieee_inexact 0
		.amdhsa_exception_int_div_zero 0
	.end_amdhsa_kernel
	.section	.text._ZN4vllm3moe10topkGatingILi4ELi4ELi4ELi8ELi64Ei14__hip_bfloat16LNS0_11ScoringFuncE0EEEvPKT5_PKbPfiPT4_PiiiibPKf,"axG",@progbits,_ZN4vllm3moe10topkGatingILi4ELi4ELi4ELi8ELi64Ei14__hip_bfloat16LNS0_11ScoringFuncE0EEEvPKT5_PKbPfiPT4_PiiiibPKf,comdat
.Lfunc_end131:
	.size	_ZN4vllm3moe10topkGatingILi4ELi4ELi4ELi8ELi64Ei14__hip_bfloat16LNS0_11ScoringFuncE0EEEvPKT5_PKbPfiPT4_PiiiibPKf, .Lfunc_end131-_ZN4vllm3moe10topkGatingILi4ELi4ELi4ELi8ELi64Ei14__hip_bfloat16LNS0_11ScoringFuncE0EEEvPKT5_PKbPfiPT4_PiiiibPKf
                                        ; -- End function
	.section	.AMDGPU.csdata,"",@progbits
; Kernel info:
; codeLenInByte = 1720
; NumSgprs: 28
; NumVgprs: 22
; NumAgprs: 0
; TotalNumVgprs: 22
; ScratchSize: 0
; MemoryBound: 1
; FloatMode: 240
; IeeeMode: 1
; LDSByteSize: 0 bytes/workgroup (compile time only)
; SGPRBlocks: 3
; VGPRBlocks: 2
; NumSGPRsForWavesPerEU: 28
; NumVGPRsForWavesPerEU: 22
; AccumOffset: 24
; Occupancy: 8
; WaveLimiterHint : 0
; COMPUTE_PGM_RSRC2:SCRATCH_EN: 0
; COMPUTE_PGM_RSRC2:USER_SGPR: 6
; COMPUTE_PGM_RSRC2:TRAP_HANDLER: 0
; COMPUTE_PGM_RSRC2:TGID_X_EN: 1
; COMPUTE_PGM_RSRC2:TGID_Y_EN: 0
; COMPUTE_PGM_RSRC2:TGID_Z_EN: 0
; COMPUTE_PGM_RSRC2:TIDIG_COMP_CNT: 1
; COMPUTE_PGM_RSRC3_GFX90A:ACCUM_OFFSET: 5
; COMPUTE_PGM_RSRC3_GFX90A:TG_SPLIT: 0
	.section	.text._ZN4vllm3moe10topkGatingILi4ELi4ELi4ELi8ELi32Ei14__hip_bfloat16LNS0_11ScoringFuncE0EEEvPKT5_PKbPfiPT4_PiiiibPKf,"axG",@progbits,_ZN4vllm3moe10topkGatingILi4ELi4ELi4ELi8ELi32Ei14__hip_bfloat16LNS0_11ScoringFuncE0EEEvPKT5_PKbPfiPT4_PiiiibPKf,comdat
	.protected	_ZN4vllm3moe10topkGatingILi4ELi4ELi4ELi8ELi32Ei14__hip_bfloat16LNS0_11ScoringFuncE0EEEvPKT5_PKbPfiPT4_PiiiibPKf ; -- Begin function _ZN4vllm3moe10topkGatingILi4ELi4ELi4ELi8ELi32Ei14__hip_bfloat16LNS0_11ScoringFuncE0EEEvPKT5_PKbPfiPT4_PiiiibPKf
	.globl	_ZN4vllm3moe10topkGatingILi4ELi4ELi4ELi8ELi32Ei14__hip_bfloat16LNS0_11ScoringFuncE0EEEvPKT5_PKbPfiPT4_PiiiibPKf
	.p2align	8
	.type	_ZN4vllm3moe10topkGatingILi4ELi4ELi4ELi8ELi32Ei14__hip_bfloat16LNS0_11ScoringFuncE0EEEvPKT5_PKbPfiPT4_PiiiibPKf,@function
_ZN4vllm3moe10topkGatingILi4ELi4ELi4ELi8ELi32Ei14__hip_bfloat16LNS0_11ScoringFuncE0EEEvPKT5_PKbPfiPT4_PiiiibPKf: ; @_ZN4vllm3moe10topkGatingILi4ELi4ELi4ELi8ELi32Ei14__hip_bfloat16LNS0_11ScoringFuncE0EEEvPKT5_PKbPfiPT4_PiiiibPKf
; %bb.0:
	s_load_dword s16, s[4:5], 0x18
	v_bfe_u32 v1, v0, 10, 10
	s_lshl_b32 s0, s6, 7
	v_lshlrev_b32_e32 v1, 5, v1
	v_and_b32_e32 v0, 0x3ff, v0
	v_add3_u32 v14, v1, v0, s0
	s_waitcnt lgkmcnt(0)
	v_cmp_gt_i32_e32 vcc, s16, v14
	s_and_saveexec_b64 s[0:1], vcc
	s_cbranch_execz .LBB132_20
; %bb.1:
	s_load_dwordx4 s[0:3], s[4:5], 0x0
	s_load_dwordx2 s[6:7], s[4:5], 0x10
	s_mov_b64 s[8:9], -1
	s_mov_b64 s[12:13], -1
	s_waitcnt lgkmcnt(0)
	s_cmp_eq_u64 s[2:3], 0
	s_cbranch_scc1 .LBB132_3
; %bb.2:
	v_ashrrev_i32_e32 v1, 31, v14
	v_mov_b32_e32 v2, s3
	v_add_co_u32_e32 v0, vcc, s2, v14
	v_addc_co_u32_e32 v1, vcc, v2, v1, vcc
	global_load_ubyte v0, v[0:1], off
	s_waitcnt vmcnt(0)
	v_and_b32_e32 v0, 1, v0
	v_cmp_eq_u32_e32 vcc, 1, v0
	s_xor_b64 s[2:3], vcc, -1
	s_orn2_b64 s[12:13], s[2:3], exec
.LBB132_3:
	v_lshlrev_b32_e32 v0, 2, v14
	v_ashrrev_i32_e32 v1, 31, v0
	v_lshlrev_b64 v[0:1], 1, v[0:1]
	v_mov_b32_e32 v2, s1
	v_add_co_u32_e32 v0, vcc, s0, v0
	v_addc_co_u32_e32 v1, vcc, v2, v1, vcc
	global_load_dwordx2 v[0:1], v[0:1], off
	v_mov_b32_e32 v5, 0x7f800000
	s_mov_b32 s2, 0x3fb8aa3b
	s_mov_b32 s3, 0xc2ce8ed0
	;; [unrolled: 1-line block ×3, first 2 shown]
	s_load_dwordx2 s[0:1], s[4:5], 0x40
	v_mov_b32_e32 v6, 0x207
	s_waitcnt lgkmcnt(0)
	s_cmp_eq_u64 s[0:1], 0
	s_waitcnt vmcnt(0)
	v_lshlrev_b32_e32 v2, 16, v0
	v_and_b32_e32 v3, 0xffff0000, v0
	v_alignbit_b32 v0, v1, v0, 16
	v_max_f32_e32 v4, v3, v3
	v_max_f32_e32 v7, v2, v2
	v_and_b32_e32 v1, 0xffff0000, v1
	v_and_b32_e32 v0, 0xffff0000, v0
	v_max_f32_e32 v4, v7, v4
	v_max3_f32 v4, v4, v0, v1
	v_pk_add_f32 v[2:3], v[2:3], v[4:5] op_sel_hi:[1,0] neg_lo:[0,1] neg_hi:[0,1]
	v_pk_add_f32 v[0:1], v[0:1], v[4:5] op_sel_hi:[1,0] neg_lo:[0,1] neg_hi:[0,1]
	v_mul_f32_e32 v4, 0x3fb8aa3b, v3
	v_mul_f32_e32 v7, 0x3fb8aa3b, v2
	v_fma_f32 v10, v3, s2, -v4
	v_rndne_f32_e32 v11, v4
	v_mul_f32_e32 v8, 0x3fb8aa3b, v1
	v_fma_f32 v12, v2, s2, -v7
	v_rndne_f32_e32 v13, v7
	v_fmac_f32_e32 v10, 0x32a5705f, v3
	v_sub_f32_e32 v4, v4, v11
	v_mul_f32_e32 v9, 0x3fb8aa3b, v0
	v_fma_f32 v15, v1, s2, -v8
	v_rndne_f32_e32 v16, v8
	v_fmac_f32_e32 v12, 0x32a5705f, v2
	v_sub_f32_e32 v7, v7, v13
	v_add_f32_e32 v4, v4, v10
	v_fma_f32 v17, v0, s2, -v9
	v_rndne_f32_e32 v18, v9
	v_cvt_i32_f32_e32 v11, v11
	v_fmac_f32_e32 v15, 0x32a5705f, v1
	v_sub_f32_e32 v8, v8, v16
	v_add_f32_e32 v7, v7, v12
	v_exp_f32_e32 v4, v4
	v_cvt_i32_f32_e32 v13, v13
	v_fmac_f32_e32 v17, 0x32a5705f, v0
	v_sub_f32_e32 v9, v9, v18
	v_add_f32_e32 v8, v8, v15
	v_exp_f32_e32 v7, v7
	v_cvt_i32_f32_e32 v16, v16
	v_add_f32_e32 v9, v9, v17
	v_exp_f32_e32 v8, v8
	v_cvt_i32_f32_e32 v18, v18
	v_exp_f32_e32 v9, v9
	v_ldexp_f32 v4, v4, v11
	v_cmp_ngt_f32_e32 vcc, s3, v3
	v_ldexp_f32 v7, v7, v13
	v_cndmask_b32_e32 v4, 0, v4, vcc
	v_cmp_ngt_f32_e32 vcc, s3, v2
	v_ldexp_f32 v8, v8, v16
	v_cndmask_b32_e32 v7, 0, v7, vcc
	;; [unrolled: 3-line block ×3, first 2 shown]
	v_cmp_ngt_f32_e32 vcc, s3, v0
	v_cndmask_b32_e32 v9, 0, v9, vcc
	v_cmp_nlt_f32_e32 vcc, s10, v3
	v_cndmask_b32_e32 v3, v5, v4, vcc
	v_cmp_nlt_f32_e32 vcc, s10, v2
	v_cndmask_b32_e32 v2, v5, v7, vcc
	v_cmp_nlt_f32_e32 vcc, s10, v1
	v_cndmask_b32_e32 v1, v5, v8, vcc
	v_cmp_nlt_f32_e32 vcc, s10, v0
	v_cndmask_b32_e32 v0, v5, v9, vcc
	v_add_f32_e32 v4, v2, v3
	v_add_f32_e32 v4, v4, v0
	;; [unrolled: 1-line block ×3, first 2 shown]
	v_div_scale_f32 v5, s[2:3], v4, v4, 1.0
	v_rcp_f32_e32 v7, v5
	v_div_scale_f32 v8, vcc, 1.0, v4, 1.0
	v_fma_f32 v9, -v5, v7, 1.0
	v_fmac_f32_e32 v7, v9, v7
	v_mul_f32_e32 v9, v8, v7
	v_fma_f32 v10, -v5, v9, v8
	v_fmac_f32_e32 v9, v10, v7
	v_fma_f32 v5, -v5, v9, v8
	v_div_fmas_f32 v5, v5, v7, v9
	v_div_fixup_f32 v4, v5, v4, 1.0
	v_pk_mul_f32 v[2:3], v[4:5], v[2:3] op_sel_hi:[0,1]
	v_cmp_class_f32_e32 vcc, v3, v6
	v_pk_mul_f32 v[4:5], v[4:5], v[0:1] op_sel_hi:[0,1]
	v_cndmask_b32_e64 v1, v3, 0, vcc
	v_cmp_class_f32_e32 vcc, v2, v6
	v_cndmask_b32_e64 v0, v2, 0, vcc
	v_cmp_class_f32_e32 vcc, v5, v6
	;; [unrolled: 2-line block ×3, first 2 shown]
	v_cndmask_b32_e64 v2, v4, 0, vcc
	s_cbranch_scc1 .LBB132_10
; %bb.4:
	s_load_dwordx4 s[0:3], s[0:1], 0x0
	s_waitcnt lgkmcnt(0)
	v_pk_add_f32 v[4:5], s[0:1], v[0:1]
	v_pk_add_f32 v[6:7], s[2:3], v[2:3]
	s_cbranch_execnz .LBB132_6
.LBB132_5:
	v_pk_mov_b32 v[6:7], v[2:3], v[2:3] op_sel:[0,1]
	v_pk_mov_b32 v[4:5], v[0:1], v[0:1] op_sel:[0,1]
.LBB132_6:
	s_load_dwordx4 s[8:11], s[4:5], 0x30
	s_waitcnt lgkmcnt(0)
	s_bitcmp1_b32 s11, 0
	s_cselect_b64 vcc, -1, 0
	s_cmp_gt_i32 s8, 0
	s_cselect_b64 s[14:15], -1, 0
	s_cmp_lt_i32 s8, 1
	s_mov_b32 s11, 0
	s_cbranch_scc1 .LBB132_11
; %bb.7:
	s_load_dwordx4 s[20:23], s[4:5], 0x20
	v_mul_lo_u32 v8, v14, s8
	v_ashrrev_i32_e32 v9, 31, v8
	v_lshlrev_b64 v[12:13], 2, v[8:9]
	v_mov_b32_e32 v9, s7
	v_add_co_u32_e64 v8, s[0:1], s6, v12
	v_addc_co_u32_e64 v9, s[0:1], v9, v13, s[0:1]
	s_waitcnt lgkmcnt(0)
	v_mov_b32_e32 v11, s21
	v_add_co_u32_e64 v10, s[0:1], s20, v12
	v_addc_co_u32_e64 v11, s[0:1], v11, v13, s[0:1]
	v_mov_b32_e32 v15, s23
	v_add_co_u32_e64 v12, s[0:1], s22, v12
	v_addc_co_u32_e64 v13, s[0:1], v15, v13, s[0:1]
	v_mov_b32_e32 v15, 0
	v_mov_b32_e32 v16, 0xc61c4000
	;; [unrolled: 1-line block ×3, first 2 shown]
.LBB132_8:                              ; =>This Inner Loop Header: Depth=1
	v_cmp_gt_f32_e64 s[0:1], v5, v4
	v_cndmask_b32_e64 v18, v4, v5, s[0:1]
	v_cndmask_b32_e64 v19, v0, v1, s[0:1]
	;; [unrolled: 1-line block ×3, first 2 shown]
	v_cmp_gt_f32_e64 s[0:1], v6, v18
	v_cndmask_b32_e64 v18, v18, v6, s[0:1]
	v_cndmask_b32_e64 v19, v19, v2, s[0:1]
	;; [unrolled: 1-line block ×3, first 2 shown]
	v_cmp_gt_f32_e64 s[0:1], v7, v18
	v_cndmask_b32_e64 v18, v19, v3, s[0:1]
	v_cndmask_b32_e64 v19, v20, 3, s[0:1]
	v_cmp_le_i32_e64 s[0:1], s9, v19
	v_cmp_gt_i32_e64 s[2:3], s10, v19
	s_and_b64 s[0:1], s[0:1], s[2:3]
	v_subrev_u32_e32 v20, s9, v19
	s_and_b64 s[0:1], s[12:13], s[0:1]
	global_store_dword v[8:9], v18, off
	v_cndmask_b32_e64 v20, 4, v20, s[0:1]
	v_add_f32_e32 v18, v15, v18
	v_cmp_ne_u32_e64 s[0:1], 0, v19
	v_cndmask_b32_e32 v15, v15, v18, vcc
	v_cndmask_b32_e64 v18, v16, v4, s[0:1]
	v_cmp_ne_u32_e64 s[0:1], 1, v19
	global_store_dword v[10:11], v20, off
	global_store_dword v[12:13], v17, off
	s_add_i32 s11, s11, 1
	v_cndmask_b32_e64 v20, v16, v5, s[0:1]
	v_cmp_ne_u32_e64 s[0:1], 2, v19
	s_cmp_lt_i32 s11, s8
	v_cndmask_b32_e64 v21, v16, v6, s[0:1]
	v_cmp_ne_u32_e64 s[0:1], 3, v19
	v_cndmask_b32_e64 v19, v16, v7, s[0:1]
	s_cselect_b64 s[0:1], -1, 0
	v_cndmask_b32_e64 v7, v7, v19, s[0:1]
	v_cndmask_b32_e64 v6, v6, v21, s[0:1]
	;; [unrolled: 1-line block ×4, first 2 shown]
	v_add_co_u32_e64 v8, s[0:1], 4, v8
	v_addc_co_u32_e64 v9, s[0:1], 0, v9, s[0:1]
	v_add_co_u32_e64 v10, s[0:1], 4, v10
	v_addc_co_u32_e64 v11, s[0:1], 0, v11, s[0:1]
	v_add_co_u32_e64 v12, s[0:1], 4, v12
	v_add_u32_e32 v17, s16, v17
	s_cmp_eq_u32 s8, s11
	v_addc_co_u32_e64 v13, s[0:1], 0, v13, s[0:1]
	s_cbranch_scc0 .LBB132_8
; %bb.9:
	s_and_b64 vcc, exec, vcc
	s_cbranch_vccnz .LBB132_12
	s_branch .LBB132_20
.LBB132_10:
                                        ; implicit-def: $vgpr4_vgpr5_vgpr6_vgpr7
	s_andn2_b64 vcc, exec, s[8:9]
	s_cbranch_vccz .LBB132_5
	s_branch .LBB132_6
.LBB132_11:
	v_mov_b32_e32 v15, 0
	s_and_b64 vcc, exec, vcc
	s_cbranch_vccz .LBB132_20
.LBB132_12:
	s_andn2_b64 vcc, exec, s[14:15]
	s_cbranch_vccnz .LBB132_20
; %bb.13:
	v_cmp_lt_f32_e32 vcc, 0, v15
	s_mov_b32 s2, 0
	v_cndmask_b32_e32 v0, 1.0, v15, vcc
	v_mul_lo_u32 v4, v14, s8
	s_cmp_eq_u32 s8, 1
	s_mov_b64 s[0:1], -1
	s_cbranch_scc1 .LBB132_17
; %bb.14:
	s_and_b32 s2, s8, 0x7ffffffe
	v_mov_b32_e32 v1, v0
	v_mov_b32_e32 v5, s7
	s_mov_b32 s3, s2
	v_mov_b32_e32 v2, v4
.LBB132_15:                             ; =>This Inner Loop Header: Depth=1
	v_ashrrev_i32_e32 v3, 31, v2
	v_lshlrev_b64 v[6:7], 2, v[2:3]
	v_add_co_u32_e32 v6, vcc, s6, v6
	v_addc_co_u32_e32 v7, vcc, v5, v7, vcc
	global_load_dwordx2 v[8:9], v[6:7], off
	s_add_i32 s3, s3, -2
	s_cmp_lg_u32 s3, 0
	v_add_u32_e32 v2, 2, v2
	s_waitcnt vmcnt(0)
	v_div_scale_f32 v3, s[0:1], v1, v1, v9
	v_div_scale_f32 v11, s[0:1], v0, v0, v8
	v_rcp_f32_e32 v12, v3
	v_rcp_f32_e32 v13, v11
	v_div_scale_f32 v10, vcc, v9, v1, v9
	v_fma_f32 v15, -v3, v12, 1.0
	v_fma_f32 v16, -v11, v13, 1.0
	v_fmac_f32_e32 v12, v15, v12
	v_div_scale_f32 v14, s[0:1], v8, v0, v8
	v_fmac_f32_e32 v13, v16, v13
	v_mul_f32_e32 v15, v10, v12
	v_mul_f32_e32 v16, v14, v13
	v_fma_f32 v17, -v3, v15, v10
	v_fma_f32 v18, -v11, v16, v14
	v_fmac_f32_e32 v15, v17, v12
	v_fmac_f32_e32 v16, v18, v13
	v_fma_f32 v3, -v3, v15, v10
	v_fma_f32 v10, -v11, v16, v14
	v_div_fmas_f32 v3, v3, v12, v15
	s_mov_b64 vcc, s[0:1]
	v_div_fixup_f32 v9, v3, v1, v9
	v_div_fmas_f32 v3, v10, v13, v16
	v_div_fixup_f32 v8, v3, v0, v8
	global_store_dwordx2 v[6:7], v[8:9], off
	s_cbranch_scc1 .LBB132_15
; %bb.16:
	s_cmp_lg_u32 s2, s8
	s_cselect_b64 s[0:1], -1, 0
.LBB132_17:
	s_and_b64 vcc, exec, s[0:1]
	s_cbranch_vccz .LBB132_20
; %bb.18:
	v_ashrrev_i32_e32 v1, 31, v4
	v_add_co_u32_e32 v2, vcc, s2, v4
	v_addc_co_u32_e32 v3, vcc, 0, v1, vcc
	v_lshlrev_b64 v[2:3], 2, v[2:3]
	v_mov_b32_e32 v1, s7
	v_add_co_u32_e32 v2, vcc, s6, v2
	s_sub_i32 s0, s8, s2
	v_addc_co_u32_e32 v3, vcc, v1, v3, vcc
.LBB132_19:                             ; =>This Inner Loop Header: Depth=1
	global_load_dword v1, v[2:3], off
	s_add_i32 s0, s0, -1
	s_cmp_lg_u32 s0, 0
	s_waitcnt vmcnt(0)
	v_div_scale_f32 v4, s[2:3], v0, v0, v1
	v_rcp_f32_e32 v5, v4
	v_div_scale_f32 v6, vcc, v1, v0, v1
	v_fma_f32 v7, -v4, v5, 1.0
	v_fmac_f32_e32 v5, v7, v5
	v_mul_f32_e32 v7, v6, v5
	v_fma_f32 v8, -v4, v7, v6
	v_fmac_f32_e32 v7, v8, v5
	v_fma_f32 v4, -v4, v7, v6
	v_div_fmas_f32 v4, v4, v5, v7
	v_div_fixup_f32 v1, v4, v0, v1
	global_store_dword v[2:3], v1, off
	v_add_co_u32_e32 v2, vcc, 4, v2
	v_addc_co_u32_e32 v3, vcc, 0, v3, vcc
	s_cbranch_scc1 .LBB132_19
.LBB132_20:
	s_endpgm
	.section	.rodata,"a",@progbits
	.p2align	6, 0x0
	.amdhsa_kernel _ZN4vllm3moe10topkGatingILi4ELi4ELi4ELi8ELi32Ei14__hip_bfloat16LNS0_11ScoringFuncE0EEEvPKT5_PKbPfiPT4_PiiiibPKf
		.amdhsa_group_segment_fixed_size 0
		.amdhsa_private_segment_fixed_size 0
		.amdhsa_kernarg_size 72
		.amdhsa_user_sgpr_count 6
		.amdhsa_user_sgpr_private_segment_buffer 1
		.amdhsa_user_sgpr_dispatch_ptr 0
		.amdhsa_user_sgpr_queue_ptr 0
		.amdhsa_user_sgpr_kernarg_segment_ptr 1
		.amdhsa_user_sgpr_dispatch_id 0
		.amdhsa_user_sgpr_flat_scratch_init 0
		.amdhsa_user_sgpr_kernarg_preload_length 0
		.amdhsa_user_sgpr_kernarg_preload_offset 0
		.amdhsa_user_sgpr_private_segment_size 0
		.amdhsa_uses_dynamic_stack 0
		.amdhsa_system_sgpr_private_segment_wavefront_offset 0
		.amdhsa_system_sgpr_workgroup_id_x 1
		.amdhsa_system_sgpr_workgroup_id_y 0
		.amdhsa_system_sgpr_workgroup_id_z 0
		.amdhsa_system_sgpr_workgroup_info 0
		.amdhsa_system_vgpr_workitem_id 1
		.amdhsa_next_free_vgpr 22
		.amdhsa_next_free_sgpr 24
		.amdhsa_accum_offset 24
		.amdhsa_reserve_vcc 1
		.amdhsa_reserve_flat_scratch 0
		.amdhsa_float_round_mode_32 0
		.amdhsa_float_round_mode_16_64 0
		.amdhsa_float_denorm_mode_32 3
		.amdhsa_float_denorm_mode_16_64 3
		.amdhsa_dx10_clamp 1
		.amdhsa_ieee_mode 1
		.amdhsa_fp16_overflow 0
		.amdhsa_tg_split 0
		.amdhsa_exception_fp_ieee_invalid_op 0
		.amdhsa_exception_fp_denorm_src 0
		.amdhsa_exception_fp_ieee_div_zero 0
		.amdhsa_exception_fp_ieee_overflow 0
		.amdhsa_exception_fp_ieee_underflow 0
		.amdhsa_exception_fp_ieee_inexact 0
		.amdhsa_exception_int_div_zero 0
	.end_amdhsa_kernel
	.section	.text._ZN4vllm3moe10topkGatingILi4ELi4ELi4ELi8ELi32Ei14__hip_bfloat16LNS0_11ScoringFuncE0EEEvPKT5_PKbPfiPT4_PiiiibPKf,"axG",@progbits,_ZN4vllm3moe10topkGatingILi4ELi4ELi4ELi8ELi32Ei14__hip_bfloat16LNS0_11ScoringFuncE0EEEvPKT5_PKbPfiPT4_PiiiibPKf,comdat
.Lfunc_end132:
	.size	_ZN4vllm3moe10topkGatingILi4ELi4ELi4ELi8ELi32Ei14__hip_bfloat16LNS0_11ScoringFuncE0EEEvPKT5_PKbPfiPT4_PiiiibPKf, .Lfunc_end132-_ZN4vllm3moe10topkGatingILi4ELi4ELi4ELi8ELi32Ei14__hip_bfloat16LNS0_11ScoringFuncE0EEEvPKT5_PKbPfiPT4_PiiiibPKf
                                        ; -- End function
	.section	.AMDGPU.csdata,"",@progbits
; Kernel info:
; codeLenInByte = 1720
; NumSgprs: 28
; NumVgprs: 22
; NumAgprs: 0
; TotalNumVgprs: 22
; ScratchSize: 0
; MemoryBound: 1
; FloatMode: 240
; IeeeMode: 1
; LDSByteSize: 0 bytes/workgroup (compile time only)
; SGPRBlocks: 3
; VGPRBlocks: 2
; NumSGPRsForWavesPerEU: 28
; NumVGPRsForWavesPerEU: 22
; AccumOffset: 24
; Occupancy: 8
; WaveLimiterHint : 0
; COMPUTE_PGM_RSRC2:SCRATCH_EN: 0
; COMPUTE_PGM_RSRC2:USER_SGPR: 6
; COMPUTE_PGM_RSRC2:TRAP_HANDLER: 0
; COMPUTE_PGM_RSRC2:TGID_X_EN: 1
; COMPUTE_PGM_RSRC2:TGID_Y_EN: 0
; COMPUTE_PGM_RSRC2:TGID_Z_EN: 0
; COMPUTE_PGM_RSRC2:TIDIG_COMP_CNT: 1
; COMPUTE_PGM_RSRC3_GFX90A:ACCUM_OFFSET: 5
; COMPUTE_PGM_RSRC3_GFX90A:TG_SPLIT: 0
	.section	.text._ZN4vllm3moe10topkGatingILi8ELi8ELi4ELi16ELi64Ei14__hip_bfloat16LNS0_11ScoringFuncE0EEEvPKT5_PKbPfiPT4_PiiiibPKf,"axG",@progbits,_ZN4vllm3moe10topkGatingILi8ELi8ELi4ELi16ELi64Ei14__hip_bfloat16LNS0_11ScoringFuncE0EEEvPKT5_PKbPfiPT4_PiiiibPKf,comdat
	.protected	_ZN4vllm3moe10topkGatingILi8ELi8ELi4ELi16ELi64Ei14__hip_bfloat16LNS0_11ScoringFuncE0EEEvPKT5_PKbPfiPT4_PiiiibPKf ; -- Begin function _ZN4vllm3moe10topkGatingILi8ELi8ELi4ELi16ELi64Ei14__hip_bfloat16LNS0_11ScoringFuncE0EEEvPKT5_PKbPfiPT4_PiiiibPKf
	.globl	_ZN4vllm3moe10topkGatingILi8ELi8ELi4ELi16ELi64Ei14__hip_bfloat16LNS0_11ScoringFuncE0EEEvPKT5_PKbPfiPT4_PiiiibPKf
	.p2align	8
	.type	_ZN4vllm3moe10topkGatingILi8ELi8ELi4ELi16ELi64Ei14__hip_bfloat16LNS0_11ScoringFuncE0EEEvPKT5_PKbPfiPT4_PiiiibPKf,@function
_ZN4vllm3moe10topkGatingILi8ELi8ELi4ELi16ELi64Ei14__hip_bfloat16LNS0_11ScoringFuncE0EEEvPKT5_PKbPfiPT4_PiiiibPKf: ; @_ZN4vllm3moe10topkGatingILi8ELi8ELi4ELi16ELi64Ei14__hip_bfloat16LNS0_11ScoringFuncE0EEEvPKT5_PKbPfiPT4_PiiiibPKf
; %bb.0:
	s_load_dword s18, s[4:5], 0x18
	v_bfe_u32 v1, v0, 10, 10
	s_lshl_b32 s0, s6, 8
	v_lshlrev_b32_e32 v1, 6, v1
	v_and_b32_e32 v0, 0x3ff, v0
	v_add3_u32 v16, v1, v0, s0
	s_waitcnt lgkmcnt(0)
	v_cmp_gt_i32_e32 vcc, s18, v16
	s_and_saveexec_b64 s[0:1], vcc
	s_cbranch_execz .LBB133_20
; %bb.1:
	s_load_dwordx4 s[0:3], s[4:5], 0x0
	s_load_dwordx2 s[12:13], s[4:5], 0x10
	s_mov_b64 s[6:7], -1
	s_mov_b64 s[14:15], -1
	s_waitcnt lgkmcnt(0)
	s_cmp_eq_u64 s[2:3], 0
	s_cbranch_scc1 .LBB133_3
; %bb.2:
	v_ashrrev_i32_e32 v1, 31, v16
	v_mov_b32_e32 v2, s3
	v_add_co_u32_e32 v0, vcc, s2, v16
	v_addc_co_u32_e32 v1, vcc, v2, v1, vcc
	global_load_ubyte v0, v[0:1], off
	s_waitcnt vmcnt(0)
	v_and_b32_e32 v0, 1, v0
	v_cmp_eq_u32_e32 vcc, 1, v0
	s_xor_b64 s[2:3], vcc, -1
	s_orn2_b64 s[14:15], s[2:3], exec
.LBB133_3:
	v_lshlrev_b32_e32 v0, 3, v16
	v_ashrrev_i32_e32 v1, 31, v0
	v_lshlrev_b64 v[0:1], 1, v[0:1]
	v_mov_b32_e32 v2, s1
	v_add_co_u32_e32 v0, vcc, s0, v0
	v_addc_co_u32_e32 v1, vcc, v2, v1, vcc
	global_load_dwordx4 v[0:3], v[0:1], off
	s_mov_b32 s2, 0x3fb8aa3b
	s_mov_b32 s0, 0xc2ce8ed0
	;; [unrolled: 1-line block ×3, first 2 shown]
	v_mov_b32_e32 v10, 0x7f800000
	s_waitcnt vmcnt(0)
	v_and_b32_e32 v5, 0xffff0000, v0
	v_lshlrev_b32_e32 v4, 16, v0
	v_and_b32_e32 v7, 0xffff0000, v1
	v_lshlrev_b32_e32 v6, 16, v1
	;; [unrolled: 2-line block ×4, first 2 shown]
	v_max_f32_e32 v2, v5, v5
	v_max_f32_e32 v3, v4, v4
	;; [unrolled: 1-line block ×3, first 2 shown]
	v_max3_f32 v2, v2, v6, v7
	v_max3_f32 v2, v2, v0, v1
	;; [unrolled: 1-line block ×3, first 2 shown]
	v_pk_add_f32 v[4:5], v[4:5], v[2:3] op_sel_hi:[1,0] neg_lo:[0,1] neg_hi:[0,1]
	v_pk_add_f32 v[6:7], v[6:7], v[2:3] op_sel_hi:[1,0] neg_lo:[0,1] neg_hi:[0,1]
	;; [unrolled: 1-line block ×3, first 2 shown]
	v_mul_f32_e32 v3, 0x3fb8aa3b, v5
	v_mul_f32_e32 v11, 0x3fb8aa3b, v4
	v_fma_f32 v17, v5, s2, -v3
	v_rndne_f32_e32 v18, v3
	v_mul_f32_e32 v12, 0x3fb8aa3b, v7
	v_fma_f32 v19, v4, s2, -v11
	v_rndne_f32_e32 v20, v11
	v_fmac_f32_e32 v17, 0x32a5705f, v5
	v_sub_f32_e32 v3, v3, v18
	v_mul_f32_e32 v13, 0x3fb8aa3b, v6
	v_fma_f32 v21, v7, s2, -v12
	v_rndne_f32_e32 v22, v12
	v_fmac_f32_e32 v19, 0x32a5705f, v4
	v_sub_f32_e32 v11, v11, v20
	v_add_f32_e32 v3, v3, v17
	v_mul_f32_e32 v14, 0x3fb8aa3b, v1
	v_fma_f32 v23, v6, s2, -v13
	v_rndne_f32_e32 v24, v13
	v_cvt_i32_f32_e32 v18, v18
	v_fmac_f32_e32 v21, 0x32a5705f, v7
	v_sub_f32_e32 v12, v12, v22
	v_add_f32_e32 v11, v11, v19
	v_exp_f32_e32 v3, v3
	v_fma_f32 v25, v1, s2, -v14
	v_rndne_f32_e32 v26, v14
	v_cvt_i32_f32_e32 v20, v20
	v_fmac_f32_e32 v23, 0x32a5705f, v6
	v_sub_f32_e32 v13, v13, v24
	v_add_f32_e32 v12, v12, v21
	v_exp_f32_e32 v11, v11
	v_cvt_i32_f32_e32 v22, v22
	v_fmac_f32_e32 v25, 0x32a5705f, v1
	v_sub_f32_e32 v14, v14, v26
	v_add_f32_e32 v13, v13, v23
	v_exp_f32_e32 v12, v12
	v_cvt_i32_f32_e32 v24, v24
	v_add_f32_e32 v14, v14, v25
	v_exp_f32_e32 v13, v13
	v_cvt_i32_f32_e32 v26, v26
	v_exp_f32_e32 v14, v14
	v_ldexp_f32 v3, v3, v18
	v_cmp_ngt_f32_e32 vcc, s0, v5
	v_ldexp_f32 v11, v11, v20
	v_cndmask_b32_e32 v3, 0, v3, vcc
	v_cmp_ngt_f32_e32 vcc, s0, v4
	v_ldexp_f32 v12, v12, v22
	v_cndmask_b32_e32 v11, 0, v11, vcc
	v_cmp_ngt_f32_e32 vcc, s0, v7
	v_ldexp_f32 v13, v13, v24
	v_cndmask_b32_e32 v12, 0, v12, vcc
	v_cmp_ngt_f32_e32 vcc, s0, v6
	v_ldexp_f32 v14, v14, v26
	v_cndmask_b32_e32 v13, 0, v13, vcc
	v_cmp_ngt_f32_e32 vcc, s0, v1
	v_cndmask_b32_e32 v14, 0, v14, vcc
	v_cmp_nlt_f32_e32 vcc, s1, v5
	v_mul_f32_e32 v15, 0x3fb8aa3b, v0
	v_cndmask_b32_e32 v5, v10, v3, vcc
	v_cmp_nlt_f32_e32 vcc, s1, v4
	v_pk_add_f32 v[2:3], v[8:9], v[2:3] op_sel_hi:[1,0] neg_lo:[0,1] neg_hi:[0,1]
	v_fma_f32 v27, v0, s2, -v15
	v_rndne_f32_e32 v28, v15
	v_cndmask_b32_e32 v4, v10, v11, vcc
	v_cmp_nlt_f32_e32 vcc, s1, v7
	v_mul_f32_e32 v8, 0x3fb8aa3b, v3
	v_fmac_f32_e32 v27, 0x32a5705f, v0
	v_sub_f32_e32 v15, v15, v28
	v_cndmask_b32_e32 v7, v10, v12, vcc
	v_fma_f32 v9, v3, s2, -v8
	v_rndne_f32_e32 v12, v8
	v_add_f32_e32 v15, v15, v27
	v_fmac_f32_e32 v9, 0x32a5705f, v3
	v_sub_f32_e32 v8, v8, v12
	v_cvt_i32_f32_e32 v28, v28
	v_exp_f32_e32 v15, v15
	v_add_f32_e32 v8, v8, v9
	v_exp_f32_e32 v8, v8
	v_cvt_i32_f32_e32 v9, v12
	v_cmp_nlt_f32_e32 vcc, s1, v6
	v_cndmask_b32_e32 v6, v10, v13, vcc
	v_cmp_nlt_f32_e32 vcc, s1, v1
	v_cndmask_b32_e32 v1, v10, v14, vcc
	v_ldexp_f32 v11, v15, v28
	v_cmp_ngt_f32_e32 vcc, s0, v0
	v_cndmask_b32_e32 v11, 0, v11, vcc
	v_cmp_nlt_f32_e32 vcc, s1, v0
	v_ldexp_f32 v8, v8, v9
	v_mul_f32_e32 v9, 0x3fb8aa3b, v2
	v_cndmask_b32_e32 v0, v10, v11, vcc
	v_fma_f32 v11, v2, s2, -v9
	v_rndne_f32_e32 v12, v9
	v_fmac_f32_e32 v11, 0x32a5705f, v2
	v_sub_f32_e32 v9, v9, v12
	v_add_f32_e32 v9, v9, v11
	v_exp_f32_e32 v9, v9
	v_cvt_i32_f32_e32 v11, v12
	v_cmp_ngt_f32_e32 vcc, s0, v3
	v_cndmask_b32_e32 v8, 0, v8, vcc
	v_cmp_nlt_f32_e32 vcc, s1, v3
	v_cndmask_b32_e32 v3, v10, v8, vcc
	v_ldexp_f32 v8, v9, v11
	v_cmp_ngt_f32_e32 vcc, s0, v2
	v_cndmask_b32_e32 v8, 0, v8, vcc
	v_cmp_nlt_f32_e32 vcc, s1, v2
	v_cndmask_b32_e32 v2, v10, v8, vcc
	v_add_f32_e32 v8, v4, v5
	v_add_f32_e32 v8, v8, v6
	;; [unrolled: 1-line block ×7, first 2 shown]
	v_div_scale_f32 v9, s[0:1], v8, v8, 1.0
	v_rcp_f32_e32 v10, v9
	s_load_dwordx2 s[0:1], s[4:5], 0x40
	v_fma_f32 v11, -v9, v10, 1.0
	v_fmac_f32_e32 v10, v11, v10
	v_div_scale_f32 v11, vcc, 1.0, v8, 1.0
	v_mul_f32_e32 v12, v11, v10
	v_fma_f32 v13, -v9, v12, v11
	v_fmac_f32_e32 v12, v13, v10
	v_fma_f32 v9, -v9, v12, v11
	v_div_fmas_f32 v9, v9, v10, v12
	v_div_fixup_f32 v8, v9, v8, 1.0
	v_pk_mul_f32 v[4:5], v[8:9], v[4:5] op_sel_hi:[0,1]
	v_mov_b32_e32 v12, 0x207
	v_cmp_class_f32_e32 vcc, v5, v12
	v_pk_mul_f32 v[6:7], v[8:9], v[6:7] op_sel_hi:[0,1]
	v_pk_mul_f32 v[10:11], v[8:9], v[0:1] op_sel_hi:[0,1]
	v_cndmask_b32_e64 v1, v5, 0, vcc
	v_cmp_class_f32_e32 vcc, v4, v12
	v_cndmask_b32_e64 v0, v4, 0, vcc
	v_cmp_class_f32_e32 vcc, v7, v12
	v_pk_mul_f32 v[8:9], v[8:9], v[2:3] op_sel_hi:[0,1]
	v_cndmask_b32_e64 v3, v7, 0, vcc
	v_cmp_class_f32_e32 vcc, v6, v12
	v_cndmask_b32_e64 v2, v6, 0, vcc
	v_cmp_class_f32_e32 vcc, v11, v12
	;; [unrolled: 2-line block ×5, first 2 shown]
	s_waitcnt lgkmcnt(0)
	s_cmp_eq_u64 s[0:1], 0
	v_cndmask_b32_e64 v6, v8, 0, vcc
	s_cbranch_scc1 .LBB133_10
; %bb.4:
	s_load_dwordx8 s[20:27], s[0:1], 0x0
	s_waitcnt lgkmcnt(0)
	v_pk_add_f32 v[8:9], s[20:21], v[0:1]
	v_pk_add_f32 v[10:11], s[22:23], v[2:3]
	;; [unrolled: 1-line block ×4, first 2 shown]
	s_cbranch_execnz .LBB133_6
.LBB133_5:
	v_pk_mov_b32 v[14:15], v[6:7], v[6:7] op_sel:[0,1]
	v_pk_mov_b32 v[12:13], v[4:5], v[4:5] op_sel:[0,1]
	;; [unrolled: 1-line block ×4, first 2 shown]
.LBB133_6:
	s_load_dwordx4 s[8:11], s[4:5], 0x30
	s_waitcnt lgkmcnt(0)
	s_bitcmp1_b32 s11, 0
	s_cselect_b64 vcc, -1, 0
	s_cmp_gt_i32 s8, 0
	s_cselect_b64 s[16:17], -1, 0
	s_cmp_lt_i32 s8, 1
	s_mov_b32 s11, 0
	s_cbranch_scc1 .LBB133_11
; %bb.7:
	s_load_dwordx4 s[4:7], s[4:5], 0x20
	v_mul_lo_u32 v18, v16, s8
	v_mov_b32_e32 v17, 0
	v_mov_b32_e32 v19, s13
	;; [unrolled: 1-line block ×3, first 2 shown]
	s_waitcnt lgkmcnt(0)
	v_mov_b32_e32 v20, s5
	v_mov_b32_e32 v21, s7
	;; [unrolled: 1-line block ×3, first 2 shown]
.LBB133_8:                              ; =>This Inner Loop Header: Depth=1
	v_cmp_gt_f32_e64 s[0:1], v9, v8
	v_cndmask_b32_e64 v24, v8, v9, s[0:1]
	v_cndmask_b32_e64 v25, v0, v1, s[0:1]
	v_cndmask_b32_e64 v26, 0, 1, s[0:1]
	v_cmp_gt_f32_e64 s[0:1], v10, v24
	v_cndmask_b32_e64 v24, v24, v10, s[0:1]
	v_cndmask_b32_e64 v25, v25, v2, s[0:1]
	v_cndmask_b32_e64 v26, v26, 2, s[0:1]
	;; [unrolled: 4-line block ×6, first 2 shown]
	v_cmp_gt_f32_e64 s[0:1], v15, v24
	v_add_u32_e32 v24, s11, v18
	v_cndmask_b32_e64 v28, v25, v7, s[0:1]
	v_cndmask_b32_e64 v29, v26, 7, s[0:1]
	v_ashrrev_i32_e32 v25, 31, v24
	v_cmp_le_i32_e64 s[0:1], s9, v29
	v_cmp_gt_i32_e64 s[2:3], s10, v29
	v_lshlrev_b64 v[24:25], 2, v[24:25]
	s_and_b64 s[2:3], s[0:1], s[2:3]
	v_add_co_u32_e64 v26, s[0:1], s12, v24
	v_addc_co_u32_e64 v27, s[0:1], v19, v25, s[0:1]
	global_store_dword v[26:27], v28, off
	v_subrev_u32_e32 v26, s9, v29
	s_and_b64 s[0:1], s[14:15], s[2:3]
	v_cndmask_b32_e64 v30, 8, v26, s[0:1]
	v_add_co_u32_e64 v26, s[0:1], s4, v24
	v_addc_co_u32_e64 v27, s[0:1], v20, v25, s[0:1]
	v_add_co_u32_e64 v24, s[0:1], s6, v24
	v_addc_co_u32_e64 v25, s[0:1], v21, v25, s[0:1]
	global_store_dword v[26:27], v30, off
	global_store_dword v[24:25], v23, off
	v_add_f32_e32 v24, v17, v28
	v_cmp_ne_u32_e64 s[0:1], 0, v29
	v_cndmask_b32_e32 v17, v17, v24, vcc
	v_cndmask_b32_e64 v24, v22, v8, s[0:1]
	v_cmp_ne_u32_e64 s[0:1], 1, v29
	v_cndmask_b32_e64 v25, v22, v9, s[0:1]
	v_cmp_ne_u32_e64 s[0:1], 2, v29
	;; [unrolled: 2-line block ×5, first 2 shown]
	s_add_i32 s11, s11, 1
	v_cndmask_b32_e64 v30, v22, v13, s[0:1]
	v_cmp_ne_u32_e64 s[0:1], 6, v29
	s_cmp_lt_i32 s11, s8
	v_cndmask_b32_e64 v31, v22, v14, s[0:1]
	v_cmp_ne_u32_e64 s[0:1], 7, v29
	v_cndmask_b32_e64 v29, v22, v15, s[0:1]
	s_cselect_b64 s[0:1], -1, 0
	v_cndmask_b32_e64 v15, v15, v29, s[0:1]
	v_cndmask_b32_e64 v14, v14, v31, s[0:1]
	;; [unrolled: 1-line block ×8, first 2 shown]
	s_cmp_eq_u32 s8, s11
	v_add_u32_e32 v23, s18, v23
	s_cbranch_scc0 .LBB133_8
; %bb.9:
	s_and_b64 vcc, exec, vcc
	s_cbranch_vccnz .LBB133_12
	s_branch .LBB133_20
.LBB133_10:
                                        ; implicit-def: $vgpr8_vgpr9_vgpr10_vgpr11_vgpr12_vgpr13_vgpr14_vgpr15
	s_andn2_b64 vcc, exec, s[6:7]
	s_cbranch_vccz .LBB133_5
	s_branch .LBB133_6
.LBB133_11:
	v_mov_b32_e32 v17, 0
	s_and_b64 vcc, exec, vcc
	s_cbranch_vccz .LBB133_20
.LBB133_12:
	s_andn2_b64 vcc, exec, s[16:17]
	s_cbranch_vccnz .LBB133_20
; %bb.13:
	v_cmp_lt_f32_e32 vcc, 0, v17
	s_mov_b32 s2, 0
	v_cndmask_b32_e32 v0, 1.0, v17, vcc
	v_mul_lo_u32 v4, v16, s8
	s_cmp_eq_u32 s8, 1
	s_mov_b64 s[0:1], -1
	s_cbranch_scc1 .LBB133_17
; %bb.14:
	s_and_b32 s2, s8, 0x7ffffffe
	v_mov_b32_e32 v1, v0
	v_mov_b32_e32 v5, s13
	s_mov_b32 s3, s2
	v_mov_b32_e32 v2, v4
.LBB133_15:                             ; =>This Inner Loop Header: Depth=1
	v_ashrrev_i32_e32 v3, 31, v2
	v_lshlrev_b64 v[6:7], 2, v[2:3]
	v_add_co_u32_e32 v6, vcc, s12, v6
	v_addc_co_u32_e32 v7, vcc, v5, v7, vcc
	global_load_dwordx2 v[8:9], v[6:7], off
	s_add_i32 s3, s3, -2
	s_cmp_lg_u32 s3, 0
	v_add_u32_e32 v2, 2, v2
	s_waitcnt vmcnt(0)
	v_div_scale_f32 v3, s[0:1], v1, v1, v9
	v_div_scale_f32 v11, s[0:1], v0, v0, v8
	v_rcp_f32_e32 v12, v3
	v_rcp_f32_e32 v13, v11
	v_div_scale_f32 v10, vcc, v9, v1, v9
	v_fma_f32 v15, -v3, v12, 1.0
	v_fma_f32 v16, -v11, v13, 1.0
	v_fmac_f32_e32 v12, v15, v12
	v_div_scale_f32 v14, s[0:1], v8, v0, v8
	v_fmac_f32_e32 v13, v16, v13
	v_mul_f32_e32 v15, v10, v12
	v_mul_f32_e32 v16, v14, v13
	v_fma_f32 v17, -v3, v15, v10
	v_fma_f32 v18, -v11, v16, v14
	v_fmac_f32_e32 v15, v17, v12
	v_fmac_f32_e32 v16, v18, v13
	v_fma_f32 v3, -v3, v15, v10
	v_fma_f32 v10, -v11, v16, v14
	v_div_fmas_f32 v3, v3, v12, v15
	s_mov_b64 vcc, s[0:1]
	v_div_fixup_f32 v9, v3, v1, v9
	v_div_fmas_f32 v3, v10, v13, v16
	v_div_fixup_f32 v8, v3, v0, v8
	global_store_dwordx2 v[6:7], v[8:9], off
	s_cbranch_scc1 .LBB133_15
; %bb.16:
	s_cmp_lg_u32 s2, s8
	s_cselect_b64 s[0:1], -1, 0
.LBB133_17:
	s_and_b64 vcc, exec, s[0:1]
	s_cbranch_vccz .LBB133_20
; %bb.18:
	v_ashrrev_i32_e32 v1, 31, v4
	v_add_co_u32_e32 v2, vcc, s2, v4
	v_addc_co_u32_e32 v3, vcc, 0, v1, vcc
	v_lshlrev_b64 v[2:3], 2, v[2:3]
	v_mov_b32_e32 v1, s13
	v_add_co_u32_e32 v2, vcc, s12, v2
	s_sub_i32 s0, s8, s2
	v_addc_co_u32_e32 v3, vcc, v1, v3, vcc
.LBB133_19:                             ; =>This Inner Loop Header: Depth=1
	global_load_dword v1, v[2:3], off
	s_add_i32 s0, s0, -1
	s_cmp_lg_u32 s0, 0
	s_waitcnt vmcnt(0)
	v_div_scale_f32 v4, s[2:3], v0, v0, v1
	v_rcp_f32_e32 v5, v4
	v_div_scale_f32 v6, vcc, v1, v0, v1
	v_fma_f32 v7, -v4, v5, 1.0
	v_fmac_f32_e32 v5, v7, v5
	v_mul_f32_e32 v7, v6, v5
	v_fma_f32 v8, -v4, v7, v6
	v_fmac_f32_e32 v7, v8, v5
	v_fma_f32 v4, -v4, v7, v6
	v_div_fmas_f32 v4, v4, v5, v7
	v_div_fixup_f32 v1, v4, v0, v1
	global_store_dword v[2:3], v1, off
	v_add_co_u32_e32 v2, vcc, 4, v2
	v_addc_co_u32_e32 v3, vcc, 0, v3, vcc
	s_cbranch_scc1 .LBB133_19
.LBB133_20:
	s_endpgm
	.section	.rodata,"a",@progbits
	.p2align	6, 0x0
	.amdhsa_kernel _ZN4vllm3moe10topkGatingILi8ELi8ELi4ELi16ELi64Ei14__hip_bfloat16LNS0_11ScoringFuncE0EEEvPKT5_PKbPfiPT4_PiiiibPKf
		.amdhsa_group_segment_fixed_size 0
		.amdhsa_private_segment_fixed_size 0
		.amdhsa_kernarg_size 72
		.amdhsa_user_sgpr_count 6
		.amdhsa_user_sgpr_private_segment_buffer 1
		.amdhsa_user_sgpr_dispatch_ptr 0
		.amdhsa_user_sgpr_queue_ptr 0
		.amdhsa_user_sgpr_kernarg_segment_ptr 1
		.amdhsa_user_sgpr_dispatch_id 0
		.amdhsa_user_sgpr_flat_scratch_init 0
		.amdhsa_user_sgpr_kernarg_preload_length 0
		.amdhsa_user_sgpr_kernarg_preload_offset 0
		.amdhsa_user_sgpr_private_segment_size 0
		.amdhsa_uses_dynamic_stack 0
		.amdhsa_system_sgpr_private_segment_wavefront_offset 0
		.amdhsa_system_sgpr_workgroup_id_x 1
		.amdhsa_system_sgpr_workgroup_id_y 0
		.amdhsa_system_sgpr_workgroup_id_z 0
		.amdhsa_system_sgpr_workgroup_info 0
		.amdhsa_system_vgpr_workitem_id 1
		.amdhsa_next_free_vgpr 32
		.amdhsa_next_free_sgpr 28
		.amdhsa_accum_offset 32
		.amdhsa_reserve_vcc 1
		.amdhsa_reserve_flat_scratch 0
		.amdhsa_float_round_mode_32 0
		.amdhsa_float_round_mode_16_64 0
		.amdhsa_float_denorm_mode_32 3
		.amdhsa_float_denorm_mode_16_64 3
		.amdhsa_dx10_clamp 1
		.amdhsa_ieee_mode 1
		.amdhsa_fp16_overflow 0
		.amdhsa_tg_split 0
		.amdhsa_exception_fp_ieee_invalid_op 0
		.amdhsa_exception_fp_denorm_src 0
		.amdhsa_exception_fp_ieee_div_zero 0
		.amdhsa_exception_fp_ieee_overflow 0
		.amdhsa_exception_fp_ieee_underflow 0
		.amdhsa_exception_fp_ieee_inexact 0
		.amdhsa_exception_int_div_zero 0
	.end_amdhsa_kernel
	.section	.text._ZN4vllm3moe10topkGatingILi8ELi8ELi4ELi16ELi64Ei14__hip_bfloat16LNS0_11ScoringFuncE0EEEvPKT5_PKbPfiPT4_PiiiibPKf,"axG",@progbits,_ZN4vllm3moe10topkGatingILi8ELi8ELi4ELi16ELi64Ei14__hip_bfloat16LNS0_11ScoringFuncE0EEEvPKT5_PKbPfiPT4_PiiiibPKf,comdat
.Lfunc_end133:
	.size	_ZN4vllm3moe10topkGatingILi8ELi8ELi4ELi16ELi64Ei14__hip_bfloat16LNS0_11ScoringFuncE0EEEvPKT5_PKbPfiPT4_PiiiibPKf, .Lfunc_end133-_ZN4vllm3moe10topkGatingILi8ELi8ELi4ELi16ELi64Ei14__hip_bfloat16LNS0_11ScoringFuncE0EEEvPKT5_PKbPfiPT4_PiiiibPKf
                                        ; -- End function
	.section	.AMDGPU.csdata,"",@progbits
; Kernel info:
; codeLenInByte = 2328
; NumSgprs: 32
; NumVgprs: 32
; NumAgprs: 0
; TotalNumVgprs: 32
; ScratchSize: 0
; MemoryBound: 1
; FloatMode: 240
; IeeeMode: 1
; LDSByteSize: 0 bytes/workgroup (compile time only)
; SGPRBlocks: 3
; VGPRBlocks: 3
; NumSGPRsForWavesPerEU: 32
; NumVGPRsForWavesPerEU: 32
; AccumOffset: 32
; Occupancy: 8
; WaveLimiterHint : 0
; COMPUTE_PGM_RSRC2:SCRATCH_EN: 0
; COMPUTE_PGM_RSRC2:USER_SGPR: 6
; COMPUTE_PGM_RSRC2:TRAP_HANDLER: 0
; COMPUTE_PGM_RSRC2:TGID_X_EN: 1
; COMPUTE_PGM_RSRC2:TGID_Y_EN: 0
; COMPUTE_PGM_RSRC2:TGID_Z_EN: 0
; COMPUTE_PGM_RSRC2:TIDIG_COMP_CNT: 1
; COMPUTE_PGM_RSRC3_GFX90A:ACCUM_OFFSET: 7
; COMPUTE_PGM_RSRC3_GFX90A:TG_SPLIT: 0
	.section	.text._ZN4vllm3moe10topkGatingILi8ELi8ELi4ELi16ELi32Ei14__hip_bfloat16LNS0_11ScoringFuncE0EEEvPKT5_PKbPfiPT4_PiiiibPKf,"axG",@progbits,_ZN4vllm3moe10topkGatingILi8ELi8ELi4ELi16ELi32Ei14__hip_bfloat16LNS0_11ScoringFuncE0EEEvPKT5_PKbPfiPT4_PiiiibPKf,comdat
	.protected	_ZN4vllm3moe10topkGatingILi8ELi8ELi4ELi16ELi32Ei14__hip_bfloat16LNS0_11ScoringFuncE0EEEvPKT5_PKbPfiPT4_PiiiibPKf ; -- Begin function _ZN4vllm3moe10topkGatingILi8ELi8ELi4ELi16ELi32Ei14__hip_bfloat16LNS0_11ScoringFuncE0EEEvPKT5_PKbPfiPT4_PiiiibPKf
	.globl	_ZN4vllm3moe10topkGatingILi8ELi8ELi4ELi16ELi32Ei14__hip_bfloat16LNS0_11ScoringFuncE0EEEvPKT5_PKbPfiPT4_PiiiibPKf
	.p2align	8
	.type	_ZN4vllm3moe10topkGatingILi8ELi8ELi4ELi16ELi32Ei14__hip_bfloat16LNS0_11ScoringFuncE0EEEvPKT5_PKbPfiPT4_PiiiibPKf,@function
_ZN4vllm3moe10topkGatingILi8ELi8ELi4ELi16ELi32Ei14__hip_bfloat16LNS0_11ScoringFuncE0EEEvPKT5_PKbPfiPT4_PiiiibPKf: ; @_ZN4vllm3moe10topkGatingILi8ELi8ELi4ELi16ELi32Ei14__hip_bfloat16LNS0_11ScoringFuncE0EEEvPKT5_PKbPfiPT4_PiiiibPKf
; %bb.0:
	s_load_dword s18, s[4:5], 0x18
	v_bfe_u32 v1, v0, 10, 10
	s_lshl_b32 s0, s6, 7
	v_lshlrev_b32_e32 v1, 5, v1
	v_and_b32_e32 v0, 0x3ff, v0
	v_add3_u32 v16, v1, v0, s0
	s_waitcnt lgkmcnt(0)
	v_cmp_gt_i32_e32 vcc, s18, v16
	s_and_saveexec_b64 s[0:1], vcc
	s_cbranch_execz .LBB134_20
; %bb.1:
	s_load_dwordx4 s[0:3], s[4:5], 0x0
	s_load_dwordx2 s[12:13], s[4:5], 0x10
	s_mov_b64 s[6:7], -1
	s_mov_b64 s[14:15], -1
	s_waitcnt lgkmcnt(0)
	s_cmp_eq_u64 s[2:3], 0
	s_cbranch_scc1 .LBB134_3
; %bb.2:
	v_ashrrev_i32_e32 v1, 31, v16
	v_mov_b32_e32 v2, s3
	v_add_co_u32_e32 v0, vcc, s2, v16
	v_addc_co_u32_e32 v1, vcc, v2, v1, vcc
	global_load_ubyte v0, v[0:1], off
	s_waitcnt vmcnt(0)
	v_and_b32_e32 v0, 1, v0
	v_cmp_eq_u32_e32 vcc, 1, v0
	s_xor_b64 s[2:3], vcc, -1
	s_orn2_b64 s[14:15], s[2:3], exec
.LBB134_3:
	v_lshlrev_b32_e32 v0, 3, v16
	v_ashrrev_i32_e32 v1, 31, v0
	v_lshlrev_b64 v[0:1], 1, v[0:1]
	v_mov_b32_e32 v2, s1
	v_add_co_u32_e32 v0, vcc, s0, v0
	v_addc_co_u32_e32 v1, vcc, v2, v1, vcc
	global_load_dwordx4 v[0:3], v[0:1], off
	s_mov_b32 s2, 0x3fb8aa3b
	s_mov_b32 s0, 0xc2ce8ed0
	;; [unrolled: 1-line block ×3, first 2 shown]
	v_mov_b32_e32 v10, 0x7f800000
	s_waitcnt vmcnt(0)
	v_and_b32_e32 v5, 0xffff0000, v0
	v_lshlrev_b32_e32 v4, 16, v0
	v_and_b32_e32 v7, 0xffff0000, v1
	v_lshlrev_b32_e32 v6, 16, v1
	;; [unrolled: 2-line block ×4, first 2 shown]
	v_max_f32_e32 v2, v5, v5
	v_max_f32_e32 v3, v4, v4
	;; [unrolled: 1-line block ×3, first 2 shown]
	v_max3_f32 v2, v2, v6, v7
	v_max3_f32 v2, v2, v0, v1
	v_max3_f32 v2, v2, v8, v9
	v_pk_add_f32 v[4:5], v[4:5], v[2:3] op_sel_hi:[1,0] neg_lo:[0,1] neg_hi:[0,1]
	v_pk_add_f32 v[6:7], v[6:7], v[2:3] op_sel_hi:[1,0] neg_lo:[0,1] neg_hi:[0,1]
	;; [unrolled: 1-line block ×3, first 2 shown]
	v_mul_f32_e32 v3, 0x3fb8aa3b, v5
	v_mul_f32_e32 v11, 0x3fb8aa3b, v4
	v_fma_f32 v17, v5, s2, -v3
	v_rndne_f32_e32 v18, v3
	v_mul_f32_e32 v12, 0x3fb8aa3b, v7
	v_fma_f32 v19, v4, s2, -v11
	v_rndne_f32_e32 v20, v11
	v_fmac_f32_e32 v17, 0x32a5705f, v5
	v_sub_f32_e32 v3, v3, v18
	v_mul_f32_e32 v13, 0x3fb8aa3b, v6
	v_fma_f32 v21, v7, s2, -v12
	v_rndne_f32_e32 v22, v12
	v_fmac_f32_e32 v19, 0x32a5705f, v4
	v_sub_f32_e32 v11, v11, v20
	v_add_f32_e32 v3, v3, v17
	v_mul_f32_e32 v14, 0x3fb8aa3b, v1
	v_fma_f32 v23, v6, s2, -v13
	v_rndne_f32_e32 v24, v13
	v_cvt_i32_f32_e32 v18, v18
	v_fmac_f32_e32 v21, 0x32a5705f, v7
	v_sub_f32_e32 v12, v12, v22
	v_add_f32_e32 v11, v11, v19
	v_exp_f32_e32 v3, v3
	v_fma_f32 v25, v1, s2, -v14
	v_rndne_f32_e32 v26, v14
	v_cvt_i32_f32_e32 v20, v20
	v_fmac_f32_e32 v23, 0x32a5705f, v6
	v_sub_f32_e32 v13, v13, v24
	v_add_f32_e32 v12, v12, v21
	v_exp_f32_e32 v11, v11
	v_cvt_i32_f32_e32 v22, v22
	v_fmac_f32_e32 v25, 0x32a5705f, v1
	v_sub_f32_e32 v14, v14, v26
	v_add_f32_e32 v13, v13, v23
	v_exp_f32_e32 v12, v12
	v_cvt_i32_f32_e32 v24, v24
	v_add_f32_e32 v14, v14, v25
	v_exp_f32_e32 v13, v13
	v_cvt_i32_f32_e32 v26, v26
	v_exp_f32_e32 v14, v14
	v_ldexp_f32 v3, v3, v18
	v_cmp_ngt_f32_e32 vcc, s0, v5
	v_ldexp_f32 v11, v11, v20
	v_cndmask_b32_e32 v3, 0, v3, vcc
	v_cmp_ngt_f32_e32 vcc, s0, v4
	v_ldexp_f32 v12, v12, v22
	v_cndmask_b32_e32 v11, 0, v11, vcc
	;; [unrolled: 3-line block ×4, first 2 shown]
	v_cmp_ngt_f32_e32 vcc, s0, v1
	v_cndmask_b32_e32 v14, 0, v14, vcc
	v_cmp_nlt_f32_e32 vcc, s1, v5
	v_mul_f32_e32 v15, 0x3fb8aa3b, v0
	v_cndmask_b32_e32 v5, v10, v3, vcc
	v_cmp_nlt_f32_e32 vcc, s1, v4
	v_pk_add_f32 v[2:3], v[8:9], v[2:3] op_sel_hi:[1,0] neg_lo:[0,1] neg_hi:[0,1]
	v_fma_f32 v27, v0, s2, -v15
	v_rndne_f32_e32 v28, v15
	v_cndmask_b32_e32 v4, v10, v11, vcc
	v_cmp_nlt_f32_e32 vcc, s1, v7
	v_mul_f32_e32 v8, 0x3fb8aa3b, v3
	v_fmac_f32_e32 v27, 0x32a5705f, v0
	v_sub_f32_e32 v15, v15, v28
	v_cndmask_b32_e32 v7, v10, v12, vcc
	v_fma_f32 v9, v3, s2, -v8
	v_rndne_f32_e32 v12, v8
	v_add_f32_e32 v15, v15, v27
	v_fmac_f32_e32 v9, 0x32a5705f, v3
	v_sub_f32_e32 v8, v8, v12
	v_cvt_i32_f32_e32 v28, v28
	v_exp_f32_e32 v15, v15
	v_add_f32_e32 v8, v8, v9
	v_exp_f32_e32 v8, v8
	v_cvt_i32_f32_e32 v9, v12
	v_cmp_nlt_f32_e32 vcc, s1, v6
	v_cndmask_b32_e32 v6, v10, v13, vcc
	v_cmp_nlt_f32_e32 vcc, s1, v1
	v_cndmask_b32_e32 v1, v10, v14, vcc
	v_ldexp_f32 v11, v15, v28
	v_cmp_ngt_f32_e32 vcc, s0, v0
	v_cndmask_b32_e32 v11, 0, v11, vcc
	v_cmp_nlt_f32_e32 vcc, s1, v0
	v_ldexp_f32 v8, v8, v9
	v_mul_f32_e32 v9, 0x3fb8aa3b, v2
	v_cndmask_b32_e32 v0, v10, v11, vcc
	v_fma_f32 v11, v2, s2, -v9
	v_rndne_f32_e32 v12, v9
	v_fmac_f32_e32 v11, 0x32a5705f, v2
	v_sub_f32_e32 v9, v9, v12
	v_add_f32_e32 v9, v9, v11
	v_exp_f32_e32 v9, v9
	v_cvt_i32_f32_e32 v11, v12
	v_cmp_ngt_f32_e32 vcc, s0, v3
	v_cndmask_b32_e32 v8, 0, v8, vcc
	v_cmp_nlt_f32_e32 vcc, s1, v3
	v_cndmask_b32_e32 v3, v10, v8, vcc
	v_ldexp_f32 v8, v9, v11
	v_cmp_ngt_f32_e32 vcc, s0, v2
	v_cndmask_b32_e32 v8, 0, v8, vcc
	v_cmp_nlt_f32_e32 vcc, s1, v2
	v_cndmask_b32_e32 v2, v10, v8, vcc
	v_add_f32_e32 v8, v4, v5
	v_add_f32_e32 v8, v8, v6
	;; [unrolled: 1-line block ×7, first 2 shown]
	v_div_scale_f32 v9, s[0:1], v8, v8, 1.0
	v_rcp_f32_e32 v10, v9
	s_load_dwordx2 s[0:1], s[4:5], 0x40
	v_fma_f32 v11, -v9, v10, 1.0
	v_fmac_f32_e32 v10, v11, v10
	v_div_scale_f32 v11, vcc, 1.0, v8, 1.0
	v_mul_f32_e32 v12, v11, v10
	v_fma_f32 v13, -v9, v12, v11
	v_fmac_f32_e32 v12, v13, v10
	v_fma_f32 v9, -v9, v12, v11
	v_div_fmas_f32 v9, v9, v10, v12
	v_div_fixup_f32 v8, v9, v8, 1.0
	v_pk_mul_f32 v[4:5], v[8:9], v[4:5] op_sel_hi:[0,1]
	v_mov_b32_e32 v12, 0x207
	v_cmp_class_f32_e32 vcc, v5, v12
	v_pk_mul_f32 v[6:7], v[8:9], v[6:7] op_sel_hi:[0,1]
	v_pk_mul_f32 v[10:11], v[8:9], v[0:1] op_sel_hi:[0,1]
	v_cndmask_b32_e64 v1, v5, 0, vcc
	v_cmp_class_f32_e32 vcc, v4, v12
	v_cndmask_b32_e64 v0, v4, 0, vcc
	v_cmp_class_f32_e32 vcc, v7, v12
	v_pk_mul_f32 v[8:9], v[8:9], v[2:3] op_sel_hi:[0,1]
	v_cndmask_b32_e64 v3, v7, 0, vcc
	v_cmp_class_f32_e32 vcc, v6, v12
	v_cndmask_b32_e64 v2, v6, 0, vcc
	v_cmp_class_f32_e32 vcc, v11, v12
	;; [unrolled: 2-line block ×5, first 2 shown]
	s_waitcnt lgkmcnt(0)
	s_cmp_eq_u64 s[0:1], 0
	v_cndmask_b32_e64 v6, v8, 0, vcc
	s_cbranch_scc1 .LBB134_10
; %bb.4:
	s_load_dwordx8 s[20:27], s[0:1], 0x0
	s_waitcnt lgkmcnt(0)
	v_pk_add_f32 v[8:9], s[20:21], v[0:1]
	v_pk_add_f32 v[10:11], s[22:23], v[2:3]
	;; [unrolled: 1-line block ×4, first 2 shown]
	s_cbranch_execnz .LBB134_6
.LBB134_5:
	v_pk_mov_b32 v[14:15], v[6:7], v[6:7] op_sel:[0,1]
	v_pk_mov_b32 v[12:13], v[4:5], v[4:5] op_sel:[0,1]
	v_pk_mov_b32 v[10:11], v[2:3], v[2:3] op_sel:[0,1]
	v_pk_mov_b32 v[8:9], v[0:1], v[0:1] op_sel:[0,1]
.LBB134_6:
	s_load_dwordx4 s[8:11], s[4:5], 0x30
	s_waitcnt lgkmcnt(0)
	s_bitcmp1_b32 s11, 0
	s_cselect_b64 vcc, -1, 0
	s_cmp_gt_i32 s8, 0
	s_cselect_b64 s[16:17], -1, 0
	s_cmp_lt_i32 s8, 1
	s_mov_b32 s11, 0
	s_cbranch_scc1 .LBB134_11
; %bb.7:
	s_load_dwordx4 s[4:7], s[4:5], 0x20
	v_mul_lo_u32 v18, v16, s8
	v_mov_b32_e32 v17, 0
	v_mov_b32_e32 v19, s13
	;; [unrolled: 1-line block ×3, first 2 shown]
	s_waitcnt lgkmcnt(0)
	v_mov_b32_e32 v20, s5
	v_mov_b32_e32 v21, s7
	;; [unrolled: 1-line block ×3, first 2 shown]
.LBB134_8:                              ; =>This Inner Loop Header: Depth=1
	v_cmp_gt_f32_e64 s[0:1], v9, v8
	v_cndmask_b32_e64 v24, v8, v9, s[0:1]
	v_cndmask_b32_e64 v25, v0, v1, s[0:1]
	v_cndmask_b32_e64 v26, 0, 1, s[0:1]
	v_cmp_gt_f32_e64 s[0:1], v10, v24
	v_cndmask_b32_e64 v24, v24, v10, s[0:1]
	v_cndmask_b32_e64 v25, v25, v2, s[0:1]
	v_cndmask_b32_e64 v26, v26, 2, s[0:1]
	;; [unrolled: 4-line block ×6, first 2 shown]
	v_cmp_gt_f32_e64 s[0:1], v15, v24
	v_add_u32_e32 v24, s11, v18
	v_cndmask_b32_e64 v28, v25, v7, s[0:1]
	v_cndmask_b32_e64 v29, v26, 7, s[0:1]
	v_ashrrev_i32_e32 v25, 31, v24
	v_cmp_le_i32_e64 s[0:1], s9, v29
	v_cmp_gt_i32_e64 s[2:3], s10, v29
	v_lshlrev_b64 v[24:25], 2, v[24:25]
	s_and_b64 s[2:3], s[0:1], s[2:3]
	v_add_co_u32_e64 v26, s[0:1], s12, v24
	v_addc_co_u32_e64 v27, s[0:1], v19, v25, s[0:1]
	global_store_dword v[26:27], v28, off
	v_subrev_u32_e32 v26, s9, v29
	s_and_b64 s[0:1], s[14:15], s[2:3]
	v_cndmask_b32_e64 v30, 8, v26, s[0:1]
	v_add_co_u32_e64 v26, s[0:1], s4, v24
	v_addc_co_u32_e64 v27, s[0:1], v20, v25, s[0:1]
	v_add_co_u32_e64 v24, s[0:1], s6, v24
	v_addc_co_u32_e64 v25, s[0:1], v21, v25, s[0:1]
	global_store_dword v[26:27], v30, off
	global_store_dword v[24:25], v23, off
	v_add_f32_e32 v24, v17, v28
	v_cmp_ne_u32_e64 s[0:1], 0, v29
	v_cndmask_b32_e32 v17, v17, v24, vcc
	v_cndmask_b32_e64 v24, v22, v8, s[0:1]
	v_cmp_ne_u32_e64 s[0:1], 1, v29
	v_cndmask_b32_e64 v25, v22, v9, s[0:1]
	v_cmp_ne_u32_e64 s[0:1], 2, v29
	v_cndmask_b32_e64 v26, v22, v10, s[0:1]
	v_cmp_ne_u32_e64 s[0:1], 3, v29
	v_cndmask_b32_e64 v27, v22, v11, s[0:1]
	v_cmp_ne_u32_e64 s[0:1], 4, v29
	v_cndmask_b32_e64 v28, v22, v12, s[0:1]
	v_cmp_ne_u32_e64 s[0:1], 5, v29
	s_add_i32 s11, s11, 1
	v_cndmask_b32_e64 v30, v22, v13, s[0:1]
	v_cmp_ne_u32_e64 s[0:1], 6, v29
	s_cmp_lt_i32 s11, s8
	v_cndmask_b32_e64 v31, v22, v14, s[0:1]
	v_cmp_ne_u32_e64 s[0:1], 7, v29
	v_cndmask_b32_e64 v29, v22, v15, s[0:1]
	s_cselect_b64 s[0:1], -1, 0
	v_cndmask_b32_e64 v15, v15, v29, s[0:1]
	v_cndmask_b32_e64 v14, v14, v31, s[0:1]
	;; [unrolled: 1-line block ×8, first 2 shown]
	s_cmp_eq_u32 s8, s11
	v_add_u32_e32 v23, s18, v23
	s_cbranch_scc0 .LBB134_8
; %bb.9:
	s_and_b64 vcc, exec, vcc
	s_cbranch_vccnz .LBB134_12
	s_branch .LBB134_20
.LBB134_10:
                                        ; implicit-def: $vgpr8_vgpr9_vgpr10_vgpr11_vgpr12_vgpr13_vgpr14_vgpr15
	s_andn2_b64 vcc, exec, s[6:7]
	s_cbranch_vccz .LBB134_5
	s_branch .LBB134_6
.LBB134_11:
	v_mov_b32_e32 v17, 0
	s_and_b64 vcc, exec, vcc
	s_cbranch_vccz .LBB134_20
.LBB134_12:
	s_andn2_b64 vcc, exec, s[16:17]
	s_cbranch_vccnz .LBB134_20
; %bb.13:
	v_cmp_lt_f32_e32 vcc, 0, v17
	s_mov_b32 s2, 0
	v_cndmask_b32_e32 v0, 1.0, v17, vcc
	v_mul_lo_u32 v4, v16, s8
	s_cmp_eq_u32 s8, 1
	s_mov_b64 s[0:1], -1
	s_cbranch_scc1 .LBB134_17
; %bb.14:
	s_and_b32 s2, s8, 0x7ffffffe
	v_mov_b32_e32 v1, v0
	v_mov_b32_e32 v5, s13
	s_mov_b32 s3, s2
	v_mov_b32_e32 v2, v4
.LBB134_15:                             ; =>This Inner Loop Header: Depth=1
	v_ashrrev_i32_e32 v3, 31, v2
	v_lshlrev_b64 v[6:7], 2, v[2:3]
	v_add_co_u32_e32 v6, vcc, s12, v6
	v_addc_co_u32_e32 v7, vcc, v5, v7, vcc
	global_load_dwordx2 v[8:9], v[6:7], off
	s_add_i32 s3, s3, -2
	s_cmp_lg_u32 s3, 0
	v_add_u32_e32 v2, 2, v2
	s_waitcnt vmcnt(0)
	v_div_scale_f32 v3, s[0:1], v1, v1, v9
	v_div_scale_f32 v11, s[0:1], v0, v0, v8
	v_rcp_f32_e32 v12, v3
	v_rcp_f32_e32 v13, v11
	v_div_scale_f32 v10, vcc, v9, v1, v9
	v_fma_f32 v15, -v3, v12, 1.0
	v_fma_f32 v16, -v11, v13, 1.0
	v_fmac_f32_e32 v12, v15, v12
	v_div_scale_f32 v14, s[0:1], v8, v0, v8
	v_fmac_f32_e32 v13, v16, v13
	v_mul_f32_e32 v15, v10, v12
	v_mul_f32_e32 v16, v14, v13
	v_fma_f32 v17, -v3, v15, v10
	v_fma_f32 v18, -v11, v16, v14
	v_fmac_f32_e32 v15, v17, v12
	v_fmac_f32_e32 v16, v18, v13
	v_fma_f32 v3, -v3, v15, v10
	v_fma_f32 v10, -v11, v16, v14
	v_div_fmas_f32 v3, v3, v12, v15
	s_mov_b64 vcc, s[0:1]
	v_div_fixup_f32 v9, v3, v1, v9
	v_div_fmas_f32 v3, v10, v13, v16
	v_div_fixup_f32 v8, v3, v0, v8
	global_store_dwordx2 v[6:7], v[8:9], off
	s_cbranch_scc1 .LBB134_15
; %bb.16:
	s_cmp_lg_u32 s2, s8
	s_cselect_b64 s[0:1], -1, 0
.LBB134_17:
	s_and_b64 vcc, exec, s[0:1]
	s_cbranch_vccz .LBB134_20
; %bb.18:
	v_ashrrev_i32_e32 v1, 31, v4
	v_add_co_u32_e32 v2, vcc, s2, v4
	v_addc_co_u32_e32 v3, vcc, 0, v1, vcc
	v_lshlrev_b64 v[2:3], 2, v[2:3]
	v_mov_b32_e32 v1, s13
	v_add_co_u32_e32 v2, vcc, s12, v2
	s_sub_i32 s0, s8, s2
	v_addc_co_u32_e32 v3, vcc, v1, v3, vcc
.LBB134_19:                             ; =>This Inner Loop Header: Depth=1
	global_load_dword v1, v[2:3], off
	s_add_i32 s0, s0, -1
	s_cmp_lg_u32 s0, 0
	s_waitcnt vmcnt(0)
	v_div_scale_f32 v4, s[2:3], v0, v0, v1
	v_rcp_f32_e32 v5, v4
	v_div_scale_f32 v6, vcc, v1, v0, v1
	v_fma_f32 v7, -v4, v5, 1.0
	v_fmac_f32_e32 v5, v7, v5
	v_mul_f32_e32 v7, v6, v5
	v_fma_f32 v8, -v4, v7, v6
	v_fmac_f32_e32 v7, v8, v5
	v_fma_f32 v4, -v4, v7, v6
	v_div_fmas_f32 v4, v4, v5, v7
	v_div_fixup_f32 v1, v4, v0, v1
	global_store_dword v[2:3], v1, off
	v_add_co_u32_e32 v2, vcc, 4, v2
	v_addc_co_u32_e32 v3, vcc, 0, v3, vcc
	s_cbranch_scc1 .LBB134_19
.LBB134_20:
	s_endpgm
	.section	.rodata,"a",@progbits
	.p2align	6, 0x0
	.amdhsa_kernel _ZN4vllm3moe10topkGatingILi8ELi8ELi4ELi16ELi32Ei14__hip_bfloat16LNS0_11ScoringFuncE0EEEvPKT5_PKbPfiPT4_PiiiibPKf
		.amdhsa_group_segment_fixed_size 0
		.amdhsa_private_segment_fixed_size 0
		.amdhsa_kernarg_size 72
		.amdhsa_user_sgpr_count 6
		.amdhsa_user_sgpr_private_segment_buffer 1
		.amdhsa_user_sgpr_dispatch_ptr 0
		.amdhsa_user_sgpr_queue_ptr 0
		.amdhsa_user_sgpr_kernarg_segment_ptr 1
		.amdhsa_user_sgpr_dispatch_id 0
		.amdhsa_user_sgpr_flat_scratch_init 0
		.amdhsa_user_sgpr_kernarg_preload_length 0
		.amdhsa_user_sgpr_kernarg_preload_offset 0
		.amdhsa_user_sgpr_private_segment_size 0
		.amdhsa_uses_dynamic_stack 0
		.amdhsa_system_sgpr_private_segment_wavefront_offset 0
		.amdhsa_system_sgpr_workgroup_id_x 1
		.amdhsa_system_sgpr_workgroup_id_y 0
		.amdhsa_system_sgpr_workgroup_id_z 0
		.amdhsa_system_sgpr_workgroup_info 0
		.amdhsa_system_vgpr_workitem_id 1
		.amdhsa_next_free_vgpr 32
		.amdhsa_next_free_sgpr 28
		.amdhsa_accum_offset 32
		.amdhsa_reserve_vcc 1
		.amdhsa_reserve_flat_scratch 0
		.amdhsa_float_round_mode_32 0
		.amdhsa_float_round_mode_16_64 0
		.amdhsa_float_denorm_mode_32 3
		.amdhsa_float_denorm_mode_16_64 3
		.amdhsa_dx10_clamp 1
		.amdhsa_ieee_mode 1
		.amdhsa_fp16_overflow 0
		.amdhsa_tg_split 0
		.amdhsa_exception_fp_ieee_invalid_op 0
		.amdhsa_exception_fp_denorm_src 0
		.amdhsa_exception_fp_ieee_div_zero 0
		.amdhsa_exception_fp_ieee_overflow 0
		.amdhsa_exception_fp_ieee_underflow 0
		.amdhsa_exception_fp_ieee_inexact 0
		.amdhsa_exception_int_div_zero 0
	.end_amdhsa_kernel
	.section	.text._ZN4vllm3moe10topkGatingILi8ELi8ELi4ELi16ELi32Ei14__hip_bfloat16LNS0_11ScoringFuncE0EEEvPKT5_PKbPfiPT4_PiiiibPKf,"axG",@progbits,_ZN4vllm3moe10topkGatingILi8ELi8ELi4ELi16ELi32Ei14__hip_bfloat16LNS0_11ScoringFuncE0EEEvPKT5_PKbPfiPT4_PiiiibPKf,comdat
.Lfunc_end134:
	.size	_ZN4vllm3moe10topkGatingILi8ELi8ELi4ELi16ELi32Ei14__hip_bfloat16LNS0_11ScoringFuncE0EEEvPKT5_PKbPfiPT4_PiiiibPKf, .Lfunc_end134-_ZN4vllm3moe10topkGatingILi8ELi8ELi4ELi16ELi32Ei14__hip_bfloat16LNS0_11ScoringFuncE0EEEvPKT5_PKbPfiPT4_PiiiibPKf
                                        ; -- End function
	.section	.AMDGPU.csdata,"",@progbits
; Kernel info:
; codeLenInByte = 2328
; NumSgprs: 32
; NumVgprs: 32
; NumAgprs: 0
; TotalNumVgprs: 32
; ScratchSize: 0
; MemoryBound: 1
; FloatMode: 240
; IeeeMode: 1
; LDSByteSize: 0 bytes/workgroup (compile time only)
; SGPRBlocks: 3
; VGPRBlocks: 3
; NumSGPRsForWavesPerEU: 32
; NumVGPRsForWavesPerEU: 32
; AccumOffset: 32
; Occupancy: 8
; WaveLimiterHint : 0
; COMPUTE_PGM_RSRC2:SCRATCH_EN: 0
; COMPUTE_PGM_RSRC2:USER_SGPR: 6
; COMPUTE_PGM_RSRC2:TRAP_HANDLER: 0
; COMPUTE_PGM_RSRC2:TGID_X_EN: 1
; COMPUTE_PGM_RSRC2:TGID_Y_EN: 0
; COMPUTE_PGM_RSRC2:TGID_Z_EN: 0
; COMPUTE_PGM_RSRC2:TIDIG_COMP_CNT: 1
; COMPUTE_PGM_RSRC3_GFX90A:ACCUM_OFFSET: 7
; COMPUTE_PGM_RSRC3_GFX90A:TG_SPLIT: 0
	.section	.text._ZN4vllm3moe10topkGatingILi8ELi16ELi4ELi16ELi64Ei14__hip_bfloat16LNS0_11ScoringFuncE0EEEvPKT5_PKbPfiPT4_PiiiibPKf,"axG",@progbits,_ZN4vllm3moe10topkGatingILi8ELi16ELi4ELi16ELi64Ei14__hip_bfloat16LNS0_11ScoringFuncE0EEEvPKT5_PKbPfiPT4_PiiiibPKf,comdat
	.protected	_ZN4vllm3moe10topkGatingILi8ELi16ELi4ELi16ELi64Ei14__hip_bfloat16LNS0_11ScoringFuncE0EEEvPKT5_PKbPfiPT4_PiiiibPKf ; -- Begin function _ZN4vllm3moe10topkGatingILi8ELi16ELi4ELi16ELi64Ei14__hip_bfloat16LNS0_11ScoringFuncE0EEEvPKT5_PKbPfiPT4_PiiiibPKf
	.globl	_ZN4vllm3moe10topkGatingILi8ELi16ELi4ELi16ELi64Ei14__hip_bfloat16LNS0_11ScoringFuncE0EEEvPKT5_PKbPfiPT4_PiiiibPKf
	.p2align	8
	.type	_ZN4vllm3moe10topkGatingILi8ELi16ELi4ELi16ELi64Ei14__hip_bfloat16LNS0_11ScoringFuncE0EEEvPKT5_PKbPfiPT4_PiiiibPKf,@function
_ZN4vllm3moe10topkGatingILi8ELi16ELi4ELi16ELi64Ei14__hip_bfloat16LNS0_11ScoringFuncE0EEEvPKT5_PKbPfiPT4_PiiiibPKf: ; @_ZN4vllm3moe10topkGatingILi8ELi16ELi4ELi16ELi64Ei14__hip_bfloat16LNS0_11ScoringFuncE0EEEvPKT5_PKbPfiPT4_PiiiibPKf
; %bb.0:
	s_load_dword s24, s[4:5], 0x18
	v_bfe_u32 v1, v0, 10, 10
	v_and_b32_e32 v0, 0x3ff, v0
	s_lshl_b32 s0, s6, 7
	v_lshlrev_b32_e32 v1, 5, v1
	v_lshrrev_b32_e32 v2, 1, v0
	v_add3_u32 v16, s0, v1, v2
	s_waitcnt lgkmcnt(0)
	v_cmp_gt_i32_e32 vcc, s24, v16
	s_and_saveexec_b64 s[0:1], vcc
	s_cbranch_execz .LBB135_30
; %bb.1:
	s_load_dwordx4 s[0:3], s[4:5], 0x0
	s_load_dwordx2 s[6:7], s[4:5], 0x10
	s_mov_b64 s[8:9], -1
	s_mov_b64 s[16:17], -1
	s_waitcnt lgkmcnt(0)
	s_cmp_eq_u64 s[2:3], 0
	s_cbranch_scc1 .LBB135_3
; %bb.2:
	v_ashrrev_i32_e32 v1, 31, v16
	v_mov_b32_e32 v3, s3
	v_add_co_u32_e32 v2, vcc, s2, v16
	v_addc_co_u32_e32 v3, vcc, v3, v1, vcc
	global_load_ubyte v1, v[2:3], off
	s_waitcnt vmcnt(0)
	v_and_b32_e32 v1, 1, v1
	v_cmp_eq_u32_e32 vcc, 1, v1
	s_xor_b64 s[2:3], vcc, -1
	s_orn2_b64 s[16:17], s[2:3], exec
.LBB135_3:
	v_lshlrev_b32_e32 v2, 4, v16
	v_ashrrev_i32_e32 v3, 31, v2
	v_lshlrev_b64 v[2:3], 1, v[2:3]
	v_mov_b32_e32 v1, s1
	v_add_co_u32_e32 v2, vcc, s0, v2
	v_and_b32_e32 v17, 1, v0
	v_addc_co_u32_e32 v1, vcc, v1, v3, vcc
	v_lshlrev_b32_e32 v0, 4, v17
	v_add_co_u32_e32 v0, vcc, v2, v0
	v_addc_co_u32_e32 v1, vcc, 0, v1, vcc
	global_load_dwordx4 v[0:3], v[0:1], off
	v_mbcnt_lo_u32_b32 v4, -1, 0
	v_mbcnt_hi_u32_b32 v4, -1, v4
	v_and_b32_e32 v6, 0x7e, v4
	v_xor_b32_e32 v5, 1, v4
	v_add_u32_e32 v6, 2, v6
	v_cmp_lt_i32_e32 vcc, v5, v6
	v_cndmask_b32_e32 v4, v4, v5, vcc
	v_lshlrev_b32_e32 v18, 2, v4
	s_mov_b32 s0, 0x3fb8aa3b
	s_mov_b32 s1, 0xc2ce8ed0
	;; [unrolled: 1-line block ×3, first 2 shown]
	v_mov_b32_e32 v10, 0x7f800000
	s_waitcnt vmcnt(0)
	v_lshlrev_b32_e32 v7, 16, v1
	v_and_b32_e32 v4, 0xffff0000, v1
	v_and_b32_e32 v1, 0xffff0000, v0
	v_lshlrev_b32_e32 v0, 16, v0
	v_max_f32_e32 v6, v1, v1
	v_max_f32_e32 v9, v0, v0
	;; [unrolled: 1-line block ×3, first 2 shown]
	v_lshlrev_b32_e32 v5, 16, v2
	v_and_b32_e32 v2, 0xffff0000, v2
	v_max3_f32 v6, v6, v7, v4
	v_and_b32_e32 v8, 0xffff0000, v3
	v_lshlrev_b32_e32 v3, 16, v3
	v_max3_f32 v6, v6, v5, v2
	v_max3_f32 v6, v6, v3, v8
	ds_bpermute_b32 v9, v18, v6
	s_waitcnt lgkmcnt(0)
	v_max_f32_e32 v9, v9, v9
	v_max_f32_e32 v6, v6, v9
	v_pk_add_f32 v[0:1], v[0:1], v[6:7] op_sel_hi:[1,0] neg_lo:[0,1] neg_hi:[0,1]
	v_mul_f32_e32 v9, 0x3fb8aa3b, v1
	v_sub_f32_e32 v7, v7, v6
	v_mul_f32_e32 v11, 0x3fb8aa3b, v0
	v_fma_f32 v15, v1, s0, -v9
	v_rndne_f32_e32 v19, v9
	v_pk_add_f32 v[4:5], v[4:5], v[6:7] op_sel_hi:[1,0] neg_lo:[0,1] neg_hi:[0,1]
	v_mul_f32_e32 v12, 0x3fb8aa3b, v7
	v_fma_f32 v20, v0, s0, -v11
	v_rndne_f32_e32 v21, v11
	v_fmac_f32_e32 v15, 0x32a5705f, v1
	v_sub_f32_e32 v9, v9, v19
	v_mul_f32_e32 v13, 0x3fb8aa3b, v5
	v_fma_f32 v22, v7, s0, -v12
	v_rndne_f32_e32 v23, v12
	v_fmac_f32_e32 v20, 0x32a5705f, v0
	v_sub_f32_e32 v11, v11, v21
	v_add_f32_e32 v9, v9, v15
	v_mul_f32_e32 v14, 0x3fb8aa3b, v4
	v_fma_f32 v24, v5, s0, -v13
	v_rndne_f32_e32 v25, v13
	v_cvt_i32_f32_e32 v19, v19
	v_fmac_f32_e32 v22, 0x32a5705f, v7
	v_sub_f32_e32 v12, v12, v23
	v_add_f32_e32 v11, v11, v20
	v_exp_f32_e32 v9, v9
	v_fma_f32 v26, v4, s0, -v14
	v_rndne_f32_e32 v27, v14
	v_cvt_i32_f32_e32 v21, v21
	v_fmac_f32_e32 v24, 0x32a5705f, v5
	v_sub_f32_e32 v13, v13, v25
	v_add_f32_e32 v12, v12, v22
	v_exp_f32_e32 v11, v11
	v_cvt_i32_f32_e32 v23, v23
	v_fmac_f32_e32 v26, 0x32a5705f, v4
	v_sub_f32_e32 v14, v14, v27
	v_add_f32_e32 v13, v13, v24
	v_exp_f32_e32 v12, v12
	v_cvt_i32_f32_e32 v25, v25
	v_add_f32_e32 v14, v14, v26
	v_exp_f32_e32 v13, v13
	v_cvt_i32_f32_e32 v27, v27
	v_exp_f32_e32 v14, v14
	v_ldexp_f32 v9, v9, v19
	v_cmp_ngt_f32_e32 vcc, s1, v1
	v_ldexp_f32 v11, v11, v21
	v_cndmask_b32_e32 v9, 0, v9, vcc
	v_cmp_ngt_f32_e32 vcc, s1, v0
	v_ldexp_f32 v12, v12, v23
	v_cndmask_b32_e32 v11, 0, v11, vcc
	;; [unrolled: 3-line block ×4, first 2 shown]
	v_cmp_ngt_f32_e32 vcc, s1, v4
	v_cndmask_b32_e32 v14, 0, v14, vcc
	v_cmp_nlt_f32_e32 vcc, s2, v1
	v_cndmask_b32_e32 v9, v10, v9, vcc
	v_cmp_nlt_f32_e32 vcc, s2, v0
	;; [unrolled: 2-line block ×3, first 2 shown]
	v_cndmask_b32_e32 v7, v10, v12, vcc
	v_add_f32_e32 v0, v11, v9
	v_pk_add_f32 v[2:3], v[2:3], v[6:7] op_sel_hi:[1,0] neg_lo:[0,1] neg_hi:[0,1]
	v_cmp_nlt_f32_e32 vcc, s2, v5
	v_add_f32_e32 v5, v0, v7
	v_mul_f32_e32 v0, 0x3fb8aa3b, v3
	v_cndmask_b32_e32 v1, v10, v13, vcc
	v_fma_f32 v12, v3, s0, -v0
	v_rndne_f32_e32 v13, v0
	v_fmac_f32_e32 v12, 0x32a5705f, v3
	v_sub_f32_e32 v0, v0, v13
	v_add_f32_e32 v0, v0, v12
	v_exp_f32_e32 v12, v0
	v_cvt_i32_f32_e32 v13, v13
	v_cmp_nlt_f32_e32 vcc, s2, v4
	v_cndmask_b32_e32 v0, v10, v14, vcc
	v_add_f32_e32 v4, v5, v0
	v_ldexp_f32 v5, v12, v13
	v_mul_f32_e32 v12, 0x3fb8aa3b, v2
	v_fma_f32 v13, v2, s0, -v12
	v_rndne_f32_e32 v14, v12
	v_fmac_f32_e32 v13, 0x32a5705f, v2
	v_sub_f32_e32 v12, v12, v14
	v_add_f32_e32 v12, v12, v13
	v_exp_f32_e32 v12, v12
	v_cvt_i32_f32_e32 v13, v14
	v_cmp_ngt_f32_e32 vcc, s1, v3
	v_sub_f32_e32 v6, v8, v6
	v_cndmask_b32_e32 v5, 0, v5, vcc
	v_cmp_nlt_f32_e32 vcc, s2, v3
	v_mul_f32_e32 v8, 0x3fb8aa3b, v6
	v_cndmask_b32_e32 v3, v10, v5, vcc
	v_ldexp_f32 v5, v12, v13
	v_fma_f32 v12, v6, s0, -v8
	v_rndne_f32_e32 v13, v8
	v_fmac_f32_e32 v12, 0x32a5705f, v6
	v_sub_f32_e32 v8, v8, v13
	v_add_f32_e32 v8, v8, v12
	v_exp_f32_e32 v8, v8
	v_cvt_i32_f32_e32 v12, v13
	v_cmp_ngt_f32_e32 vcc, s1, v2
	v_cndmask_b32_e32 v5, 0, v5, vcc
	v_cmp_nlt_f32_e32 vcc, s2, v2
	v_add_f32_e32 v4, v4, v1
	v_cndmask_b32_e32 v2, v10, v5, vcc
	v_ldexp_f32 v5, v8, v12
	v_cmp_ngt_f32_e32 vcc, s1, v6
	v_add_f32_e32 v4, v4, v2
	v_cndmask_b32_e32 v5, 0, v5, vcc
	v_cmp_nlt_f32_e32 vcc, s2, v6
	v_add_f32_e32 v4, v4, v3
	v_cndmask_b32_e32 v5, v10, v5, vcc
	v_add_f32_e32 v4, v4, v5
	ds_bpermute_b32 v6, v18, v4
	s_movk_i32 s2, 0x1f8
	v_lshlrev_b32_e32 v19, 3, v17
	s_waitcnt lgkmcnt(0)
	v_add_f32_e32 v4, v4, v6
	v_div_scale_f32 v6, s[0:1], v4, v4, 1.0
	v_rcp_f32_e32 v8, v6
	s_load_dwordx2 s[0:1], s[4:5], 0x40
	v_fma_f32 v10, -v6, v8, 1.0
	v_fmac_f32_e32 v8, v10, v8
	v_div_scale_f32 v10, vcc, 1.0, v4, 1.0
	v_mul_f32_e32 v12, v10, v8
	v_fma_f32 v13, -v6, v12, v10
	v_fmac_f32_e32 v12, v13, v8
	v_fma_f32 v6, -v6, v12, v10
	v_div_fmas_f32 v6, v6, v8, v12
	v_div_fixup_f32 v4, v6, v4, 1.0
	v_mul_f32_e32 v10, v4, v11
	v_mul_f32_e32 v11, v4, v9
	v_cmp_class_f32_e64 vcc, v10, s2
	v_mul_f32_e32 v12, v4, v7
	v_pk_mul_f32 v[6:7], v[4:5], v[0:1] op_sel_hi:[0,1]
	v_cndmask_b32_e32 v0, 0, v10, vcc
	v_cmp_class_f32_e64 vcc, v11, s2
	v_pk_mul_f32 v[8:9], v[4:5], v[2:3] op_sel_hi:[0,1]
	v_mul_f32_e32 v13, v4, v5
	v_cndmask_b32_e32 v1, 0, v11, vcc
	v_cmp_class_f32_e64 vcc, v12, s2
	v_mov_b32_e32 v5, 0x207
	v_cndmask_b32_e32 v2, 0, v12, vcc
	v_cmp_class_f32_e32 vcc, v7, v5
	v_cndmask_b32_e64 v4, v7, 0, vcc
	v_cmp_class_f32_e32 vcc, v6, v5
	v_cndmask_b32_e64 v3, v6, 0, vcc
	;; [unrolled: 2-line block ×4, first 2 shown]
	v_cmp_class_f32_e64 vcc, v13, s2
	s_waitcnt lgkmcnt(0)
	s_cmp_eq_u64 s[0:1], 0
	v_cndmask_b32_e32 v7, 0, v13, vcc
	s_cbranch_scc1 .LBB135_19
; %bb.4:
	v_lshlrev_b32_e32 v20, 2, v19
	global_load_dwordx4 v[8:11], v20, s[0:1]
	global_load_dwordx4 v[12:15], v20, s[0:1] offset:16
	s_waitcnt vmcnt(1)
	v_pk_add_f32 v[8:9], v[8:9], v[0:1]
	v_pk_add_f32 v[10:11], v[10:11], v[2:3]
	s_waitcnt vmcnt(0)
	v_pk_add_f32 v[12:13], v[12:13], v[4:5]
	v_pk_add_f32 v[14:15], v[14:15], v[6:7]
	s_cbranch_execnz .LBB135_6
.LBB135_5:
	v_pk_mov_b32 v[14:15], v[6:7], v[6:7] op_sel:[0,1]
	v_pk_mov_b32 v[12:13], v[4:5], v[4:5] op_sel:[0,1]
	;; [unrolled: 1-line block ×4, first 2 shown]
.LBB135_6:
	s_load_dwordx4 s[8:11], s[4:5], 0x30
	s_mov_b32 s25, 0
	v_cmp_eq_u32_e64 s[0:1], 0, v17
	s_waitcnt lgkmcnt(0)
	s_bitcmp1_b32 s11, 0
	s_cselect_b64 vcc, -1, 0
	s_cmp_gt_i32 s8, 0
	s_cselect_b64 s[18:19], -1, 0
	s_cmp_lt_i32 s8, 1
	s_cbranch_scc1 .LBB135_20
; %bb.7:
	s_load_dwordx4 s[12:15], s[4:5], 0x20
	v_mul_lo_u32 v21, v16, s8
	v_mov_b32_e32 v20, 0
	v_mov_b32_e32 v22, 0xc61c4000
	;; [unrolled: 1-line block ×3, first 2 shown]
	s_branch .LBB135_10
.LBB135_8:                              ;   in Loop: Header=BB135_10 Depth=1
	s_or_b64 exec, exec, s[4:5]
.LBB135_9:                              ;   in Loop: Header=BB135_10 Depth=1
	s_cmp_eq_u32 s8, s25
	v_add_u32_e32 v23, s24, v23
	s_cbranch_scc1 .LBB135_21
.LBB135_10:                             ; =>This Inner Loop Header: Depth=1
	v_cmp_gt_f32_e64 s[2:3], v9, v8
	v_cndmask_b32_e64 v24, v8, v9, s[2:3]
	v_cndmask_b32_e64 v25, v0, v1, s[2:3]
	v_cndmask_b32_e64 v26, 0, 1, s[2:3]
	v_cmp_gt_f32_e64 s[2:3], v10, v24
	v_cndmask_b32_e64 v24, v24, v10, s[2:3]
	v_cndmask_b32_e64 v25, v25, v2, s[2:3]
	v_cndmask_b32_e64 v26, v26, 2, s[2:3]
	;; [unrolled: 4-line block ×7, first 2 shown]
	v_or_b32_e32 v24, v19, v24
	ds_bpermute_b32 v29, v18, v28
	ds_bpermute_b32 v27, v18, v25
	;; [unrolled: 1-line block ×3, first 2 shown]
	s_waitcnt lgkmcnt(0)
	v_cmp_lt_f32_e64 s[20:21], v28, v29
	v_cmp_nlt_f32_e64 s[2:3], v28, v29
	s_and_saveexec_b64 s[22:23], s[2:3]
	s_cbranch_execnz .LBB135_14
; %bb.11:                               ;   in Loop: Header=BB135_10 Depth=1
	s_or_b64 exec, exec, s[22:23]
	s_and_saveexec_b64 s[2:3], s[20:21]
	s_cbranch_execnz .LBB135_15
.LBB135_12:                             ;   in Loop: Header=BB135_10 Depth=1
	s_or_b64 exec, exec, s[2:3]
	s_and_saveexec_b64 s[20:21], s[0:1]
	s_cbranch_execnz .LBB135_16
.LBB135_13:                             ;   in Loop: Header=BB135_10 Depth=1
	s_or_b64 exec, exec, s[20:21]
	s_add_i32 s25, s25, 1
	s_cmp_ge_i32 s25, s8
	s_cbranch_scc1 .LBB135_9
	s_branch .LBB135_17
.LBB135_14:                             ;   in Loop: Header=BB135_10 Depth=1
	v_cmp_eq_f32_e64 s[2:3], v28, v29
	v_cmp_lt_i32_e64 s[4:5], v26, v24
	s_and_b64 s[2:3], s[2:3], s[4:5]
	s_andn2_b64 s[4:5], s[20:21], exec
	s_and_b64 s[2:3], s[2:3], exec
	s_or_b64 s[20:21], s[4:5], s[2:3]
	s_or_b64 exec, exec, s[22:23]
	s_and_saveexec_b64 s[2:3], s[20:21]
	s_cbranch_execz .LBB135_12
.LBB135_15:                             ;   in Loop: Header=BB135_10 Depth=1
	v_mov_b32_e32 v25, v27
	v_mov_b32_e32 v24, v26
	s_or_b64 exec, exec, s[2:3]
	s_and_saveexec_b64 s[20:21], s[0:1]
	s_cbranch_execz .LBB135_13
.LBB135_16:                             ;   in Loop: Header=BB135_10 Depth=1
	v_add_u32_e32 v26, s25, v21
	v_ashrrev_i32_e32 v27, 31, v26
	v_cmp_le_i32_e64 s[2:3], s9, v24
	v_cmp_gt_i32_e64 s[4:5], s10, v24
	v_lshlrev_b64 v[26:27], 2, v[26:27]
	s_and_b64 s[4:5], s[2:3], s[4:5]
	v_mov_b32_e32 v29, s7
	v_add_co_u32_e64 v28, s[2:3], s6, v26
	v_addc_co_u32_e64 v29, s[2:3], v29, v27, s[2:3]
	global_store_dword v[28:29], v25, off
	v_subrev_u32_e32 v28, s9, v24
	s_and_b64 s[2:3], s[16:17], s[4:5]
	v_cndmask_b32_e64 v30, 16, v28, s[2:3]
	v_mov_b32_e32 v29, s13
	v_add_co_u32_e64 v28, s[2:3], s12, v26
	v_addc_co_u32_e64 v29, s[2:3], v29, v27, s[2:3]
	global_store_dword v[28:29], v30, off
	v_mov_b32_e32 v28, s15
	v_add_co_u32_e64 v26, s[2:3], s14, v26
	v_add_f32_e32 v25, v20, v25
	v_addc_co_u32_e64 v27, s[2:3], v28, v27, s[2:3]
	v_cndmask_b32_e32 v20, v20, v25, vcc
	global_store_dword v[26:27], v23, off
	s_or_b64 exec, exec, s[20:21]
	s_add_i32 s25, s25, 1
	s_cmp_ge_i32 s25, s8
	s_cbranch_scc1 .LBB135_9
.LBB135_17:                             ;   in Loop: Header=BB135_10 Depth=1
	v_ashrrev_i32_e32 v26, 31, v24
	v_lshrrev_b32_e32 v25, 29, v26
	v_add_u32_e32 v27, v24, v25
	v_ashrrev_i32_e32 v25, 3, v27
	v_lshrrev_b32_e32 v27, 31, v27
	v_add_u32_e32 v27, v25, v27
	v_and_b32_e32 v27, -2, v27
	v_sub_u32_e32 v27, v25, v27
	v_cmp_eq_u32_e64 s[2:3], v17, v27
	s_and_saveexec_b64 s[4:5], s[2:3]
	s_cbranch_execz .LBB135_8
; %bb.18:                               ;   in Loop: Header=BB135_10 Depth=1
	v_lshrrev_b32_e32 v26, 28, v26
	v_add_u32_e32 v26, v24, v26
	v_lshlrev_b32_e32 v25, 3, v25
	v_ashrrev_i32_e32 v26, 4, v26
	v_sub_u32_e32 v24, v24, v25
	v_lshl_add_u32 v24, v26, 3, v24
	v_cmp_ne_u32_e64 s[2:3], 7, v24
	v_cndmask_b32_e64 v15, v22, v15, s[2:3]
	v_cmp_ne_u32_e64 s[2:3], 6, v24
	v_cndmask_b32_e64 v14, v22, v14, s[2:3]
	;; [unrolled: 2-line block ×8, first 2 shown]
	s_branch .LBB135_8
.LBB135_19:
                                        ; implicit-def: $vgpr8_vgpr9_vgpr10_vgpr11_vgpr12_vgpr13_vgpr14_vgpr15
	s_andn2_b64 vcc, exec, s[8:9]
	s_cbranch_vccz .LBB135_5
	s_branch .LBB135_6
.LBB135_20:
	v_mov_b32_e32 v20, 0
.LBB135_21:
	v_cmp_eq_u32_e64 s[0:1], 0, v17
	s_and_b64 s[0:1], s[0:1], vcc
	s_and_b64 exec, exec, s[0:1]
	s_cbranch_execz .LBB135_30
; %bb.22:
	s_andn2_b64 vcc, exec, s[18:19]
	s_cbranch_vccnz .LBB135_30
; %bb.23:
	v_cmp_lt_f32_e32 vcc, 0, v20
	s_mov_b32 s2, 0
	v_cndmask_b32_e32 v0, 1.0, v20, vcc
	v_mul_lo_u32 v4, v16, s8
	s_cmp_eq_u32 s8, 1
	s_mov_b64 s[0:1], -1
	s_cbranch_scc1 .LBB135_27
; %bb.24:
	s_and_b32 s2, s8, 0x7ffffffe
	v_mov_b32_e32 v1, v0
	v_mov_b32_e32 v5, s7
	s_mov_b32 s3, s2
	v_mov_b32_e32 v2, v4
.LBB135_25:                             ; =>This Inner Loop Header: Depth=1
	v_ashrrev_i32_e32 v3, 31, v2
	v_lshlrev_b64 v[6:7], 2, v[2:3]
	v_add_co_u32_e32 v6, vcc, s6, v6
	v_addc_co_u32_e32 v7, vcc, v5, v7, vcc
	global_load_dwordx2 v[8:9], v[6:7], off
	s_add_i32 s3, s3, -2
	s_cmp_lg_u32 s3, 0
	v_add_u32_e32 v2, 2, v2
	s_waitcnt vmcnt(0)
	v_div_scale_f32 v3, s[0:1], v1, v1, v9
	v_div_scale_f32 v11, s[0:1], v0, v0, v8
	v_rcp_f32_e32 v12, v3
	v_rcp_f32_e32 v13, v11
	v_div_scale_f32 v10, vcc, v9, v1, v9
	v_fma_f32 v15, -v3, v12, 1.0
	v_fma_f32 v16, -v11, v13, 1.0
	v_fmac_f32_e32 v12, v15, v12
	v_div_scale_f32 v14, s[0:1], v8, v0, v8
	v_fmac_f32_e32 v13, v16, v13
	v_mul_f32_e32 v15, v10, v12
	v_mul_f32_e32 v16, v14, v13
	v_fma_f32 v17, -v3, v15, v10
	v_fma_f32 v18, -v11, v16, v14
	v_fmac_f32_e32 v15, v17, v12
	v_fmac_f32_e32 v16, v18, v13
	v_fma_f32 v3, -v3, v15, v10
	v_fma_f32 v10, -v11, v16, v14
	v_div_fmas_f32 v3, v3, v12, v15
	s_mov_b64 vcc, s[0:1]
	v_div_fixup_f32 v9, v3, v1, v9
	v_div_fmas_f32 v3, v10, v13, v16
	v_div_fixup_f32 v8, v3, v0, v8
	global_store_dwordx2 v[6:7], v[8:9], off
	s_cbranch_scc1 .LBB135_25
; %bb.26:
	s_cmp_lg_u32 s2, s8
	s_cselect_b64 s[0:1], -1, 0
.LBB135_27:
	s_and_b64 vcc, exec, s[0:1]
	s_cbranch_vccz .LBB135_30
; %bb.28:
	v_ashrrev_i32_e32 v1, 31, v4
	v_add_co_u32_e32 v2, vcc, s2, v4
	v_addc_co_u32_e32 v3, vcc, 0, v1, vcc
	v_lshlrev_b64 v[2:3], 2, v[2:3]
	v_mov_b32_e32 v1, s7
	v_add_co_u32_e32 v2, vcc, s6, v2
	s_sub_i32 s0, s8, s2
	v_addc_co_u32_e32 v3, vcc, v1, v3, vcc
.LBB135_29:                             ; =>This Inner Loop Header: Depth=1
	global_load_dword v1, v[2:3], off
	s_add_i32 s0, s0, -1
	s_cmp_lg_u32 s0, 0
	s_waitcnt vmcnt(0)
	v_div_scale_f32 v4, s[2:3], v0, v0, v1
	v_rcp_f32_e32 v5, v4
	v_div_scale_f32 v6, vcc, v1, v0, v1
	v_fma_f32 v7, -v4, v5, 1.0
	v_fmac_f32_e32 v5, v7, v5
	v_mul_f32_e32 v7, v6, v5
	v_fma_f32 v8, -v4, v7, v6
	v_fmac_f32_e32 v7, v8, v5
	v_fma_f32 v4, -v4, v7, v6
	v_div_fmas_f32 v4, v4, v5, v7
	v_div_fixup_f32 v1, v4, v0, v1
	global_store_dword v[2:3], v1, off
	v_add_co_u32_e32 v2, vcc, 4, v2
	v_addc_co_u32_e32 v3, vcc, 0, v3, vcc
	s_cbranch_scc1 .LBB135_29
.LBB135_30:
	s_endpgm
	.section	.rodata,"a",@progbits
	.p2align	6, 0x0
	.amdhsa_kernel _ZN4vllm3moe10topkGatingILi8ELi16ELi4ELi16ELi64Ei14__hip_bfloat16LNS0_11ScoringFuncE0EEEvPKT5_PKbPfiPT4_PiiiibPKf
		.amdhsa_group_segment_fixed_size 0
		.amdhsa_private_segment_fixed_size 0
		.amdhsa_kernarg_size 72
		.amdhsa_user_sgpr_count 6
		.amdhsa_user_sgpr_private_segment_buffer 1
		.amdhsa_user_sgpr_dispatch_ptr 0
		.amdhsa_user_sgpr_queue_ptr 0
		.amdhsa_user_sgpr_kernarg_segment_ptr 1
		.amdhsa_user_sgpr_dispatch_id 0
		.amdhsa_user_sgpr_flat_scratch_init 0
		.amdhsa_user_sgpr_kernarg_preload_length 0
		.amdhsa_user_sgpr_kernarg_preload_offset 0
		.amdhsa_user_sgpr_private_segment_size 0
		.amdhsa_uses_dynamic_stack 0
		.amdhsa_system_sgpr_private_segment_wavefront_offset 0
		.amdhsa_system_sgpr_workgroup_id_x 1
		.amdhsa_system_sgpr_workgroup_id_y 0
		.amdhsa_system_sgpr_workgroup_id_z 0
		.amdhsa_system_sgpr_workgroup_info 0
		.amdhsa_system_vgpr_workitem_id 1
		.amdhsa_next_free_vgpr 31
		.amdhsa_next_free_sgpr 26
		.amdhsa_accum_offset 32
		.amdhsa_reserve_vcc 1
		.amdhsa_reserve_flat_scratch 0
		.amdhsa_float_round_mode_32 0
		.amdhsa_float_round_mode_16_64 0
		.amdhsa_float_denorm_mode_32 3
		.amdhsa_float_denorm_mode_16_64 3
		.amdhsa_dx10_clamp 1
		.amdhsa_ieee_mode 1
		.amdhsa_fp16_overflow 0
		.amdhsa_tg_split 0
		.amdhsa_exception_fp_ieee_invalid_op 0
		.amdhsa_exception_fp_denorm_src 0
		.amdhsa_exception_fp_ieee_div_zero 0
		.amdhsa_exception_fp_ieee_overflow 0
		.amdhsa_exception_fp_ieee_underflow 0
		.amdhsa_exception_fp_ieee_inexact 0
		.amdhsa_exception_int_div_zero 0
	.end_amdhsa_kernel
	.section	.text._ZN4vllm3moe10topkGatingILi8ELi16ELi4ELi16ELi64Ei14__hip_bfloat16LNS0_11ScoringFuncE0EEEvPKT5_PKbPfiPT4_PiiiibPKf,"axG",@progbits,_ZN4vllm3moe10topkGatingILi8ELi16ELi4ELi16ELi64Ei14__hip_bfloat16LNS0_11ScoringFuncE0EEEvPKT5_PKbPfiPT4_PiiiibPKf,comdat
.Lfunc_end135:
	.size	_ZN4vllm3moe10topkGatingILi8ELi16ELi4ELi16ELi64Ei14__hip_bfloat16LNS0_11ScoringFuncE0EEEvPKT5_PKbPfiPT4_PiiiibPKf, .Lfunc_end135-_ZN4vllm3moe10topkGatingILi8ELi16ELi4ELi16ELi64Ei14__hip_bfloat16LNS0_11ScoringFuncE0EEEvPKT5_PKbPfiPT4_PiiiibPKf
                                        ; -- End function
	.section	.AMDGPU.csdata,"",@progbits
; Kernel info:
; codeLenInByte = 2656
; NumSgprs: 30
; NumVgprs: 31
; NumAgprs: 0
; TotalNumVgprs: 31
; ScratchSize: 0
; MemoryBound: 0
; FloatMode: 240
; IeeeMode: 1
; LDSByteSize: 0 bytes/workgroup (compile time only)
; SGPRBlocks: 3
; VGPRBlocks: 3
; NumSGPRsForWavesPerEU: 30
; NumVGPRsForWavesPerEU: 31
; AccumOffset: 32
; Occupancy: 8
; WaveLimiterHint : 0
; COMPUTE_PGM_RSRC2:SCRATCH_EN: 0
; COMPUTE_PGM_RSRC2:USER_SGPR: 6
; COMPUTE_PGM_RSRC2:TRAP_HANDLER: 0
; COMPUTE_PGM_RSRC2:TGID_X_EN: 1
; COMPUTE_PGM_RSRC2:TGID_Y_EN: 0
; COMPUTE_PGM_RSRC2:TGID_Z_EN: 0
; COMPUTE_PGM_RSRC2:TIDIG_COMP_CNT: 1
; COMPUTE_PGM_RSRC3_GFX90A:ACCUM_OFFSET: 7
; COMPUTE_PGM_RSRC3_GFX90A:TG_SPLIT: 0
	.section	.text._ZN4vllm3moe10topkGatingILi8ELi16ELi4ELi16ELi32Ei14__hip_bfloat16LNS0_11ScoringFuncE0EEEvPKT5_PKbPfiPT4_PiiiibPKf,"axG",@progbits,_ZN4vllm3moe10topkGatingILi8ELi16ELi4ELi16ELi32Ei14__hip_bfloat16LNS0_11ScoringFuncE0EEEvPKT5_PKbPfiPT4_PiiiibPKf,comdat
	.protected	_ZN4vllm3moe10topkGatingILi8ELi16ELi4ELi16ELi32Ei14__hip_bfloat16LNS0_11ScoringFuncE0EEEvPKT5_PKbPfiPT4_PiiiibPKf ; -- Begin function _ZN4vllm3moe10topkGatingILi8ELi16ELi4ELi16ELi32Ei14__hip_bfloat16LNS0_11ScoringFuncE0EEEvPKT5_PKbPfiPT4_PiiiibPKf
	.globl	_ZN4vllm3moe10topkGatingILi8ELi16ELi4ELi16ELi32Ei14__hip_bfloat16LNS0_11ScoringFuncE0EEEvPKT5_PKbPfiPT4_PiiiibPKf
	.p2align	8
	.type	_ZN4vllm3moe10topkGatingILi8ELi16ELi4ELi16ELi32Ei14__hip_bfloat16LNS0_11ScoringFuncE0EEEvPKT5_PKbPfiPT4_PiiiibPKf,@function
_ZN4vllm3moe10topkGatingILi8ELi16ELi4ELi16ELi32Ei14__hip_bfloat16LNS0_11ScoringFuncE0EEEvPKT5_PKbPfiPT4_PiiiibPKf: ; @_ZN4vllm3moe10topkGatingILi8ELi16ELi4ELi16ELi32Ei14__hip_bfloat16LNS0_11ScoringFuncE0EEEvPKT5_PKbPfiPT4_PiiiibPKf
; %bb.0:
	s_load_dword s24, s[4:5], 0x18
	v_bfe_u32 v1, v0, 10, 10
	v_and_b32_e32 v0, 0x3ff, v0
	s_lshl_b32 s0, s6, 6
	v_lshlrev_b32_e32 v1, 4, v1
	v_lshrrev_b32_e32 v2, 1, v0
	v_add3_u32 v16, s0, v1, v2
	s_waitcnt lgkmcnt(0)
	v_cmp_gt_i32_e32 vcc, s24, v16
	s_and_saveexec_b64 s[0:1], vcc
	s_cbranch_execz .LBB136_30
; %bb.1:
	s_load_dwordx4 s[0:3], s[4:5], 0x0
	s_load_dwordx2 s[6:7], s[4:5], 0x10
	s_mov_b64 s[8:9], -1
	s_mov_b64 s[16:17], -1
	s_waitcnt lgkmcnt(0)
	s_cmp_eq_u64 s[2:3], 0
	s_cbranch_scc1 .LBB136_3
; %bb.2:
	v_ashrrev_i32_e32 v1, 31, v16
	v_mov_b32_e32 v3, s3
	v_add_co_u32_e32 v2, vcc, s2, v16
	v_addc_co_u32_e32 v3, vcc, v3, v1, vcc
	global_load_ubyte v1, v[2:3], off
	s_waitcnt vmcnt(0)
	v_and_b32_e32 v1, 1, v1
	v_cmp_eq_u32_e32 vcc, 1, v1
	s_xor_b64 s[2:3], vcc, -1
	s_orn2_b64 s[16:17], s[2:3], exec
.LBB136_3:
	v_lshlrev_b32_e32 v2, 4, v16
	v_ashrrev_i32_e32 v3, 31, v2
	v_lshlrev_b64 v[2:3], 1, v[2:3]
	v_mov_b32_e32 v1, s1
	v_add_co_u32_e32 v2, vcc, s0, v2
	v_and_b32_e32 v17, 1, v0
	v_addc_co_u32_e32 v1, vcc, v1, v3, vcc
	v_lshlrev_b32_e32 v0, 4, v17
	v_add_co_u32_e32 v0, vcc, v2, v0
	v_addc_co_u32_e32 v1, vcc, 0, v1, vcc
	global_load_dwordx4 v[0:3], v[0:1], off
	v_mbcnt_lo_u32_b32 v4, -1, 0
	v_mbcnt_hi_u32_b32 v4, -1, v4
	v_and_b32_e32 v6, 0x7e, v4
	v_xor_b32_e32 v5, 1, v4
	v_add_u32_e32 v6, 2, v6
	v_cmp_lt_i32_e32 vcc, v5, v6
	v_cndmask_b32_e32 v4, v4, v5, vcc
	v_lshlrev_b32_e32 v18, 2, v4
	s_mov_b32 s0, 0x3fb8aa3b
	s_mov_b32 s1, 0xc2ce8ed0
	;; [unrolled: 1-line block ×3, first 2 shown]
	v_mov_b32_e32 v10, 0x7f800000
	s_waitcnt vmcnt(0)
	v_lshlrev_b32_e32 v7, 16, v1
	v_and_b32_e32 v4, 0xffff0000, v1
	v_and_b32_e32 v1, 0xffff0000, v0
	v_lshlrev_b32_e32 v0, 16, v0
	v_max_f32_e32 v6, v1, v1
	v_max_f32_e32 v9, v0, v0
	;; [unrolled: 1-line block ×3, first 2 shown]
	v_lshlrev_b32_e32 v5, 16, v2
	v_and_b32_e32 v2, 0xffff0000, v2
	v_max3_f32 v6, v6, v7, v4
	v_and_b32_e32 v8, 0xffff0000, v3
	v_lshlrev_b32_e32 v3, 16, v3
	v_max3_f32 v6, v6, v5, v2
	v_max3_f32 v6, v6, v3, v8
	ds_bpermute_b32 v9, v18, v6
	s_waitcnt lgkmcnt(0)
	v_max_f32_e32 v9, v9, v9
	v_max_f32_e32 v6, v6, v9
	v_pk_add_f32 v[0:1], v[0:1], v[6:7] op_sel_hi:[1,0] neg_lo:[0,1] neg_hi:[0,1]
	v_mul_f32_e32 v9, 0x3fb8aa3b, v1
	v_sub_f32_e32 v7, v7, v6
	v_mul_f32_e32 v11, 0x3fb8aa3b, v0
	v_fma_f32 v15, v1, s0, -v9
	v_rndne_f32_e32 v19, v9
	v_pk_add_f32 v[4:5], v[4:5], v[6:7] op_sel_hi:[1,0] neg_lo:[0,1] neg_hi:[0,1]
	v_mul_f32_e32 v12, 0x3fb8aa3b, v7
	v_fma_f32 v20, v0, s0, -v11
	v_rndne_f32_e32 v21, v11
	v_fmac_f32_e32 v15, 0x32a5705f, v1
	v_sub_f32_e32 v9, v9, v19
	v_mul_f32_e32 v13, 0x3fb8aa3b, v5
	v_fma_f32 v22, v7, s0, -v12
	v_rndne_f32_e32 v23, v12
	v_fmac_f32_e32 v20, 0x32a5705f, v0
	v_sub_f32_e32 v11, v11, v21
	v_add_f32_e32 v9, v9, v15
	v_mul_f32_e32 v14, 0x3fb8aa3b, v4
	v_fma_f32 v24, v5, s0, -v13
	v_rndne_f32_e32 v25, v13
	v_cvt_i32_f32_e32 v19, v19
	v_fmac_f32_e32 v22, 0x32a5705f, v7
	v_sub_f32_e32 v12, v12, v23
	v_add_f32_e32 v11, v11, v20
	v_exp_f32_e32 v9, v9
	v_fma_f32 v26, v4, s0, -v14
	v_rndne_f32_e32 v27, v14
	v_cvt_i32_f32_e32 v21, v21
	v_fmac_f32_e32 v24, 0x32a5705f, v5
	v_sub_f32_e32 v13, v13, v25
	v_add_f32_e32 v12, v12, v22
	v_exp_f32_e32 v11, v11
	v_cvt_i32_f32_e32 v23, v23
	v_fmac_f32_e32 v26, 0x32a5705f, v4
	v_sub_f32_e32 v14, v14, v27
	v_add_f32_e32 v13, v13, v24
	v_exp_f32_e32 v12, v12
	v_cvt_i32_f32_e32 v25, v25
	v_add_f32_e32 v14, v14, v26
	v_exp_f32_e32 v13, v13
	v_cvt_i32_f32_e32 v27, v27
	v_exp_f32_e32 v14, v14
	v_ldexp_f32 v9, v9, v19
	v_cmp_ngt_f32_e32 vcc, s1, v1
	v_ldexp_f32 v11, v11, v21
	v_cndmask_b32_e32 v9, 0, v9, vcc
	v_cmp_ngt_f32_e32 vcc, s1, v0
	v_ldexp_f32 v12, v12, v23
	v_cndmask_b32_e32 v11, 0, v11, vcc
	v_cmp_ngt_f32_e32 vcc, s1, v7
	v_ldexp_f32 v13, v13, v25
	v_cndmask_b32_e32 v12, 0, v12, vcc
	v_cmp_ngt_f32_e32 vcc, s1, v5
	v_ldexp_f32 v14, v14, v27
	v_cndmask_b32_e32 v13, 0, v13, vcc
	v_cmp_ngt_f32_e32 vcc, s1, v4
	v_cndmask_b32_e32 v14, 0, v14, vcc
	v_cmp_nlt_f32_e32 vcc, s2, v1
	v_cndmask_b32_e32 v9, v10, v9, vcc
	v_cmp_nlt_f32_e32 vcc, s2, v0
	;; [unrolled: 2-line block ×3, first 2 shown]
	v_cndmask_b32_e32 v7, v10, v12, vcc
	v_add_f32_e32 v0, v11, v9
	v_pk_add_f32 v[2:3], v[2:3], v[6:7] op_sel_hi:[1,0] neg_lo:[0,1] neg_hi:[0,1]
	v_cmp_nlt_f32_e32 vcc, s2, v5
	v_add_f32_e32 v5, v0, v7
	v_mul_f32_e32 v0, 0x3fb8aa3b, v3
	v_cndmask_b32_e32 v1, v10, v13, vcc
	v_fma_f32 v12, v3, s0, -v0
	v_rndne_f32_e32 v13, v0
	v_fmac_f32_e32 v12, 0x32a5705f, v3
	v_sub_f32_e32 v0, v0, v13
	v_add_f32_e32 v0, v0, v12
	v_exp_f32_e32 v12, v0
	v_cvt_i32_f32_e32 v13, v13
	v_cmp_nlt_f32_e32 vcc, s2, v4
	v_cndmask_b32_e32 v0, v10, v14, vcc
	v_add_f32_e32 v4, v5, v0
	v_ldexp_f32 v5, v12, v13
	v_mul_f32_e32 v12, 0x3fb8aa3b, v2
	v_fma_f32 v13, v2, s0, -v12
	v_rndne_f32_e32 v14, v12
	v_fmac_f32_e32 v13, 0x32a5705f, v2
	v_sub_f32_e32 v12, v12, v14
	v_add_f32_e32 v12, v12, v13
	v_exp_f32_e32 v12, v12
	v_cvt_i32_f32_e32 v13, v14
	v_cmp_ngt_f32_e32 vcc, s1, v3
	v_sub_f32_e32 v6, v8, v6
	v_cndmask_b32_e32 v5, 0, v5, vcc
	v_cmp_nlt_f32_e32 vcc, s2, v3
	v_mul_f32_e32 v8, 0x3fb8aa3b, v6
	v_cndmask_b32_e32 v3, v10, v5, vcc
	v_ldexp_f32 v5, v12, v13
	v_fma_f32 v12, v6, s0, -v8
	v_rndne_f32_e32 v13, v8
	v_fmac_f32_e32 v12, 0x32a5705f, v6
	v_sub_f32_e32 v8, v8, v13
	v_add_f32_e32 v8, v8, v12
	v_exp_f32_e32 v8, v8
	v_cvt_i32_f32_e32 v12, v13
	v_cmp_ngt_f32_e32 vcc, s1, v2
	v_cndmask_b32_e32 v5, 0, v5, vcc
	v_cmp_nlt_f32_e32 vcc, s2, v2
	v_add_f32_e32 v4, v4, v1
	v_cndmask_b32_e32 v2, v10, v5, vcc
	v_ldexp_f32 v5, v8, v12
	v_cmp_ngt_f32_e32 vcc, s1, v6
	v_add_f32_e32 v4, v4, v2
	v_cndmask_b32_e32 v5, 0, v5, vcc
	v_cmp_nlt_f32_e32 vcc, s2, v6
	v_add_f32_e32 v4, v4, v3
	v_cndmask_b32_e32 v5, v10, v5, vcc
	v_add_f32_e32 v4, v4, v5
	ds_bpermute_b32 v6, v18, v4
	s_movk_i32 s2, 0x1f8
	v_lshlrev_b32_e32 v19, 3, v17
	s_waitcnt lgkmcnt(0)
	v_add_f32_e32 v4, v4, v6
	v_div_scale_f32 v6, s[0:1], v4, v4, 1.0
	v_rcp_f32_e32 v8, v6
	s_load_dwordx2 s[0:1], s[4:5], 0x40
	v_fma_f32 v10, -v6, v8, 1.0
	v_fmac_f32_e32 v8, v10, v8
	v_div_scale_f32 v10, vcc, 1.0, v4, 1.0
	v_mul_f32_e32 v12, v10, v8
	v_fma_f32 v13, -v6, v12, v10
	v_fmac_f32_e32 v12, v13, v8
	v_fma_f32 v6, -v6, v12, v10
	v_div_fmas_f32 v6, v6, v8, v12
	v_div_fixup_f32 v4, v6, v4, 1.0
	v_mul_f32_e32 v10, v4, v11
	v_mul_f32_e32 v11, v4, v9
	v_cmp_class_f32_e64 vcc, v10, s2
	v_mul_f32_e32 v12, v4, v7
	v_pk_mul_f32 v[6:7], v[4:5], v[0:1] op_sel_hi:[0,1]
	v_cndmask_b32_e32 v0, 0, v10, vcc
	v_cmp_class_f32_e64 vcc, v11, s2
	v_pk_mul_f32 v[8:9], v[4:5], v[2:3] op_sel_hi:[0,1]
	v_mul_f32_e32 v13, v4, v5
	v_cndmask_b32_e32 v1, 0, v11, vcc
	v_cmp_class_f32_e64 vcc, v12, s2
	v_mov_b32_e32 v5, 0x207
	v_cndmask_b32_e32 v2, 0, v12, vcc
	v_cmp_class_f32_e32 vcc, v7, v5
	v_cndmask_b32_e64 v4, v7, 0, vcc
	v_cmp_class_f32_e32 vcc, v6, v5
	v_cndmask_b32_e64 v3, v6, 0, vcc
	;; [unrolled: 2-line block ×4, first 2 shown]
	v_cmp_class_f32_e64 vcc, v13, s2
	s_waitcnt lgkmcnt(0)
	s_cmp_eq_u64 s[0:1], 0
	v_cndmask_b32_e32 v7, 0, v13, vcc
	s_cbranch_scc1 .LBB136_19
; %bb.4:
	v_lshlrev_b32_e32 v20, 2, v19
	global_load_dwordx4 v[8:11], v20, s[0:1]
	global_load_dwordx4 v[12:15], v20, s[0:1] offset:16
	s_waitcnt vmcnt(1)
	v_pk_add_f32 v[8:9], v[8:9], v[0:1]
	v_pk_add_f32 v[10:11], v[10:11], v[2:3]
	s_waitcnt vmcnt(0)
	v_pk_add_f32 v[12:13], v[12:13], v[4:5]
	v_pk_add_f32 v[14:15], v[14:15], v[6:7]
	s_cbranch_execnz .LBB136_6
.LBB136_5:
	v_pk_mov_b32 v[14:15], v[6:7], v[6:7] op_sel:[0,1]
	v_pk_mov_b32 v[12:13], v[4:5], v[4:5] op_sel:[0,1]
	;; [unrolled: 1-line block ×4, first 2 shown]
.LBB136_6:
	s_load_dwordx4 s[8:11], s[4:5], 0x30
	s_mov_b32 s25, 0
	v_cmp_eq_u32_e64 s[0:1], 0, v17
	s_waitcnt lgkmcnt(0)
	s_bitcmp1_b32 s11, 0
	s_cselect_b64 vcc, -1, 0
	s_cmp_gt_i32 s8, 0
	s_cselect_b64 s[18:19], -1, 0
	s_cmp_lt_i32 s8, 1
	s_cbranch_scc1 .LBB136_20
; %bb.7:
	s_load_dwordx4 s[12:15], s[4:5], 0x20
	v_mul_lo_u32 v21, v16, s8
	v_mov_b32_e32 v20, 0
	v_mov_b32_e32 v22, 0xc61c4000
	;; [unrolled: 1-line block ×3, first 2 shown]
	s_branch .LBB136_10
.LBB136_8:                              ;   in Loop: Header=BB136_10 Depth=1
	s_or_b64 exec, exec, s[4:5]
.LBB136_9:                              ;   in Loop: Header=BB136_10 Depth=1
	s_cmp_eq_u32 s8, s25
	v_add_u32_e32 v23, s24, v23
	s_cbranch_scc1 .LBB136_21
.LBB136_10:                             ; =>This Inner Loop Header: Depth=1
	v_cmp_gt_f32_e64 s[2:3], v9, v8
	v_cndmask_b32_e64 v24, v8, v9, s[2:3]
	v_cndmask_b32_e64 v25, v0, v1, s[2:3]
	v_cndmask_b32_e64 v26, 0, 1, s[2:3]
	v_cmp_gt_f32_e64 s[2:3], v10, v24
	v_cndmask_b32_e64 v24, v24, v10, s[2:3]
	v_cndmask_b32_e64 v25, v25, v2, s[2:3]
	v_cndmask_b32_e64 v26, v26, 2, s[2:3]
	;; [unrolled: 4-line block ×7, first 2 shown]
	v_or_b32_e32 v24, v19, v24
	ds_bpermute_b32 v29, v18, v28
	ds_bpermute_b32 v27, v18, v25
	;; [unrolled: 1-line block ×3, first 2 shown]
	s_waitcnt lgkmcnt(0)
	v_cmp_lt_f32_e64 s[20:21], v28, v29
	v_cmp_nlt_f32_e64 s[2:3], v28, v29
	s_and_saveexec_b64 s[22:23], s[2:3]
	s_cbranch_execnz .LBB136_14
; %bb.11:                               ;   in Loop: Header=BB136_10 Depth=1
	s_or_b64 exec, exec, s[22:23]
	s_and_saveexec_b64 s[2:3], s[20:21]
	s_cbranch_execnz .LBB136_15
.LBB136_12:                             ;   in Loop: Header=BB136_10 Depth=1
	s_or_b64 exec, exec, s[2:3]
	s_and_saveexec_b64 s[20:21], s[0:1]
	s_cbranch_execnz .LBB136_16
.LBB136_13:                             ;   in Loop: Header=BB136_10 Depth=1
	s_or_b64 exec, exec, s[20:21]
	s_add_i32 s25, s25, 1
	s_cmp_ge_i32 s25, s8
	s_cbranch_scc1 .LBB136_9
	s_branch .LBB136_17
.LBB136_14:                             ;   in Loop: Header=BB136_10 Depth=1
	v_cmp_eq_f32_e64 s[2:3], v28, v29
	v_cmp_lt_i32_e64 s[4:5], v26, v24
	s_and_b64 s[2:3], s[2:3], s[4:5]
	s_andn2_b64 s[4:5], s[20:21], exec
	s_and_b64 s[2:3], s[2:3], exec
	s_or_b64 s[20:21], s[4:5], s[2:3]
	s_or_b64 exec, exec, s[22:23]
	s_and_saveexec_b64 s[2:3], s[20:21]
	s_cbranch_execz .LBB136_12
.LBB136_15:                             ;   in Loop: Header=BB136_10 Depth=1
	v_mov_b32_e32 v25, v27
	v_mov_b32_e32 v24, v26
	s_or_b64 exec, exec, s[2:3]
	s_and_saveexec_b64 s[20:21], s[0:1]
	s_cbranch_execz .LBB136_13
.LBB136_16:                             ;   in Loop: Header=BB136_10 Depth=1
	v_add_u32_e32 v26, s25, v21
	v_ashrrev_i32_e32 v27, 31, v26
	v_cmp_le_i32_e64 s[2:3], s9, v24
	v_cmp_gt_i32_e64 s[4:5], s10, v24
	v_lshlrev_b64 v[26:27], 2, v[26:27]
	s_and_b64 s[4:5], s[2:3], s[4:5]
	v_mov_b32_e32 v29, s7
	v_add_co_u32_e64 v28, s[2:3], s6, v26
	v_addc_co_u32_e64 v29, s[2:3], v29, v27, s[2:3]
	global_store_dword v[28:29], v25, off
	v_subrev_u32_e32 v28, s9, v24
	s_and_b64 s[2:3], s[16:17], s[4:5]
	v_cndmask_b32_e64 v30, 16, v28, s[2:3]
	v_mov_b32_e32 v29, s13
	v_add_co_u32_e64 v28, s[2:3], s12, v26
	v_addc_co_u32_e64 v29, s[2:3], v29, v27, s[2:3]
	global_store_dword v[28:29], v30, off
	v_mov_b32_e32 v28, s15
	v_add_co_u32_e64 v26, s[2:3], s14, v26
	v_add_f32_e32 v25, v20, v25
	v_addc_co_u32_e64 v27, s[2:3], v28, v27, s[2:3]
	v_cndmask_b32_e32 v20, v20, v25, vcc
	global_store_dword v[26:27], v23, off
	s_or_b64 exec, exec, s[20:21]
	s_add_i32 s25, s25, 1
	s_cmp_ge_i32 s25, s8
	s_cbranch_scc1 .LBB136_9
.LBB136_17:                             ;   in Loop: Header=BB136_10 Depth=1
	v_ashrrev_i32_e32 v26, 31, v24
	v_lshrrev_b32_e32 v25, 29, v26
	v_add_u32_e32 v27, v24, v25
	v_ashrrev_i32_e32 v25, 3, v27
	v_lshrrev_b32_e32 v27, 31, v27
	v_add_u32_e32 v27, v25, v27
	v_and_b32_e32 v27, -2, v27
	v_sub_u32_e32 v27, v25, v27
	v_cmp_eq_u32_e64 s[2:3], v17, v27
	s_and_saveexec_b64 s[4:5], s[2:3]
	s_cbranch_execz .LBB136_8
; %bb.18:                               ;   in Loop: Header=BB136_10 Depth=1
	v_lshrrev_b32_e32 v26, 28, v26
	v_add_u32_e32 v26, v24, v26
	v_lshlrev_b32_e32 v25, 3, v25
	v_ashrrev_i32_e32 v26, 4, v26
	v_sub_u32_e32 v24, v24, v25
	v_lshl_add_u32 v24, v26, 3, v24
	v_cmp_ne_u32_e64 s[2:3], 7, v24
	v_cndmask_b32_e64 v15, v22, v15, s[2:3]
	v_cmp_ne_u32_e64 s[2:3], 6, v24
	v_cndmask_b32_e64 v14, v22, v14, s[2:3]
	;; [unrolled: 2-line block ×8, first 2 shown]
	s_branch .LBB136_8
.LBB136_19:
                                        ; implicit-def: $vgpr8_vgpr9_vgpr10_vgpr11_vgpr12_vgpr13_vgpr14_vgpr15
	s_andn2_b64 vcc, exec, s[8:9]
	s_cbranch_vccz .LBB136_5
	s_branch .LBB136_6
.LBB136_20:
	v_mov_b32_e32 v20, 0
.LBB136_21:
	v_cmp_eq_u32_e64 s[0:1], 0, v17
	s_and_b64 s[0:1], s[0:1], vcc
	s_and_b64 exec, exec, s[0:1]
	s_cbranch_execz .LBB136_30
; %bb.22:
	s_andn2_b64 vcc, exec, s[18:19]
	s_cbranch_vccnz .LBB136_30
; %bb.23:
	v_cmp_lt_f32_e32 vcc, 0, v20
	s_mov_b32 s2, 0
	v_cndmask_b32_e32 v0, 1.0, v20, vcc
	v_mul_lo_u32 v4, v16, s8
	s_cmp_eq_u32 s8, 1
	s_mov_b64 s[0:1], -1
	s_cbranch_scc1 .LBB136_27
; %bb.24:
	s_and_b32 s2, s8, 0x7ffffffe
	v_mov_b32_e32 v1, v0
	v_mov_b32_e32 v5, s7
	s_mov_b32 s3, s2
	v_mov_b32_e32 v2, v4
.LBB136_25:                             ; =>This Inner Loop Header: Depth=1
	v_ashrrev_i32_e32 v3, 31, v2
	v_lshlrev_b64 v[6:7], 2, v[2:3]
	v_add_co_u32_e32 v6, vcc, s6, v6
	v_addc_co_u32_e32 v7, vcc, v5, v7, vcc
	global_load_dwordx2 v[8:9], v[6:7], off
	s_add_i32 s3, s3, -2
	s_cmp_lg_u32 s3, 0
	v_add_u32_e32 v2, 2, v2
	s_waitcnt vmcnt(0)
	v_div_scale_f32 v3, s[0:1], v1, v1, v9
	v_div_scale_f32 v11, s[0:1], v0, v0, v8
	v_rcp_f32_e32 v12, v3
	v_rcp_f32_e32 v13, v11
	v_div_scale_f32 v10, vcc, v9, v1, v9
	v_fma_f32 v15, -v3, v12, 1.0
	v_fma_f32 v16, -v11, v13, 1.0
	v_fmac_f32_e32 v12, v15, v12
	v_div_scale_f32 v14, s[0:1], v8, v0, v8
	v_fmac_f32_e32 v13, v16, v13
	v_mul_f32_e32 v15, v10, v12
	v_mul_f32_e32 v16, v14, v13
	v_fma_f32 v17, -v3, v15, v10
	v_fma_f32 v18, -v11, v16, v14
	v_fmac_f32_e32 v15, v17, v12
	v_fmac_f32_e32 v16, v18, v13
	v_fma_f32 v3, -v3, v15, v10
	v_fma_f32 v10, -v11, v16, v14
	v_div_fmas_f32 v3, v3, v12, v15
	s_mov_b64 vcc, s[0:1]
	v_div_fixup_f32 v9, v3, v1, v9
	v_div_fmas_f32 v3, v10, v13, v16
	v_div_fixup_f32 v8, v3, v0, v8
	global_store_dwordx2 v[6:7], v[8:9], off
	s_cbranch_scc1 .LBB136_25
; %bb.26:
	s_cmp_lg_u32 s2, s8
	s_cselect_b64 s[0:1], -1, 0
.LBB136_27:
	s_and_b64 vcc, exec, s[0:1]
	s_cbranch_vccz .LBB136_30
; %bb.28:
	v_ashrrev_i32_e32 v1, 31, v4
	v_add_co_u32_e32 v2, vcc, s2, v4
	v_addc_co_u32_e32 v3, vcc, 0, v1, vcc
	v_lshlrev_b64 v[2:3], 2, v[2:3]
	v_mov_b32_e32 v1, s7
	v_add_co_u32_e32 v2, vcc, s6, v2
	s_sub_i32 s0, s8, s2
	v_addc_co_u32_e32 v3, vcc, v1, v3, vcc
.LBB136_29:                             ; =>This Inner Loop Header: Depth=1
	global_load_dword v1, v[2:3], off
	s_add_i32 s0, s0, -1
	s_cmp_lg_u32 s0, 0
	s_waitcnt vmcnt(0)
	v_div_scale_f32 v4, s[2:3], v0, v0, v1
	v_rcp_f32_e32 v5, v4
	v_div_scale_f32 v6, vcc, v1, v0, v1
	v_fma_f32 v7, -v4, v5, 1.0
	v_fmac_f32_e32 v5, v7, v5
	v_mul_f32_e32 v7, v6, v5
	v_fma_f32 v8, -v4, v7, v6
	v_fmac_f32_e32 v7, v8, v5
	v_fma_f32 v4, -v4, v7, v6
	v_div_fmas_f32 v4, v4, v5, v7
	v_div_fixup_f32 v1, v4, v0, v1
	global_store_dword v[2:3], v1, off
	v_add_co_u32_e32 v2, vcc, 4, v2
	v_addc_co_u32_e32 v3, vcc, 0, v3, vcc
	s_cbranch_scc1 .LBB136_29
.LBB136_30:
	s_endpgm
	.section	.rodata,"a",@progbits
	.p2align	6, 0x0
	.amdhsa_kernel _ZN4vllm3moe10topkGatingILi8ELi16ELi4ELi16ELi32Ei14__hip_bfloat16LNS0_11ScoringFuncE0EEEvPKT5_PKbPfiPT4_PiiiibPKf
		.amdhsa_group_segment_fixed_size 0
		.amdhsa_private_segment_fixed_size 0
		.amdhsa_kernarg_size 72
		.amdhsa_user_sgpr_count 6
		.amdhsa_user_sgpr_private_segment_buffer 1
		.amdhsa_user_sgpr_dispatch_ptr 0
		.amdhsa_user_sgpr_queue_ptr 0
		.amdhsa_user_sgpr_kernarg_segment_ptr 1
		.amdhsa_user_sgpr_dispatch_id 0
		.amdhsa_user_sgpr_flat_scratch_init 0
		.amdhsa_user_sgpr_kernarg_preload_length 0
		.amdhsa_user_sgpr_kernarg_preload_offset 0
		.amdhsa_user_sgpr_private_segment_size 0
		.amdhsa_uses_dynamic_stack 0
		.amdhsa_system_sgpr_private_segment_wavefront_offset 0
		.amdhsa_system_sgpr_workgroup_id_x 1
		.amdhsa_system_sgpr_workgroup_id_y 0
		.amdhsa_system_sgpr_workgroup_id_z 0
		.amdhsa_system_sgpr_workgroup_info 0
		.amdhsa_system_vgpr_workitem_id 1
		.amdhsa_next_free_vgpr 31
		.amdhsa_next_free_sgpr 26
		.amdhsa_accum_offset 32
		.amdhsa_reserve_vcc 1
		.amdhsa_reserve_flat_scratch 0
		.amdhsa_float_round_mode_32 0
		.amdhsa_float_round_mode_16_64 0
		.amdhsa_float_denorm_mode_32 3
		.amdhsa_float_denorm_mode_16_64 3
		.amdhsa_dx10_clamp 1
		.amdhsa_ieee_mode 1
		.amdhsa_fp16_overflow 0
		.amdhsa_tg_split 0
		.amdhsa_exception_fp_ieee_invalid_op 0
		.amdhsa_exception_fp_denorm_src 0
		.amdhsa_exception_fp_ieee_div_zero 0
		.amdhsa_exception_fp_ieee_overflow 0
		.amdhsa_exception_fp_ieee_underflow 0
		.amdhsa_exception_fp_ieee_inexact 0
		.amdhsa_exception_int_div_zero 0
	.end_amdhsa_kernel
	.section	.text._ZN4vllm3moe10topkGatingILi8ELi16ELi4ELi16ELi32Ei14__hip_bfloat16LNS0_11ScoringFuncE0EEEvPKT5_PKbPfiPT4_PiiiibPKf,"axG",@progbits,_ZN4vllm3moe10topkGatingILi8ELi16ELi4ELi16ELi32Ei14__hip_bfloat16LNS0_11ScoringFuncE0EEEvPKT5_PKbPfiPT4_PiiiibPKf,comdat
.Lfunc_end136:
	.size	_ZN4vllm3moe10topkGatingILi8ELi16ELi4ELi16ELi32Ei14__hip_bfloat16LNS0_11ScoringFuncE0EEEvPKT5_PKbPfiPT4_PiiiibPKf, .Lfunc_end136-_ZN4vllm3moe10topkGatingILi8ELi16ELi4ELi16ELi32Ei14__hip_bfloat16LNS0_11ScoringFuncE0EEEvPKT5_PKbPfiPT4_PiiiibPKf
                                        ; -- End function
	.section	.AMDGPU.csdata,"",@progbits
; Kernel info:
; codeLenInByte = 2656
; NumSgprs: 30
; NumVgprs: 31
; NumAgprs: 0
; TotalNumVgprs: 31
; ScratchSize: 0
; MemoryBound: 0
; FloatMode: 240
; IeeeMode: 1
; LDSByteSize: 0 bytes/workgroup (compile time only)
; SGPRBlocks: 3
; VGPRBlocks: 3
; NumSGPRsForWavesPerEU: 30
; NumVGPRsForWavesPerEU: 31
; AccumOffset: 32
; Occupancy: 8
; WaveLimiterHint : 0
; COMPUTE_PGM_RSRC2:SCRATCH_EN: 0
; COMPUTE_PGM_RSRC2:USER_SGPR: 6
; COMPUTE_PGM_RSRC2:TRAP_HANDLER: 0
; COMPUTE_PGM_RSRC2:TGID_X_EN: 1
; COMPUTE_PGM_RSRC2:TGID_Y_EN: 0
; COMPUTE_PGM_RSRC2:TGID_Z_EN: 0
; COMPUTE_PGM_RSRC2:TIDIG_COMP_CNT: 1
; COMPUTE_PGM_RSRC3_GFX90A:ACCUM_OFFSET: 7
; COMPUTE_PGM_RSRC3_GFX90A:TG_SPLIT: 0
	.section	.text._ZN4vllm3moe10topkGatingILi8ELi32ELi4ELi16ELi64Ei14__hip_bfloat16LNS0_11ScoringFuncE0EEEvPKT5_PKbPfiPT4_PiiiibPKf,"axG",@progbits,_ZN4vllm3moe10topkGatingILi8ELi32ELi4ELi16ELi64Ei14__hip_bfloat16LNS0_11ScoringFuncE0EEEvPKT5_PKbPfiPT4_PiiiibPKf,comdat
	.protected	_ZN4vllm3moe10topkGatingILi8ELi32ELi4ELi16ELi64Ei14__hip_bfloat16LNS0_11ScoringFuncE0EEEvPKT5_PKbPfiPT4_PiiiibPKf ; -- Begin function _ZN4vllm3moe10topkGatingILi8ELi32ELi4ELi16ELi64Ei14__hip_bfloat16LNS0_11ScoringFuncE0EEEvPKT5_PKbPfiPT4_PiiiibPKf
	.globl	_ZN4vllm3moe10topkGatingILi8ELi32ELi4ELi16ELi64Ei14__hip_bfloat16LNS0_11ScoringFuncE0EEEvPKT5_PKbPfiPT4_PiiiibPKf
	.p2align	8
	.type	_ZN4vllm3moe10topkGatingILi8ELi32ELi4ELi16ELi64Ei14__hip_bfloat16LNS0_11ScoringFuncE0EEEvPKT5_PKbPfiPT4_PiiiibPKf,@function
_ZN4vllm3moe10topkGatingILi8ELi32ELi4ELi16ELi64Ei14__hip_bfloat16LNS0_11ScoringFuncE0EEEvPKT5_PKbPfiPT4_PiiiibPKf: ; @_ZN4vllm3moe10topkGatingILi8ELi32ELi4ELi16ELi64Ei14__hip_bfloat16LNS0_11ScoringFuncE0EEEvPKT5_PKbPfiPT4_PiiiibPKf
; %bb.0:
	s_load_dword s22, s[4:5], 0x18
	v_bfe_u32 v1, v0, 10, 10
	v_and_b32_e32 v0, 0x3ff, v0
	s_lshl_b32 s0, s6, 6
	v_lshlrev_b32_e32 v1, 4, v1
	v_lshrrev_b32_e32 v2, 2, v0
	v_add3_u32 v16, s0, v1, v2
	s_waitcnt lgkmcnt(0)
	v_cmp_gt_i32_e32 vcc, s22, v16
	s_and_saveexec_b64 s[0:1], vcc
	s_cbranch_execz .LBB137_26
; %bb.1:
	s_load_dwordx4 s[0:3], s[4:5], 0x0
	s_load_dwordx2 s[16:17], s[4:5], 0x10
	s_mov_b64 s[6:7], -1
	s_mov_b64 s[18:19], -1
	s_waitcnt lgkmcnt(0)
	s_cmp_eq_u64 s[2:3], 0
	s_cbranch_scc1 .LBB137_3
; %bb.2:
	v_ashrrev_i32_e32 v1, 31, v16
	v_mov_b32_e32 v3, s3
	v_add_co_u32_e32 v2, vcc, s2, v16
	v_addc_co_u32_e32 v3, vcc, v3, v1, vcc
	global_load_ubyte v1, v[2:3], off
	s_waitcnt vmcnt(0)
	v_and_b32_e32 v1, 1, v1
	v_cmp_eq_u32_e32 vcc, 1, v1
	s_xor_b64 s[2:3], vcc, -1
	s_orn2_b64 s[18:19], s[2:3], exec
.LBB137_3:
	v_lshlrev_b32_e32 v2, 5, v16
	v_ashrrev_i32_e32 v3, 31, v2
	v_lshlrev_b64 v[2:3], 1, v[2:3]
	v_mov_b32_e32 v1, s1
	v_add_co_u32_e32 v2, vcc, s0, v2
	v_and_b32_e32 v17, 3, v0
	v_addc_co_u32_e32 v1, vcc, v1, v3, vcc
	v_lshlrev_b32_e32 v0, 4, v17
	v_add_co_u32_e32 v0, vcc, v2, v0
	v_addc_co_u32_e32 v1, vcc, 0, v1, vcc
	global_load_dwordx4 v[0:3], v[0:1], off
	v_mbcnt_lo_u32_b32 v4, -1, 0
	v_mbcnt_hi_u32_b32 v6, -1, v4
	v_and_b32_e32 v4, 0x7c, v6
	v_xor_b32_e32 v5, 2, v6
	v_add_u32_e32 v7, 4, v4
	v_cmp_lt_i32_e32 vcc, v5, v7
	v_cndmask_b32_e32 v4, v6, v5, vcc
	v_lshlrev_b32_e32 v18, 2, v4
	v_xor_b32_e32 v12, 1, v6
	v_cmp_lt_i32_e32 vcc, v12, v7
	v_cndmask_b32_e32 v6, v6, v12, vcc
	v_lshlrev_b32_e32 v19, 2, v6
	s_mov_b32 s0, 0x3fb8aa3b
	s_mov_b32 s1, 0xc2ce8ed0
	;; [unrolled: 1-line block ×3, first 2 shown]
	s_waitcnt vmcnt(0)
	v_lshlrev_b32_e32 v8, 16, v1
	v_and_b32_e32 v4, 0xffff0000, v1
	v_and_b32_e32 v1, 0xffff0000, v0
	v_lshlrev_b32_e32 v0, 16, v0
	v_max_f32_e32 v10, v1, v1
	v_max_f32_e32 v11, v0, v0
	v_max_f32_e32 v10, v11, v10
	v_lshlrev_b32_e32 v5, 16, v2
	v_and_b32_e32 v2, 0xffff0000, v2
	v_max3_f32 v10, v10, v8, v4
	v_and_b32_e32 v9, 0xffff0000, v3
	v_lshlrev_b32_e32 v3, 16, v3
	v_max3_f32 v10, v10, v5, v2
	v_max3_f32 v10, v10, v3, v9
	ds_bpermute_b32 v11, v18, v10
	s_waitcnt lgkmcnt(0)
	v_max_f32_e32 v6, v11, v11
	v_max_f32_e32 v6, v10, v6
	ds_bpermute_b32 v7, v19, v6
	v_mov_b32_e32 v10, 0x7f800000
	s_waitcnt lgkmcnt(0)
	v_max_f32_e32 v7, v7, v7
	v_max_f32_e32 v6, v6, v7
	v_pk_add_f32 v[0:1], v[0:1], v[6:7] op_sel_hi:[1,0] neg_lo:[0,1] neg_hi:[0,1]
	v_sub_f32_e32 v7, v8, v6
	v_mul_f32_e32 v8, 0x3fb8aa3b, v1
	v_mul_f32_e32 v11, 0x3fb8aa3b, v0
	v_fma_f32 v15, v1, s0, -v8
	v_rndne_f32_e32 v20, v8
	v_pk_add_f32 v[4:5], v[4:5], v[6:7] op_sel_hi:[1,0] neg_lo:[0,1] neg_hi:[0,1]
	v_mul_f32_e32 v12, 0x3fb8aa3b, v7
	v_fma_f32 v21, v0, s0, -v11
	v_rndne_f32_e32 v22, v11
	v_fmac_f32_e32 v15, 0x32a5705f, v1
	v_sub_f32_e32 v8, v8, v20
	v_mul_f32_e32 v13, 0x3fb8aa3b, v5
	v_fma_f32 v23, v7, s0, -v12
	v_rndne_f32_e32 v24, v12
	v_fmac_f32_e32 v21, 0x32a5705f, v0
	v_sub_f32_e32 v11, v11, v22
	v_add_f32_e32 v8, v8, v15
	v_mul_f32_e32 v14, 0x3fb8aa3b, v4
	v_fma_f32 v25, v5, s0, -v13
	v_rndne_f32_e32 v26, v13
	v_cvt_i32_f32_e32 v20, v20
	v_fmac_f32_e32 v23, 0x32a5705f, v7
	v_sub_f32_e32 v12, v12, v24
	v_add_f32_e32 v11, v11, v21
	v_exp_f32_e32 v8, v8
	v_fma_f32 v27, v4, s0, -v14
	v_rndne_f32_e32 v28, v14
	v_cvt_i32_f32_e32 v22, v22
	v_fmac_f32_e32 v25, 0x32a5705f, v5
	v_sub_f32_e32 v13, v13, v26
	v_add_f32_e32 v12, v12, v23
	v_exp_f32_e32 v11, v11
	v_cvt_i32_f32_e32 v24, v24
	v_fmac_f32_e32 v27, 0x32a5705f, v4
	v_sub_f32_e32 v14, v14, v28
	v_add_f32_e32 v13, v13, v25
	v_exp_f32_e32 v12, v12
	v_cvt_i32_f32_e32 v26, v26
	v_add_f32_e32 v14, v14, v27
	v_exp_f32_e32 v13, v13
	v_cvt_i32_f32_e32 v28, v28
	v_exp_f32_e32 v14, v14
	v_ldexp_f32 v8, v8, v20
	v_cmp_ngt_f32_e32 vcc, s1, v1
	v_ldexp_f32 v11, v11, v22
	v_cndmask_b32_e32 v8, 0, v8, vcc
	v_cmp_ngt_f32_e32 vcc, s1, v0
	v_ldexp_f32 v12, v12, v24
	v_cndmask_b32_e32 v11, 0, v11, vcc
	;; [unrolled: 3-line block ×4, first 2 shown]
	v_cmp_ngt_f32_e32 vcc, s1, v4
	v_cndmask_b32_e32 v14, 0, v14, vcc
	v_cmp_nlt_f32_e32 vcc, s2, v1
	v_cndmask_b32_e32 v8, v10, v8, vcc
	v_cmp_nlt_f32_e32 vcc, s2, v0
	;; [unrolled: 2-line block ×3, first 2 shown]
	v_cndmask_b32_e32 v7, v10, v12, vcc
	v_add_f32_e32 v0, v11, v8
	v_pk_add_f32 v[2:3], v[2:3], v[6:7] op_sel_hi:[1,0] neg_lo:[0,1] neg_hi:[0,1]
	v_cmp_nlt_f32_e32 vcc, s2, v5
	v_add_f32_e32 v5, v0, v7
	v_mul_f32_e32 v0, 0x3fb8aa3b, v3
	v_cndmask_b32_e32 v1, v10, v13, vcc
	v_fma_f32 v12, v3, s0, -v0
	v_rndne_f32_e32 v13, v0
	v_fmac_f32_e32 v12, 0x32a5705f, v3
	v_sub_f32_e32 v0, v0, v13
	v_add_f32_e32 v0, v0, v12
	v_exp_f32_e32 v12, v0
	v_cvt_i32_f32_e32 v13, v13
	v_cmp_nlt_f32_e32 vcc, s2, v4
	v_cndmask_b32_e32 v0, v10, v14, vcc
	v_add_f32_e32 v4, v5, v0
	v_ldexp_f32 v5, v12, v13
	v_mul_f32_e32 v12, 0x3fb8aa3b, v2
	v_fma_f32 v13, v2, s0, -v12
	v_rndne_f32_e32 v14, v12
	v_fmac_f32_e32 v13, 0x32a5705f, v2
	v_sub_f32_e32 v12, v12, v14
	v_add_f32_e32 v12, v12, v13
	v_exp_f32_e32 v12, v12
	v_cvt_i32_f32_e32 v13, v14
	v_cmp_ngt_f32_e32 vcc, s1, v3
	v_sub_f32_e32 v6, v9, v6
	v_cndmask_b32_e32 v5, 0, v5, vcc
	v_cmp_nlt_f32_e32 vcc, s2, v3
	v_mul_f32_e32 v9, 0x3fb8aa3b, v6
	v_cndmask_b32_e32 v3, v10, v5, vcc
	v_ldexp_f32 v5, v12, v13
	v_fma_f32 v12, v6, s0, -v9
	v_rndne_f32_e32 v13, v9
	v_fmac_f32_e32 v12, 0x32a5705f, v6
	v_sub_f32_e32 v9, v9, v13
	v_add_f32_e32 v9, v9, v12
	v_exp_f32_e32 v9, v9
	v_cvt_i32_f32_e32 v12, v13
	v_cmp_ngt_f32_e32 vcc, s1, v2
	v_cndmask_b32_e32 v5, 0, v5, vcc
	v_cmp_nlt_f32_e32 vcc, s2, v2
	v_add_f32_e32 v4, v4, v1
	v_cndmask_b32_e32 v2, v10, v5, vcc
	v_ldexp_f32 v5, v9, v12
	v_cmp_ngt_f32_e32 vcc, s1, v6
	v_add_f32_e32 v4, v4, v2
	v_cndmask_b32_e32 v5, 0, v5, vcc
	v_cmp_nlt_f32_e32 vcc, s2, v6
	v_add_f32_e32 v4, v4, v3
	v_cndmask_b32_e32 v5, v10, v5, vcc
	v_add_f32_e32 v4, v4, v5
	ds_bpermute_b32 v6, v18, v4
	s_movk_i32 s2, 0x1f8
	v_lshlrev_b32_e32 v20, 3, v17
	s_waitcnt lgkmcnt(0)
	v_add_f32_e32 v4, v4, v6
	ds_bpermute_b32 v6, v19, v4
	s_waitcnt lgkmcnt(0)
	v_add_f32_e32 v4, v4, v6
	v_div_scale_f32 v6, s[0:1], v4, v4, 1.0
	v_rcp_f32_e32 v9, v6
	s_load_dwordx2 s[0:1], s[4:5], 0x40
	v_fma_f32 v10, -v6, v9, 1.0
	v_fmac_f32_e32 v9, v10, v9
	v_div_scale_f32 v10, vcc, 1.0, v4, 1.0
	v_mul_f32_e32 v12, v10, v9
	v_fma_f32 v13, -v6, v12, v10
	v_fmac_f32_e32 v12, v13, v9
	v_fma_f32 v6, -v6, v12, v10
	v_div_fmas_f32 v6, v6, v9, v12
	v_div_fixup_f32 v4, v6, v4, 1.0
	v_mul_f32_e32 v10, v4, v11
	v_mul_f32_e32 v11, v4, v8
	v_cmp_class_f32_e64 vcc, v10, s2
	v_mul_f32_e32 v12, v4, v7
	v_pk_mul_f32 v[6:7], v[4:5], v[0:1] op_sel_hi:[0,1]
	v_cndmask_b32_e32 v0, 0, v10, vcc
	v_cmp_class_f32_e64 vcc, v11, s2
	v_pk_mul_f32 v[8:9], v[4:5], v[2:3] op_sel_hi:[0,1]
	v_mul_f32_e32 v13, v4, v5
	v_cndmask_b32_e32 v1, 0, v11, vcc
	v_cmp_class_f32_e64 vcc, v12, s2
	v_mov_b32_e32 v5, 0x207
	v_cndmask_b32_e32 v2, 0, v12, vcc
	v_cmp_class_f32_e32 vcc, v7, v5
	v_cndmask_b32_e64 v4, v7, 0, vcc
	v_cmp_class_f32_e32 vcc, v6, v5
	v_cndmask_b32_e64 v3, v6, 0, vcc
	;; [unrolled: 2-line block ×4, first 2 shown]
	v_cmp_class_f32_e64 vcc, v13, s2
	s_waitcnt lgkmcnt(0)
	s_cmp_eq_u64 s[0:1], 0
	v_cndmask_b32_e32 v7, 0, v13, vcc
	s_cbranch_scc1 .LBB137_15
; %bb.4:
	v_lshlrev_b32_e32 v21, 2, v20
	global_load_dwordx4 v[8:11], v21, s[0:1]
	global_load_dwordx4 v[12:15], v21, s[0:1] offset:16
	s_waitcnt vmcnt(1)
	v_pk_add_f32 v[8:9], v[8:9], v[0:1]
	v_pk_add_f32 v[10:11], v[10:11], v[2:3]
	s_waitcnt vmcnt(0)
	v_pk_add_f32 v[12:13], v[12:13], v[4:5]
	v_pk_add_f32 v[14:15], v[14:15], v[6:7]
	s_cbranch_execnz .LBB137_6
.LBB137_5:
	v_pk_mov_b32 v[14:15], v[6:7], v[6:7] op_sel:[0,1]
	v_pk_mov_b32 v[12:13], v[4:5], v[4:5] op_sel:[0,1]
	;; [unrolled: 1-line block ×4, first 2 shown]
.LBB137_6:
	s_load_dwordx4 s[8:11], s[4:5], 0x30
	s_mov_b32 s23, 0
	v_cmp_eq_u32_e64 s[0:1], 0, v17
	s_waitcnt lgkmcnt(0)
	s_bitcmp1_b32 s11, 0
	s_cselect_b64 vcc, -1, 0
	s_cmp_gt_i32 s8, 0
	s_cselect_b64 s[20:21], -1, 0
	s_cmp_lt_i32 s8, 1
	s_cbranch_scc1 .LBB137_16
; %bb.7:
	s_load_dwordx4 s[12:15], s[4:5], 0x20
	v_mul_lo_u32 v22, v16, s8
	v_mov_b32_e32 v21, 0
	v_mov_b32_e32 v23, 0xc61c4000
	;; [unrolled: 1-line block ×3, first 2 shown]
	s_branch .LBB137_10
.LBB137_8:                              ;   in Loop: Header=BB137_10 Depth=1
	s_or_b64 exec, exec, s[4:5]
.LBB137_9:                              ;   in Loop: Header=BB137_10 Depth=1
	s_cmp_eq_u32 s8, s23
	v_add_u32_e32 v24, s22, v24
	s_cbranch_scc1 .LBB137_17
.LBB137_10:                             ; =>This Inner Loop Header: Depth=1
	v_cmp_gt_f32_e64 s[2:3], v9, v8
	v_cndmask_b32_e64 v25, v8, v9, s[2:3]
	v_cndmask_b32_e64 v26, v0, v1, s[2:3]
	s_waitcnt lgkmcnt(0)
	v_cndmask_b32_e64 v27, 0, 1, s[2:3]
	v_cmp_gt_f32_e64 s[2:3], v10, v25
	v_cndmask_b32_e64 v25, v25, v10, s[2:3]
	v_cndmask_b32_e64 v26, v26, v2, s[2:3]
	v_cndmask_b32_e64 v27, v27, 2, s[2:3]
	v_cmp_gt_f32_e64 s[2:3], v11, v25
	v_cndmask_b32_e64 v25, v25, v11, s[2:3]
	v_cndmask_b32_e64 v26, v26, v3, s[2:3]
	;; [unrolled: 4-line block ×6, first 2 shown]
	v_or_b32_e32 v27, v20, v27
	ds_bpermute_b32 v28, v18, v25
	ds_bpermute_b32 v29, v18, v27
	v_cndmask_b32_e64 v26, v26, v7, s[2:3]
	ds_bpermute_b32 v30, v18, v26
	s_waitcnt lgkmcnt(0)
	v_cmp_eq_f32_e64 s[4:5], v25, v28
	v_cmp_lt_i32_e64 s[6:7], v29, v27
	v_cmp_lt_f32_e64 s[2:3], v25, v28
	s_and_b64 s[4:5], s[4:5], s[6:7]
	s_or_b64 s[2:3], s[2:3], s[4:5]
	v_cndmask_b32_e64 v29, v27, v29, s[2:3]
	v_cndmask_b32_e64 v25, v25, v28, s[2:3]
	ds_bpermute_b32 v28, v19, v25
	ds_bpermute_b32 v31, v19, v29
	v_cndmask_b32_e64 v26, v26, v30, s[2:3]
	ds_bpermute_b32 v27, v19, v26
	s_waitcnt lgkmcnt(2)
	v_cmp_eq_f32_e64 s[4:5], v25, v28
	s_waitcnt lgkmcnt(1)
	v_cmp_lt_i32_e64 s[6:7], v31, v29
	v_cmp_lt_f32_e64 s[2:3], v25, v28
	s_and_b64 s[4:5], s[4:5], s[6:7]
	s_or_b64 s[2:3], s[2:3], s[4:5]
	v_cndmask_b32_e64 v25, v29, v31, s[2:3]
	s_and_saveexec_b64 s[6:7], s[0:1]
	s_cbranch_execnz .LBB137_12
; %bb.11:                               ;   in Loop: Header=BB137_10 Depth=1
	s_or_b64 exec, exec, s[6:7]
	s_add_i32 s23, s23, 1
	s_cmp_ge_i32 s23, s8
	s_cbranch_scc1 .LBB137_9
	s_branch .LBB137_13
.LBB137_12:                             ;   in Loop: Header=BB137_10 Depth=1
	s_waitcnt lgkmcnt(0)
	v_cndmask_b32_e64 v30, v26, v27, s[2:3]
	v_add_u32_e32 v26, s23, v22
	v_ashrrev_i32_e32 v27, 31, v26
	v_cmp_le_i32_e64 s[2:3], s9, v25
	v_cmp_gt_i32_e64 s[4:5], s10, v25
	v_lshlrev_b64 v[26:27], 2, v[26:27]
	s_and_b64 s[4:5], s[2:3], s[4:5]
	v_mov_b32_e32 v29, s17
	v_add_co_u32_e64 v28, s[2:3], s16, v26
	v_addc_co_u32_e64 v29, s[2:3], v29, v27, s[2:3]
	global_store_dword v[28:29], v30, off
	v_subrev_u32_e32 v28, s9, v25
	s_and_b64 s[2:3], s[18:19], s[4:5]
	v_cndmask_b32_e64 v31, 32, v28, s[2:3]
	v_mov_b32_e32 v29, s13
	v_add_co_u32_e64 v28, s[2:3], s12, v26
	v_addc_co_u32_e64 v29, s[2:3], v29, v27, s[2:3]
	global_store_dword v[28:29], v31, off
	v_mov_b32_e32 v28, s15
	v_add_co_u32_e64 v26, s[2:3], s14, v26
	v_addc_co_u32_e64 v27, s[2:3], v28, v27, s[2:3]
	global_store_dword v[26:27], v24, off
	v_add_f32_e32 v26, v21, v30
	v_cndmask_b32_e32 v21, v21, v26, vcc
	s_or_b64 exec, exec, s[6:7]
	s_add_i32 s23, s23, 1
	s_cmp_ge_i32 s23, s8
	s_cbranch_scc1 .LBB137_9
.LBB137_13:                             ;   in Loop: Header=BB137_10 Depth=1
	s_waitcnt lgkmcnt(0)
	v_ashrrev_i32_e32 v27, 31, v25
	v_lshrrev_b32_e32 v26, 29, v27
	v_add_u32_e32 v26, v25, v26
	v_ashrrev_i32_e32 v26, 3, v26
	v_lshrrev_b32_e32 v28, 30, v26
	v_add_u32_e32 v28, v26, v28
	v_and_b32_e32 v28, -4, v28
	v_sub_u32_e32 v28, v26, v28
	v_cmp_eq_u32_e64 s[2:3], v17, v28
	s_and_saveexec_b64 s[4:5], s[2:3]
	s_cbranch_execz .LBB137_8
; %bb.14:                               ;   in Loop: Header=BB137_10 Depth=1
	v_lshrrev_b32_e32 v27, 27, v27
	v_add_u32_e32 v27, v25, v27
	v_lshlrev_b32_e32 v26, 3, v26
	v_ashrrev_i32_e32 v27, 5, v27
	v_sub_u32_e32 v25, v25, v26
	v_lshl_add_u32 v25, v27, 3, v25
	v_cmp_ne_u32_e64 s[2:3], 7, v25
	v_cndmask_b32_e64 v15, v23, v15, s[2:3]
	v_cmp_ne_u32_e64 s[2:3], 6, v25
	v_cndmask_b32_e64 v14, v23, v14, s[2:3]
	;; [unrolled: 2-line block ×8, first 2 shown]
	s_branch .LBB137_8
.LBB137_15:
                                        ; implicit-def: $vgpr8_vgpr9_vgpr10_vgpr11_vgpr12_vgpr13_vgpr14_vgpr15
	s_andn2_b64 vcc, exec, s[6:7]
	s_cbranch_vccz .LBB137_5
	s_branch .LBB137_6
.LBB137_16:
	v_mov_b32_e32 v21, 0
.LBB137_17:
	v_cmp_eq_u32_e64 s[0:1], 0, v17
	s_and_b64 s[0:1], s[0:1], vcc
	s_and_b64 exec, exec, s[0:1]
	s_cbranch_execz .LBB137_26
; %bb.18:
	s_andn2_b64 vcc, exec, s[20:21]
	s_cbranch_vccnz .LBB137_26
; %bb.19:
	v_cmp_lt_f32_e32 vcc, 0, v21
	s_mov_b32 s2, 0
	v_cndmask_b32_e32 v0, 1.0, v21, vcc
	v_mul_lo_u32 v4, v16, s8
	s_cmp_eq_u32 s8, 1
	s_mov_b64 s[0:1], -1
	s_cbranch_scc1 .LBB137_23
; %bb.20:
	s_and_b32 s2, s8, 0x7ffffffe
	v_mov_b32_e32 v1, v0
	v_mov_b32_e32 v5, s17
	s_mov_b32 s3, s2
	v_mov_b32_e32 v2, v4
.LBB137_21:                             ; =>This Inner Loop Header: Depth=1
	v_ashrrev_i32_e32 v3, 31, v2
	v_lshlrev_b64 v[6:7], 2, v[2:3]
	v_add_co_u32_e32 v6, vcc, s16, v6
	v_addc_co_u32_e32 v7, vcc, v5, v7, vcc
	global_load_dwordx2 v[8:9], v[6:7], off
	s_add_i32 s3, s3, -2
	s_cmp_lg_u32 s3, 0
	v_add_u32_e32 v2, 2, v2
	s_waitcnt vmcnt(0)
	v_div_scale_f32 v3, s[0:1], v1, v1, v9
	v_div_scale_f32 v11, s[0:1], v0, v0, v8
	v_rcp_f32_e32 v12, v3
	v_rcp_f32_e32 v13, v11
	v_div_scale_f32 v10, vcc, v9, v1, v9
	v_fma_f32 v15, -v3, v12, 1.0
	v_fma_f32 v16, -v11, v13, 1.0
	v_fmac_f32_e32 v12, v15, v12
	v_div_scale_f32 v14, s[0:1], v8, v0, v8
	v_fmac_f32_e32 v13, v16, v13
	v_mul_f32_e32 v15, v10, v12
	v_mul_f32_e32 v16, v14, v13
	v_fma_f32 v17, -v3, v15, v10
	v_fma_f32 v18, -v11, v16, v14
	v_fmac_f32_e32 v15, v17, v12
	v_fmac_f32_e32 v16, v18, v13
	v_fma_f32 v3, -v3, v15, v10
	v_fma_f32 v10, -v11, v16, v14
	v_div_fmas_f32 v3, v3, v12, v15
	s_mov_b64 vcc, s[0:1]
	v_div_fixup_f32 v9, v3, v1, v9
	v_div_fmas_f32 v3, v10, v13, v16
	v_div_fixup_f32 v8, v3, v0, v8
	global_store_dwordx2 v[6:7], v[8:9], off
	s_cbranch_scc1 .LBB137_21
; %bb.22:
	s_cmp_lg_u32 s2, s8
	s_cselect_b64 s[0:1], -1, 0
.LBB137_23:
	s_and_b64 vcc, exec, s[0:1]
	s_cbranch_vccz .LBB137_26
; %bb.24:
	v_ashrrev_i32_e32 v1, 31, v4
	v_add_co_u32_e32 v2, vcc, s2, v4
	v_addc_co_u32_e32 v3, vcc, 0, v1, vcc
	v_lshlrev_b64 v[2:3], 2, v[2:3]
	v_mov_b32_e32 v1, s17
	v_add_co_u32_e32 v2, vcc, s16, v2
	s_sub_i32 s0, s8, s2
	v_addc_co_u32_e32 v3, vcc, v1, v3, vcc
.LBB137_25:                             ; =>This Inner Loop Header: Depth=1
	global_load_dword v1, v[2:3], off
	s_add_i32 s0, s0, -1
	s_cmp_lg_u32 s0, 0
	s_waitcnt vmcnt(0)
	v_div_scale_f32 v4, s[2:3], v0, v0, v1
	v_rcp_f32_e32 v5, v4
	v_div_scale_f32 v6, vcc, v1, v0, v1
	v_fma_f32 v7, -v4, v5, 1.0
	v_fmac_f32_e32 v5, v7, v5
	v_mul_f32_e32 v7, v6, v5
	v_fma_f32 v8, -v4, v7, v6
	v_fmac_f32_e32 v7, v8, v5
	v_fma_f32 v4, -v4, v7, v6
	v_div_fmas_f32 v4, v4, v5, v7
	v_div_fixup_f32 v1, v4, v0, v1
	global_store_dword v[2:3], v1, off
	v_add_co_u32_e32 v2, vcc, 4, v2
	v_addc_co_u32_e32 v3, vcc, 0, v3, vcc
	s_cbranch_scc1 .LBB137_25
.LBB137_26:
	s_endpgm
	.section	.rodata,"a",@progbits
	.p2align	6, 0x0
	.amdhsa_kernel _ZN4vllm3moe10topkGatingILi8ELi32ELi4ELi16ELi64Ei14__hip_bfloat16LNS0_11ScoringFuncE0EEEvPKT5_PKbPfiPT4_PiiiibPKf
		.amdhsa_group_segment_fixed_size 0
		.amdhsa_private_segment_fixed_size 0
		.amdhsa_kernarg_size 72
		.amdhsa_user_sgpr_count 6
		.amdhsa_user_sgpr_private_segment_buffer 1
		.amdhsa_user_sgpr_dispatch_ptr 0
		.amdhsa_user_sgpr_queue_ptr 0
		.amdhsa_user_sgpr_kernarg_segment_ptr 1
		.amdhsa_user_sgpr_dispatch_id 0
		.amdhsa_user_sgpr_flat_scratch_init 0
		.amdhsa_user_sgpr_kernarg_preload_length 0
		.amdhsa_user_sgpr_kernarg_preload_offset 0
		.amdhsa_user_sgpr_private_segment_size 0
		.amdhsa_uses_dynamic_stack 0
		.amdhsa_system_sgpr_private_segment_wavefront_offset 0
		.amdhsa_system_sgpr_workgroup_id_x 1
		.amdhsa_system_sgpr_workgroup_id_y 0
		.amdhsa_system_sgpr_workgroup_id_z 0
		.amdhsa_system_sgpr_workgroup_info 0
		.amdhsa_system_vgpr_workitem_id 1
		.amdhsa_next_free_vgpr 32
		.amdhsa_next_free_sgpr 24
		.amdhsa_accum_offset 32
		.amdhsa_reserve_vcc 1
		.amdhsa_reserve_flat_scratch 0
		.amdhsa_float_round_mode_32 0
		.amdhsa_float_round_mode_16_64 0
		.amdhsa_float_denorm_mode_32 3
		.amdhsa_float_denorm_mode_16_64 3
		.amdhsa_dx10_clamp 1
		.amdhsa_ieee_mode 1
		.amdhsa_fp16_overflow 0
		.amdhsa_tg_split 0
		.amdhsa_exception_fp_ieee_invalid_op 0
		.amdhsa_exception_fp_denorm_src 0
		.amdhsa_exception_fp_ieee_div_zero 0
		.amdhsa_exception_fp_ieee_overflow 0
		.amdhsa_exception_fp_ieee_underflow 0
		.amdhsa_exception_fp_ieee_inexact 0
		.amdhsa_exception_int_div_zero 0
	.end_amdhsa_kernel
	.section	.text._ZN4vllm3moe10topkGatingILi8ELi32ELi4ELi16ELi64Ei14__hip_bfloat16LNS0_11ScoringFuncE0EEEvPKT5_PKbPfiPT4_PiiiibPKf,"axG",@progbits,_ZN4vllm3moe10topkGatingILi8ELi32ELi4ELi16ELi64Ei14__hip_bfloat16LNS0_11ScoringFuncE0EEEvPKT5_PKbPfiPT4_PiiiibPKf,comdat
.Lfunc_end137:
	.size	_ZN4vllm3moe10topkGatingILi8ELi32ELi4ELi16ELi64Ei14__hip_bfloat16LNS0_11ScoringFuncE0EEEvPKT5_PKbPfiPT4_PiiiibPKf, .Lfunc_end137-_ZN4vllm3moe10topkGatingILi8ELi32ELi4ELi16ELi64Ei14__hip_bfloat16LNS0_11ScoringFuncE0EEEvPKT5_PKbPfiPT4_PiiiibPKf
                                        ; -- End function
	.section	.AMDGPU.csdata,"",@progbits
; Kernel info:
; codeLenInByte = 2752
; NumSgprs: 28
; NumVgprs: 32
; NumAgprs: 0
; TotalNumVgprs: 32
; ScratchSize: 0
; MemoryBound: 0
; FloatMode: 240
; IeeeMode: 1
; LDSByteSize: 0 bytes/workgroup (compile time only)
; SGPRBlocks: 3
; VGPRBlocks: 3
; NumSGPRsForWavesPerEU: 28
; NumVGPRsForWavesPerEU: 32
; AccumOffset: 32
; Occupancy: 8
; WaveLimiterHint : 0
; COMPUTE_PGM_RSRC2:SCRATCH_EN: 0
; COMPUTE_PGM_RSRC2:USER_SGPR: 6
; COMPUTE_PGM_RSRC2:TRAP_HANDLER: 0
; COMPUTE_PGM_RSRC2:TGID_X_EN: 1
; COMPUTE_PGM_RSRC2:TGID_Y_EN: 0
; COMPUTE_PGM_RSRC2:TGID_Z_EN: 0
; COMPUTE_PGM_RSRC2:TIDIG_COMP_CNT: 1
; COMPUTE_PGM_RSRC3_GFX90A:ACCUM_OFFSET: 7
; COMPUTE_PGM_RSRC3_GFX90A:TG_SPLIT: 0
	.section	.text._ZN4vllm3moe10topkGatingILi8ELi32ELi4ELi16ELi32Ei14__hip_bfloat16LNS0_11ScoringFuncE0EEEvPKT5_PKbPfiPT4_PiiiibPKf,"axG",@progbits,_ZN4vllm3moe10topkGatingILi8ELi32ELi4ELi16ELi32Ei14__hip_bfloat16LNS0_11ScoringFuncE0EEEvPKT5_PKbPfiPT4_PiiiibPKf,comdat
	.protected	_ZN4vllm3moe10topkGatingILi8ELi32ELi4ELi16ELi32Ei14__hip_bfloat16LNS0_11ScoringFuncE0EEEvPKT5_PKbPfiPT4_PiiiibPKf ; -- Begin function _ZN4vllm3moe10topkGatingILi8ELi32ELi4ELi16ELi32Ei14__hip_bfloat16LNS0_11ScoringFuncE0EEEvPKT5_PKbPfiPT4_PiiiibPKf
	.globl	_ZN4vllm3moe10topkGatingILi8ELi32ELi4ELi16ELi32Ei14__hip_bfloat16LNS0_11ScoringFuncE0EEEvPKT5_PKbPfiPT4_PiiiibPKf
	.p2align	8
	.type	_ZN4vllm3moe10topkGatingILi8ELi32ELi4ELi16ELi32Ei14__hip_bfloat16LNS0_11ScoringFuncE0EEEvPKT5_PKbPfiPT4_PiiiibPKf,@function
_ZN4vllm3moe10topkGatingILi8ELi32ELi4ELi16ELi32Ei14__hip_bfloat16LNS0_11ScoringFuncE0EEEvPKT5_PKbPfiPT4_PiiiibPKf: ; @_ZN4vllm3moe10topkGatingILi8ELi32ELi4ELi16ELi32Ei14__hip_bfloat16LNS0_11ScoringFuncE0EEEvPKT5_PKbPfiPT4_PiiiibPKf
; %bb.0:
	s_load_dword s22, s[4:5], 0x18
	v_bfe_u32 v1, v0, 10, 10
	v_and_b32_e32 v0, 0x3ff, v0
	s_lshl_b32 s0, s6, 5
	v_lshlrev_b32_e32 v1, 3, v1
	v_lshrrev_b32_e32 v2, 2, v0
	v_add3_u32 v16, s0, v1, v2
	s_waitcnt lgkmcnt(0)
	v_cmp_gt_i32_e32 vcc, s22, v16
	s_and_saveexec_b64 s[0:1], vcc
	s_cbranch_execz .LBB138_26
; %bb.1:
	s_load_dwordx4 s[0:3], s[4:5], 0x0
	s_load_dwordx2 s[16:17], s[4:5], 0x10
	s_mov_b64 s[6:7], -1
	s_mov_b64 s[18:19], -1
	s_waitcnt lgkmcnt(0)
	s_cmp_eq_u64 s[2:3], 0
	s_cbranch_scc1 .LBB138_3
; %bb.2:
	v_ashrrev_i32_e32 v1, 31, v16
	v_mov_b32_e32 v3, s3
	v_add_co_u32_e32 v2, vcc, s2, v16
	v_addc_co_u32_e32 v3, vcc, v3, v1, vcc
	global_load_ubyte v1, v[2:3], off
	s_waitcnt vmcnt(0)
	v_and_b32_e32 v1, 1, v1
	v_cmp_eq_u32_e32 vcc, 1, v1
	s_xor_b64 s[2:3], vcc, -1
	s_orn2_b64 s[18:19], s[2:3], exec
.LBB138_3:
	v_lshlrev_b32_e32 v2, 5, v16
	v_ashrrev_i32_e32 v3, 31, v2
	v_lshlrev_b64 v[2:3], 1, v[2:3]
	v_mov_b32_e32 v1, s1
	v_add_co_u32_e32 v2, vcc, s0, v2
	v_and_b32_e32 v17, 3, v0
	v_addc_co_u32_e32 v1, vcc, v1, v3, vcc
	v_lshlrev_b32_e32 v0, 4, v17
	v_add_co_u32_e32 v0, vcc, v2, v0
	v_addc_co_u32_e32 v1, vcc, 0, v1, vcc
	global_load_dwordx4 v[0:3], v[0:1], off
	v_mbcnt_lo_u32_b32 v4, -1, 0
	v_mbcnt_hi_u32_b32 v6, -1, v4
	v_and_b32_e32 v4, 0x7c, v6
	v_xor_b32_e32 v5, 2, v6
	v_add_u32_e32 v7, 4, v4
	v_cmp_lt_i32_e32 vcc, v5, v7
	v_cndmask_b32_e32 v4, v6, v5, vcc
	v_lshlrev_b32_e32 v18, 2, v4
	v_xor_b32_e32 v12, 1, v6
	v_cmp_lt_i32_e32 vcc, v12, v7
	v_cndmask_b32_e32 v6, v6, v12, vcc
	v_lshlrev_b32_e32 v19, 2, v6
	s_mov_b32 s0, 0x3fb8aa3b
	s_mov_b32 s1, 0xc2ce8ed0
	s_mov_b32 s2, 0x42b17218
	s_waitcnt vmcnt(0)
	v_lshlrev_b32_e32 v8, 16, v1
	v_and_b32_e32 v4, 0xffff0000, v1
	v_and_b32_e32 v1, 0xffff0000, v0
	v_lshlrev_b32_e32 v0, 16, v0
	v_max_f32_e32 v10, v1, v1
	v_max_f32_e32 v11, v0, v0
	;; [unrolled: 1-line block ×3, first 2 shown]
	v_lshlrev_b32_e32 v5, 16, v2
	v_and_b32_e32 v2, 0xffff0000, v2
	v_max3_f32 v10, v10, v8, v4
	v_and_b32_e32 v9, 0xffff0000, v3
	v_lshlrev_b32_e32 v3, 16, v3
	v_max3_f32 v10, v10, v5, v2
	v_max3_f32 v10, v10, v3, v9
	ds_bpermute_b32 v11, v18, v10
	s_waitcnt lgkmcnt(0)
	v_max_f32_e32 v6, v11, v11
	v_max_f32_e32 v6, v10, v6
	ds_bpermute_b32 v7, v19, v6
	v_mov_b32_e32 v10, 0x7f800000
	s_waitcnt lgkmcnt(0)
	v_max_f32_e32 v7, v7, v7
	v_max_f32_e32 v6, v6, v7
	v_pk_add_f32 v[0:1], v[0:1], v[6:7] op_sel_hi:[1,0] neg_lo:[0,1] neg_hi:[0,1]
	v_sub_f32_e32 v7, v8, v6
	v_mul_f32_e32 v8, 0x3fb8aa3b, v1
	v_mul_f32_e32 v11, 0x3fb8aa3b, v0
	v_fma_f32 v15, v1, s0, -v8
	v_rndne_f32_e32 v20, v8
	v_pk_add_f32 v[4:5], v[4:5], v[6:7] op_sel_hi:[1,0] neg_lo:[0,1] neg_hi:[0,1]
	v_mul_f32_e32 v12, 0x3fb8aa3b, v7
	v_fma_f32 v21, v0, s0, -v11
	v_rndne_f32_e32 v22, v11
	v_fmac_f32_e32 v15, 0x32a5705f, v1
	v_sub_f32_e32 v8, v8, v20
	v_mul_f32_e32 v13, 0x3fb8aa3b, v5
	v_fma_f32 v23, v7, s0, -v12
	v_rndne_f32_e32 v24, v12
	v_fmac_f32_e32 v21, 0x32a5705f, v0
	v_sub_f32_e32 v11, v11, v22
	v_add_f32_e32 v8, v8, v15
	v_mul_f32_e32 v14, 0x3fb8aa3b, v4
	v_fma_f32 v25, v5, s0, -v13
	v_rndne_f32_e32 v26, v13
	v_cvt_i32_f32_e32 v20, v20
	v_fmac_f32_e32 v23, 0x32a5705f, v7
	v_sub_f32_e32 v12, v12, v24
	v_add_f32_e32 v11, v11, v21
	v_exp_f32_e32 v8, v8
	v_fma_f32 v27, v4, s0, -v14
	v_rndne_f32_e32 v28, v14
	v_cvt_i32_f32_e32 v22, v22
	v_fmac_f32_e32 v25, 0x32a5705f, v5
	v_sub_f32_e32 v13, v13, v26
	v_add_f32_e32 v12, v12, v23
	v_exp_f32_e32 v11, v11
	v_cvt_i32_f32_e32 v24, v24
	v_fmac_f32_e32 v27, 0x32a5705f, v4
	v_sub_f32_e32 v14, v14, v28
	v_add_f32_e32 v13, v13, v25
	v_exp_f32_e32 v12, v12
	v_cvt_i32_f32_e32 v26, v26
	v_add_f32_e32 v14, v14, v27
	v_exp_f32_e32 v13, v13
	v_cvt_i32_f32_e32 v28, v28
	v_exp_f32_e32 v14, v14
	v_ldexp_f32 v8, v8, v20
	v_cmp_ngt_f32_e32 vcc, s1, v1
	v_ldexp_f32 v11, v11, v22
	v_cndmask_b32_e32 v8, 0, v8, vcc
	v_cmp_ngt_f32_e32 vcc, s1, v0
	v_ldexp_f32 v12, v12, v24
	v_cndmask_b32_e32 v11, 0, v11, vcc
	;; [unrolled: 3-line block ×4, first 2 shown]
	v_cmp_ngt_f32_e32 vcc, s1, v4
	v_cndmask_b32_e32 v14, 0, v14, vcc
	v_cmp_nlt_f32_e32 vcc, s2, v1
	v_cndmask_b32_e32 v8, v10, v8, vcc
	v_cmp_nlt_f32_e32 vcc, s2, v0
	;; [unrolled: 2-line block ×3, first 2 shown]
	v_cndmask_b32_e32 v7, v10, v12, vcc
	v_add_f32_e32 v0, v11, v8
	v_pk_add_f32 v[2:3], v[2:3], v[6:7] op_sel_hi:[1,0] neg_lo:[0,1] neg_hi:[0,1]
	v_cmp_nlt_f32_e32 vcc, s2, v5
	v_add_f32_e32 v5, v0, v7
	v_mul_f32_e32 v0, 0x3fb8aa3b, v3
	v_cndmask_b32_e32 v1, v10, v13, vcc
	v_fma_f32 v12, v3, s0, -v0
	v_rndne_f32_e32 v13, v0
	v_fmac_f32_e32 v12, 0x32a5705f, v3
	v_sub_f32_e32 v0, v0, v13
	v_add_f32_e32 v0, v0, v12
	v_exp_f32_e32 v12, v0
	v_cvt_i32_f32_e32 v13, v13
	v_cmp_nlt_f32_e32 vcc, s2, v4
	v_cndmask_b32_e32 v0, v10, v14, vcc
	v_add_f32_e32 v4, v5, v0
	v_ldexp_f32 v5, v12, v13
	v_mul_f32_e32 v12, 0x3fb8aa3b, v2
	v_fma_f32 v13, v2, s0, -v12
	v_rndne_f32_e32 v14, v12
	v_fmac_f32_e32 v13, 0x32a5705f, v2
	v_sub_f32_e32 v12, v12, v14
	v_add_f32_e32 v12, v12, v13
	v_exp_f32_e32 v12, v12
	v_cvt_i32_f32_e32 v13, v14
	v_cmp_ngt_f32_e32 vcc, s1, v3
	v_sub_f32_e32 v6, v9, v6
	v_cndmask_b32_e32 v5, 0, v5, vcc
	v_cmp_nlt_f32_e32 vcc, s2, v3
	v_mul_f32_e32 v9, 0x3fb8aa3b, v6
	v_cndmask_b32_e32 v3, v10, v5, vcc
	v_ldexp_f32 v5, v12, v13
	v_fma_f32 v12, v6, s0, -v9
	v_rndne_f32_e32 v13, v9
	v_fmac_f32_e32 v12, 0x32a5705f, v6
	v_sub_f32_e32 v9, v9, v13
	v_add_f32_e32 v9, v9, v12
	v_exp_f32_e32 v9, v9
	v_cvt_i32_f32_e32 v12, v13
	v_cmp_ngt_f32_e32 vcc, s1, v2
	v_cndmask_b32_e32 v5, 0, v5, vcc
	v_cmp_nlt_f32_e32 vcc, s2, v2
	v_add_f32_e32 v4, v4, v1
	v_cndmask_b32_e32 v2, v10, v5, vcc
	v_ldexp_f32 v5, v9, v12
	v_cmp_ngt_f32_e32 vcc, s1, v6
	v_add_f32_e32 v4, v4, v2
	v_cndmask_b32_e32 v5, 0, v5, vcc
	v_cmp_nlt_f32_e32 vcc, s2, v6
	v_add_f32_e32 v4, v4, v3
	v_cndmask_b32_e32 v5, v10, v5, vcc
	v_add_f32_e32 v4, v4, v5
	ds_bpermute_b32 v6, v18, v4
	s_movk_i32 s2, 0x1f8
	v_lshlrev_b32_e32 v20, 3, v17
	s_waitcnt lgkmcnt(0)
	v_add_f32_e32 v4, v4, v6
	ds_bpermute_b32 v6, v19, v4
	s_waitcnt lgkmcnt(0)
	v_add_f32_e32 v4, v4, v6
	v_div_scale_f32 v6, s[0:1], v4, v4, 1.0
	v_rcp_f32_e32 v9, v6
	s_load_dwordx2 s[0:1], s[4:5], 0x40
	v_fma_f32 v10, -v6, v9, 1.0
	v_fmac_f32_e32 v9, v10, v9
	v_div_scale_f32 v10, vcc, 1.0, v4, 1.0
	v_mul_f32_e32 v12, v10, v9
	v_fma_f32 v13, -v6, v12, v10
	v_fmac_f32_e32 v12, v13, v9
	v_fma_f32 v6, -v6, v12, v10
	v_div_fmas_f32 v6, v6, v9, v12
	v_div_fixup_f32 v4, v6, v4, 1.0
	v_mul_f32_e32 v10, v4, v11
	v_mul_f32_e32 v11, v4, v8
	v_cmp_class_f32_e64 vcc, v10, s2
	v_mul_f32_e32 v12, v4, v7
	v_pk_mul_f32 v[6:7], v[4:5], v[0:1] op_sel_hi:[0,1]
	v_cndmask_b32_e32 v0, 0, v10, vcc
	v_cmp_class_f32_e64 vcc, v11, s2
	v_pk_mul_f32 v[8:9], v[4:5], v[2:3] op_sel_hi:[0,1]
	v_mul_f32_e32 v13, v4, v5
	v_cndmask_b32_e32 v1, 0, v11, vcc
	v_cmp_class_f32_e64 vcc, v12, s2
	v_mov_b32_e32 v5, 0x207
	v_cndmask_b32_e32 v2, 0, v12, vcc
	v_cmp_class_f32_e32 vcc, v7, v5
	v_cndmask_b32_e64 v4, v7, 0, vcc
	v_cmp_class_f32_e32 vcc, v6, v5
	v_cndmask_b32_e64 v3, v6, 0, vcc
	;; [unrolled: 2-line block ×4, first 2 shown]
	v_cmp_class_f32_e64 vcc, v13, s2
	s_waitcnt lgkmcnt(0)
	s_cmp_eq_u64 s[0:1], 0
	v_cndmask_b32_e32 v7, 0, v13, vcc
	s_cbranch_scc1 .LBB138_15
; %bb.4:
	v_lshlrev_b32_e32 v21, 2, v20
	global_load_dwordx4 v[8:11], v21, s[0:1]
	global_load_dwordx4 v[12:15], v21, s[0:1] offset:16
	s_waitcnt vmcnt(1)
	v_pk_add_f32 v[8:9], v[8:9], v[0:1]
	v_pk_add_f32 v[10:11], v[10:11], v[2:3]
	s_waitcnt vmcnt(0)
	v_pk_add_f32 v[12:13], v[12:13], v[4:5]
	v_pk_add_f32 v[14:15], v[14:15], v[6:7]
	s_cbranch_execnz .LBB138_6
.LBB138_5:
	v_pk_mov_b32 v[14:15], v[6:7], v[6:7] op_sel:[0,1]
	v_pk_mov_b32 v[12:13], v[4:5], v[4:5] op_sel:[0,1]
	;; [unrolled: 1-line block ×4, first 2 shown]
.LBB138_6:
	s_load_dwordx4 s[8:11], s[4:5], 0x30
	s_mov_b32 s23, 0
	v_cmp_eq_u32_e64 s[0:1], 0, v17
	s_waitcnt lgkmcnt(0)
	s_bitcmp1_b32 s11, 0
	s_cselect_b64 vcc, -1, 0
	s_cmp_gt_i32 s8, 0
	s_cselect_b64 s[20:21], -1, 0
	s_cmp_lt_i32 s8, 1
	s_cbranch_scc1 .LBB138_16
; %bb.7:
	s_load_dwordx4 s[12:15], s[4:5], 0x20
	v_mul_lo_u32 v22, v16, s8
	v_mov_b32_e32 v21, 0
	v_mov_b32_e32 v23, 0xc61c4000
	;; [unrolled: 1-line block ×3, first 2 shown]
	s_branch .LBB138_10
.LBB138_8:                              ;   in Loop: Header=BB138_10 Depth=1
	s_or_b64 exec, exec, s[4:5]
.LBB138_9:                              ;   in Loop: Header=BB138_10 Depth=1
	s_cmp_eq_u32 s8, s23
	v_add_u32_e32 v24, s22, v24
	s_cbranch_scc1 .LBB138_17
.LBB138_10:                             ; =>This Inner Loop Header: Depth=1
	v_cmp_gt_f32_e64 s[2:3], v9, v8
	v_cndmask_b32_e64 v25, v8, v9, s[2:3]
	v_cndmask_b32_e64 v26, v0, v1, s[2:3]
	s_waitcnt lgkmcnt(0)
	v_cndmask_b32_e64 v27, 0, 1, s[2:3]
	v_cmp_gt_f32_e64 s[2:3], v10, v25
	v_cndmask_b32_e64 v25, v25, v10, s[2:3]
	v_cndmask_b32_e64 v26, v26, v2, s[2:3]
	v_cndmask_b32_e64 v27, v27, 2, s[2:3]
	v_cmp_gt_f32_e64 s[2:3], v11, v25
	v_cndmask_b32_e64 v25, v25, v11, s[2:3]
	v_cndmask_b32_e64 v26, v26, v3, s[2:3]
	;; [unrolled: 4-line block ×6, first 2 shown]
	v_or_b32_e32 v27, v20, v27
	ds_bpermute_b32 v28, v18, v25
	ds_bpermute_b32 v29, v18, v27
	v_cndmask_b32_e64 v26, v26, v7, s[2:3]
	ds_bpermute_b32 v30, v18, v26
	s_waitcnt lgkmcnt(0)
	v_cmp_eq_f32_e64 s[4:5], v25, v28
	v_cmp_lt_i32_e64 s[6:7], v29, v27
	v_cmp_lt_f32_e64 s[2:3], v25, v28
	s_and_b64 s[4:5], s[4:5], s[6:7]
	s_or_b64 s[2:3], s[2:3], s[4:5]
	v_cndmask_b32_e64 v29, v27, v29, s[2:3]
	v_cndmask_b32_e64 v25, v25, v28, s[2:3]
	ds_bpermute_b32 v28, v19, v25
	ds_bpermute_b32 v31, v19, v29
	v_cndmask_b32_e64 v26, v26, v30, s[2:3]
	ds_bpermute_b32 v27, v19, v26
	s_waitcnt lgkmcnt(2)
	v_cmp_eq_f32_e64 s[4:5], v25, v28
	s_waitcnt lgkmcnt(1)
	v_cmp_lt_i32_e64 s[6:7], v31, v29
	v_cmp_lt_f32_e64 s[2:3], v25, v28
	s_and_b64 s[4:5], s[4:5], s[6:7]
	s_or_b64 s[2:3], s[2:3], s[4:5]
	v_cndmask_b32_e64 v25, v29, v31, s[2:3]
	s_and_saveexec_b64 s[6:7], s[0:1]
	s_cbranch_execnz .LBB138_12
; %bb.11:                               ;   in Loop: Header=BB138_10 Depth=1
	s_or_b64 exec, exec, s[6:7]
	s_add_i32 s23, s23, 1
	s_cmp_ge_i32 s23, s8
	s_cbranch_scc1 .LBB138_9
	s_branch .LBB138_13
.LBB138_12:                             ;   in Loop: Header=BB138_10 Depth=1
	s_waitcnt lgkmcnt(0)
	v_cndmask_b32_e64 v30, v26, v27, s[2:3]
	v_add_u32_e32 v26, s23, v22
	v_ashrrev_i32_e32 v27, 31, v26
	v_cmp_le_i32_e64 s[2:3], s9, v25
	v_cmp_gt_i32_e64 s[4:5], s10, v25
	v_lshlrev_b64 v[26:27], 2, v[26:27]
	s_and_b64 s[4:5], s[2:3], s[4:5]
	v_mov_b32_e32 v29, s17
	v_add_co_u32_e64 v28, s[2:3], s16, v26
	v_addc_co_u32_e64 v29, s[2:3], v29, v27, s[2:3]
	global_store_dword v[28:29], v30, off
	v_subrev_u32_e32 v28, s9, v25
	s_and_b64 s[2:3], s[18:19], s[4:5]
	v_cndmask_b32_e64 v31, 32, v28, s[2:3]
	v_mov_b32_e32 v29, s13
	v_add_co_u32_e64 v28, s[2:3], s12, v26
	v_addc_co_u32_e64 v29, s[2:3], v29, v27, s[2:3]
	global_store_dword v[28:29], v31, off
	v_mov_b32_e32 v28, s15
	v_add_co_u32_e64 v26, s[2:3], s14, v26
	v_addc_co_u32_e64 v27, s[2:3], v28, v27, s[2:3]
	global_store_dword v[26:27], v24, off
	v_add_f32_e32 v26, v21, v30
	v_cndmask_b32_e32 v21, v21, v26, vcc
	s_or_b64 exec, exec, s[6:7]
	s_add_i32 s23, s23, 1
	s_cmp_ge_i32 s23, s8
	s_cbranch_scc1 .LBB138_9
.LBB138_13:                             ;   in Loop: Header=BB138_10 Depth=1
	s_waitcnt lgkmcnt(0)
	v_ashrrev_i32_e32 v27, 31, v25
	v_lshrrev_b32_e32 v26, 29, v27
	v_add_u32_e32 v26, v25, v26
	v_ashrrev_i32_e32 v26, 3, v26
	v_lshrrev_b32_e32 v28, 30, v26
	v_add_u32_e32 v28, v26, v28
	v_and_b32_e32 v28, -4, v28
	v_sub_u32_e32 v28, v26, v28
	v_cmp_eq_u32_e64 s[2:3], v17, v28
	s_and_saveexec_b64 s[4:5], s[2:3]
	s_cbranch_execz .LBB138_8
; %bb.14:                               ;   in Loop: Header=BB138_10 Depth=1
	v_lshrrev_b32_e32 v27, 27, v27
	v_add_u32_e32 v27, v25, v27
	v_lshlrev_b32_e32 v26, 3, v26
	v_ashrrev_i32_e32 v27, 5, v27
	v_sub_u32_e32 v25, v25, v26
	v_lshl_add_u32 v25, v27, 3, v25
	v_cmp_ne_u32_e64 s[2:3], 7, v25
	v_cndmask_b32_e64 v15, v23, v15, s[2:3]
	v_cmp_ne_u32_e64 s[2:3], 6, v25
	v_cndmask_b32_e64 v14, v23, v14, s[2:3]
	;; [unrolled: 2-line block ×8, first 2 shown]
	s_branch .LBB138_8
.LBB138_15:
                                        ; implicit-def: $vgpr8_vgpr9_vgpr10_vgpr11_vgpr12_vgpr13_vgpr14_vgpr15
	s_andn2_b64 vcc, exec, s[6:7]
	s_cbranch_vccz .LBB138_5
	s_branch .LBB138_6
.LBB138_16:
	v_mov_b32_e32 v21, 0
.LBB138_17:
	v_cmp_eq_u32_e64 s[0:1], 0, v17
	s_and_b64 s[0:1], s[0:1], vcc
	s_and_b64 exec, exec, s[0:1]
	s_cbranch_execz .LBB138_26
; %bb.18:
	s_andn2_b64 vcc, exec, s[20:21]
	s_cbranch_vccnz .LBB138_26
; %bb.19:
	v_cmp_lt_f32_e32 vcc, 0, v21
	s_mov_b32 s2, 0
	v_cndmask_b32_e32 v0, 1.0, v21, vcc
	v_mul_lo_u32 v4, v16, s8
	s_cmp_eq_u32 s8, 1
	s_mov_b64 s[0:1], -1
	s_cbranch_scc1 .LBB138_23
; %bb.20:
	s_and_b32 s2, s8, 0x7ffffffe
	v_mov_b32_e32 v1, v0
	v_mov_b32_e32 v5, s17
	s_mov_b32 s3, s2
	v_mov_b32_e32 v2, v4
.LBB138_21:                             ; =>This Inner Loop Header: Depth=1
	v_ashrrev_i32_e32 v3, 31, v2
	v_lshlrev_b64 v[6:7], 2, v[2:3]
	v_add_co_u32_e32 v6, vcc, s16, v6
	v_addc_co_u32_e32 v7, vcc, v5, v7, vcc
	global_load_dwordx2 v[8:9], v[6:7], off
	s_add_i32 s3, s3, -2
	s_cmp_lg_u32 s3, 0
	v_add_u32_e32 v2, 2, v2
	s_waitcnt vmcnt(0)
	v_div_scale_f32 v3, s[0:1], v1, v1, v9
	v_div_scale_f32 v11, s[0:1], v0, v0, v8
	v_rcp_f32_e32 v12, v3
	v_rcp_f32_e32 v13, v11
	v_div_scale_f32 v10, vcc, v9, v1, v9
	v_fma_f32 v15, -v3, v12, 1.0
	v_fma_f32 v16, -v11, v13, 1.0
	v_fmac_f32_e32 v12, v15, v12
	v_div_scale_f32 v14, s[0:1], v8, v0, v8
	v_fmac_f32_e32 v13, v16, v13
	v_mul_f32_e32 v15, v10, v12
	v_mul_f32_e32 v16, v14, v13
	v_fma_f32 v17, -v3, v15, v10
	v_fma_f32 v18, -v11, v16, v14
	v_fmac_f32_e32 v15, v17, v12
	v_fmac_f32_e32 v16, v18, v13
	v_fma_f32 v3, -v3, v15, v10
	v_fma_f32 v10, -v11, v16, v14
	v_div_fmas_f32 v3, v3, v12, v15
	s_mov_b64 vcc, s[0:1]
	v_div_fixup_f32 v9, v3, v1, v9
	v_div_fmas_f32 v3, v10, v13, v16
	v_div_fixup_f32 v8, v3, v0, v8
	global_store_dwordx2 v[6:7], v[8:9], off
	s_cbranch_scc1 .LBB138_21
; %bb.22:
	s_cmp_lg_u32 s2, s8
	s_cselect_b64 s[0:1], -1, 0
.LBB138_23:
	s_and_b64 vcc, exec, s[0:1]
	s_cbranch_vccz .LBB138_26
; %bb.24:
	v_ashrrev_i32_e32 v1, 31, v4
	v_add_co_u32_e32 v2, vcc, s2, v4
	v_addc_co_u32_e32 v3, vcc, 0, v1, vcc
	v_lshlrev_b64 v[2:3], 2, v[2:3]
	v_mov_b32_e32 v1, s17
	v_add_co_u32_e32 v2, vcc, s16, v2
	s_sub_i32 s0, s8, s2
	v_addc_co_u32_e32 v3, vcc, v1, v3, vcc
.LBB138_25:                             ; =>This Inner Loop Header: Depth=1
	global_load_dword v1, v[2:3], off
	s_add_i32 s0, s0, -1
	s_cmp_lg_u32 s0, 0
	s_waitcnt vmcnt(0)
	v_div_scale_f32 v4, s[2:3], v0, v0, v1
	v_rcp_f32_e32 v5, v4
	v_div_scale_f32 v6, vcc, v1, v0, v1
	v_fma_f32 v7, -v4, v5, 1.0
	v_fmac_f32_e32 v5, v7, v5
	v_mul_f32_e32 v7, v6, v5
	v_fma_f32 v8, -v4, v7, v6
	v_fmac_f32_e32 v7, v8, v5
	v_fma_f32 v4, -v4, v7, v6
	v_div_fmas_f32 v4, v4, v5, v7
	v_div_fixup_f32 v1, v4, v0, v1
	global_store_dword v[2:3], v1, off
	v_add_co_u32_e32 v2, vcc, 4, v2
	v_addc_co_u32_e32 v3, vcc, 0, v3, vcc
	s_cbranch_scc1 .LBB138_25
.LBB138_26:
	s_endpgm
	.section	.rodata,"a",@progbits
	.p2align	6, 0x0
	.amdhsa_kernel _ZN4vllm3moe10topkGatingILi8ELi32ELi4ELi16ELi32Ei14__hip_bfloat16LNS0_11ScoringFuncE0EEEvPKT5_PKbPfiPT4_PiiiibPKf
		.amdhsa_group_segment_fixed_size 0
		.amdhsa_private_segment_fixed_size 0
		.amdhsa_kernarg_size 72
		.amdhsa_user_sgpr_count 6
		.amdhsa_user_sgpr_private_segment_buffer 1
		.amdhsa_user_sgpr_dispatch_ptr 0
		.amdhsa_user_sgpr_queue_ptr 0
		.amdhsa_user_sgpr_kernarg_segment_ptr 1
		.amdhsa_user_sgpr_dispatch_id 0
		.amdhsa_user_sgpr_flat_scratch_init 0
		.amdhsa_user_sgpr_kernarg_preload_length 0
		.amdhsa_user_sgpr_kernarg_preload_offset 0
		.amdhsa_user_sgpr_private_segment_size 0
		.amdhsa_uses_dynamic_stack 0
		.amdhsa_system_sgpr_private_segment_wavefront_offset 0
		.amdhsa_system_sgpr_workgroup_id_x 1
		.amdhsa_system_sgpr_workgroup_id_y 0
		.amdhsa_system_sgpr_workgroup_id_z 0
		.amdhsa_system_sgpr_workgroup_info 0
		.amdhsa_system_vgpr_workitem_id 1
		.amdhsa_next_free_vgpr 32
		.amdhsa_next_free_sgpr 24
		.amdhsa_accum_offset 32
		.amdhsa_reserve_vcc 1
		.amdhsa_reserve_flat_scratch 0
		.amdhsa_float_round_mode_32 0
		.amdhsa_float_round_mode_16_64 0
		.amdhsa_float_denorm_mode_32 3
		.amdhsa_float_denorm_mode_16_64 3
		.amdhsa_dx10_clamp 1
		.amdhsa_ieee_mode 1
		.amdhsa_fp16_overflow 0
		.amdhsa_tg_split 0
		.amdhsa_exception_fp_ieee_invalid_op 0
		.amdhsa_exception_fp_denorm_src 0
		.amdhsa_exception_fp_ieee_div_zero 0
		.amdhsa_exception_fp_ieee_overflow 0
		.amdhsa_exception_fp_ieee_underflow 0
		.amdhsa_exception_fp_ieee_inexact 0
		.amdhsa_exception_int_div_zero 0
	.end_amdhsa_kernel
	.section	.text._ZN4vllm3moe10topkGatingILi8ELi32ELi4ELi16ELi32Ei14__hip_bfloat16LNS0_11ScoringFuncE0EEEvPKT5_PKbPfiPT4_PiiiibPKf,"axG",@progbits,_ZN4vllm3moe10topkGatingILi8ELi32ELi4ELi16ELi32Ei14__hip_bfloat16LNS0_11ScoringFuncE0EEEvPKT5_PKbPfiPT4_PiiiibPKf,comdat
.Lfunc_end138:
	.size	_ZN4vllm3moe10topkGatingILi8ELi32ELi4ELi16ELi32Ei14__hip_bfloat16LNS0_11ScoringFuncE0EEEvPKT5_PKbPfiPT4_PiiiibPKf, .Lfunc_end138-_ZN4vllm3moe10topkGatingILi8ELi32ELi4ELi16ELi32Ei14__hip_bfloat16LNS0_11ScoringFuncE0EEEvPKT5_PKbPfiPT4_PiiiibPKf
                                        ; -- End function
	.section	.AMDGPU.csdata,"",@progbits
; Kernel info:
; codeLenInByte = 2752
; NumSgprs: 28
; NumVgprs: 32
; NumAgprs: 0
; TotalNumVgprs: 32
; ScratchSize: 0
; MemoryBound: 0
; FloatMode: 240
; IeeeMode: 1
; LDSByteSize: 0 bytes/workgroup (compile time only)
; SGPRBlocks: 3
; VGPRBlocks: 3
; NumSGPRsForWavesPerEU: 28
; NumVGPRsForWavesPerEU: 32
; AccumOffset: 32
; Occupancy: 8
; WaveLimiterHint : 0
; COMPUTE_PGM_RSRC2:SCRATCH_EN: 0
; COMPUTE_PGM_RSRC2:USER_SGPR: 6
; COMPUTE_PGM_RSRC2:TRAP_HANDLER: 0
; COMPUTE_PGM_RSRC2:TGID_X_EN: 1
; COMPUTE_PGM_RSRC2:TGID_Y_EN: 0
; COMPUTE_PGM_RSRC2:TGID_Z_EN: 0
; COMPUTE_PGM_RSRC2:TIDIG_COMP_CNT: 1
; COMPUTE_PGM_RSRC3_GFX90A:ACCUM_OFFSET: 7
; COMPUTE_PGM_RSRC3_GFX90A:TG_SPLIT: 0
	.section	.text._ZN4vllm3moe10topkGatingILi8ELi64ELi4ELi16ELi64Ei14__hip_bfloat16LNS0_11ScoringFuncE0EEEvPKT5_PKbPfiPT4_PiiiibPKf,"axG",@progbits,_ZN4vllm3moe10topkGatingILi8ELi64ELi4ELi16ELi64Ei14__hip_bfloat16LNS0_11ScoringFuncE0EEEvPKT5_PKbPfiPT4_PiiiibPKf,comdat
	.protected	_ZN4vllm3moe10topkGatingILi8ELi64ELi4ELi16ELi64Ei14__hip_bfloat16LNS0_11ScoringFuncE0EEEvPKT5_PKbPfiPT4_PiiiibPKf ; -- Begin function _ZN4vllm3moe10topkGatingILi8ELi64ELi4ELi16ELi64Ei14__hip_bfloat16LNS0_11ScoringFuncE0EEEvPKT5_PKbPfiPT4_PiiiibPKf
	.globl	_ZN4vllm3moe10topkGatingILi8ELi64ELi4ELi16ELi64Ei14__hip_bfloat16LNS0_11ScoringFuncE0EEEvPKT5_PKbPfiPT4_PiiiibPKf
	.p2align	8
	.type	_ZN4vllm3moe10topkGatingILi8ELi64ELi4ELi16ELi64Ei14__hip_bfloat16LNS0_11ScoringFuncE0EEEvPKT5_PKbPfiPT4_PiiiibPKf,@function
_ZN4vllm3moe10topkGatingILi8ELi64ELi4ELi16ELi64Ei14__hip_bfloat16LNS0_11ScoringFuncE0EEEvPKT5_PKbPfiPT4_PiiiibPKf: ; @_ZN4vllm3moe10topkGatingILi8ELi64ELi4ELi16ELi64Ei14__hip_bfloat16LNS0_11ScoringFuncE0EEEvPKT5_PKbPfiPT4_PiiiibPKf
; %bb.0:
	s_load_dword s24, s[4:5], 0x18
	v_bfe_u32 v1, v0, 10, 10
	v_and_b32_e32 v0, 0x3ff, v0
	s_lshl_b32 s0, s6, 5
	v_lshlrev_b32_e32 v1, 3, v1
	v_lshrrev_b32_e32 v2, 3, v0
	v_add3_u32 v17, s0, v1, v2
	s_waitcnt lgkmcnt(0)
	v_cmp_gt_i32_e32 vcc, s24, v17
	s_and_saveexec_b64 s[0:1], vcc
	s_cbranch_execz .LBB139_30
; %bb.1:
	s_load_dwordx4 s[0:3], s[4:5], 0x0
	s_load_dwordx2 s[16:17], s[4:5], 0x10
	s_mov_b64 s[6:7], -1
	s_mov_b64 s[18:19], -1
	s_waitcnt lgkmcnt(0)
	s_cmp_eq_u64 s[2:3], 0
	s_cbranch_scc1 .LBB139_3
; %bb.2:
	v_ashrrev_i32_e32 v1, 31, v17
	v_mov_b32_e32 v3, s3
	v_add_co_u32_e32 v2, vcc, s2, v17
	v_addc_co_u32_e32 v3, vcc, v3, v1, vcc
	global_load_ubyte v1, v[2:3], off
	s_waitcnt vmcnt(0)
	v_and_b32_e32 v1, 1, v1
	v_cmp_eq_u32_e32 vcc, 1, v1
	s_xor_b64 s[2:3], vcc, -1
	s_orn2_b64 s[18:19], s[2:3], exec
.LBB139_3:
	v_lshlrev_b32_e32 v2, 6, v17
	v_ashrrev_i32_e32 v3, 31, v2
	v_lshlrev_b64 v[2:3], 1, v[2:3]
	v_mov_b32_e32 v1, s1
	v_add_co_u32_e32 v2, vcc, s0, v2
	v_and_b32_e32 v21, 7, v0
	v_addc_co_u32_e32 v1, vcc, v1, v3, vcc
	v_lshlrev_b32_e32 v0, 4, v21
	v_add_co_u32_e32 v0, vcc, v2, v0
	v_addc_co_u32_e32 v1, vcc, 0, v1, vcc
	global_load_dwordx4 v[0:3], v[0:1], off
	v_mbcnt_lo_u32_b32 v4, -1, 0
	v_mbcnt_hi_u32_b32 v6, -1, v4
	v_and_b32_e32 v4, 0x78, v6
	v_xor_b32_e32 v5, 4, v6
	v_add_u32_e32 v7, 8, v4
	v_cmp_lt_i32_e32 vcc, v5, v7
	v_cndmask_b32_e32 v4, v6, v5, vcc
	v_lshlrev_b32_e32 v22, 2, v4
	v_xor_b32_e32 v12, 2, v6
	v_cmp_lt_i32_e32 vcc, v12, v7
	v_cndmask_b32_e32 v12, v6, v12, vcc
	v_lshlrev_b32_e32 v23, 2, v12
	v_xor_b32_e32 v12, 1, v6
	v_cmp_lt_i32_e32 vcc, v12, v7
	v_cndmask_b32_e32 v6, v6, v12, vcc
	v_lshlrev_b32_e32 v24, 2, v6
	s_mov_b32 s0, 0x3fb8aa3b
	s_mov_b32 s1, 0xc2ce8ed0
	;; [unrolled: 1-line block ×3, first 2 shown]
	s_waitcnt vmcnt(0)
	v_lshlrev_b32_e32 v8, 16, v1
	v_and_b32_e32 v4, 0xffff0000, v1
	v_and_b32_e32 v1, 0xffff0000, v0
	v_lshlrev_b32_e32 v0, 16, v0
	v_max_f32_e32 v10, v1, v1
	v_max_f32_e32 v11, v0, v0
	;; [unrolled: 1-line block ×3, first 2 shown]
	v_lshlrev_b32_e32 v5, 16, v2
	v_and_b32_e32 v2, 0xffff0000, v2
	v_max3_f32 v10, v10, v8, v4
	v_and_b32_e32 v9, 0xffff0000, v3
	v_lshlrev_b32_e32 v3, 16, v3
	v_max3_f32 v10, v10, v5, v2
	v_max3_f32 v10, v10, v3, v9
	ds_bpermute_b32 v11, v22, v10
	s_waitcnt lgkmcnt(0)
	v_max_f32_e32 v11, v11, v11
	v_max_f32_e32 v10, v10, v11
	ds_bpermute_b32 v11, v23, v10
	s_waitcnt lgkmcnt(0)
	v_max_f32_e32 v6, v11, v11
	v_max_f32_e32 v6, v10, v6
	ds_bpermute_b32 v7, v24, v6
	v_mov_b32_e32 v10, 0x7f800000
	s_waitcnt lgkmcnt(0)
	v_max_f32_e32 v7, v7, v7
	v_max_f32_e32 v6, v6, v7
	v_pk_add_f32 v[0:1], v[0:1], v[6:7] op_sel_hi:[1,0] neg_lo:[0,1] neg_hi:[0,1]
	v_sub_f32_e32 v7, v8, v6
	v_mul_f32_e32 v8, 0x3fb8aa3b, v1
	v_mul_f32_e32 v11, 0x3fb8aa3b, v0
	v_fma_f32 v15, v1, s0, -v8
	v_rndne_f32_e32 v16, v8
	v_pk_add_f32 v[4:5], v[4:5], v[6:7] op_sel_hi:[1,0] neg_lo:[0,1] neg_hi:[0,1]
	v_mul_f32_e32 v12, 0x3fb8aa3b, v7
	v_fma_f32 v18, v0, s0, -v11
	v_rndne_f32_e32 v19, v11
	v_fmac_f32_e32 v15, 0x32a5705f, v1
	v_sub_f32_e32 v8, v8, v16
	v_mul_f32_e32 v13, 0x3fb8aa3b, v5
	v_fma_f32 v20, v7, s0, -v12
	v_rndne_f32_e32 v25, v12
	v_fmac_f32_e32 v18, 0x32a5705f, v0
	v_sub_f32_e32 v11, v11, v19
	v_add_f32_e32 v8, v8, v15
	v_mul_f32_e32 v14, 0x3fb8aa3b, v4
	v_fma_f32 v26, v5, s0, -v13
	v_rndne_f32_e32 v27, v13
	v_cvt_i32_f32_e32 v16, v16
	v_fmac_f32_e32 v20, 0x32a5705f, v7
	v_sub_f32_e32 v12, v12, v25
	v_add_f32_e32 v11, v11, v18
	v_exp_f32_e32 v8, v8
	v_fma_f32 v28, v4, s0, -v14
	v_rndne_f32_e32 v29, v14
	v_cvt_i32_f32_e32 v19, v19
	v_fmac_f32_e32 v26, 0x32a5705f, v5
	v_sub_f32_e32 v13, v13, v27
	v_add_f32_e32 v12, v12, v20
	v_exp_f32_e32 v11, v11
	v_cvt_i32_f32_e32 v25, v25
	v_fmac_f32_e32 v28, 0x32a5705f, v4
	v_sub_f32_e32 v14, v14, v29
	v_add_f32_e32 v13, v13, v26
	v_exp_f32_e32 v12, v12
	v_cvt_i32_f32_e32 v27, v27
	v_add_f32_e32 v14, v14, v28
	v_exp_f32_e32 v13, v13
	v_cvt_i32_f32_e32 v29, v29
	v_exp_f32_e32 v14, v14
	v_ldexp_f32 v8, v8, v16
	v_cmp_ngt_f32_e32 vcc, s1, v1
	v_ldexp_f32 v11, v11, v19
	v_cndmask_b32_e32 v8, 0, v8, vcc
	v_cmp_ngt_f32_e32 vcc, s1, v0
	v_ldexp_f32 v12, v12, v25
	v_cndmask_b32_e32 v11, 0, v11, vcc
	;; [unrolled: 3-line block ×4, first 2 shown]
	v_cmp_ngt_f32_e32 vcc, s1, v4
	v_cndmask_b32_e32 v14, 0, v14, vcc
	v_cmp_nlt_f32_e32 vcc, s2, v1
	v_cndmask_b32_e32 v8, v10, v8, vcc
	v_cmp_nlt_f32_e32 vcc, s2, v0
	;; [unrolled: 2-line block ×3, first 2 shown]
	v_cndmask_b32_e32 v7, v10, v12, vcc
	v_add_f32_e32 v0, v11, v8
	v_pk_add_f32 v[2:3], v[2:3], v[6:7] op_sel_hi:[1,0] neg_lo:[0,1] neg_hi:[0,1]
	v_cmp_nlt_f32_e32 vcc, s2, v5
	v_add_f32_e32 v5, v0, v7
	v_mul_f32_e32 v0, 0x3fb8aa3b, v3
	v_cndmask_b32_e32 v1, v10, v13, vcc
	v_fma_f32 v12, v3, s0, -v0
	v_rndne_f32_e32 v13, v0
	v_fmac_f32_e32 v12, 0x32a5705f, v3
	v_sub_f32_e32 v0, v0, v13
	v_add_f32_e32 v0, v0, v12
	v_exp_f32_e32 v12, v0
	v_cvt_i32_f32_e32 v13, v13
	v_cmp_nlt_f32_e32 vcc, s2, v4
	v_cndmask_b32_e32 v0, v10, v14, vcc
	v_add_f32_e32 v4, v5, v0
	v_ldexp_f32 v5, v12, v13
	v_mul_f32_e32 v12, 0x3fb8aa3b, v2
	v_fma_f32 v13, v2, s0, -v12
	v_rndne_f32_e32 v14, v12
	v_fmac_f32_e32 v13, 0x32a5705f, v2
	v_sub_f32_e32 v12, v12, v14
	v_add_f32_e32 v12, v12, v13
	v_exp_f32_e32 v12, v12
	v_cvt_i32_f32_e32 v13, v14
	v_cmp_ngt_f32_e32 vcc, s1, v3
	v_sub_f32_e32 v6, v9, v6
	v_cndmask_b32_e32 v5, 0, v5, vcc
	v_cmp_nlt_f32_e32 vcc, s2, v3
	v_mul_f32_e32 v9, 0x3fb8aa3b, v6
	v_cndmask_b32_e32 v3, v10, v5, vcc
	v_ldexp_f32 v5, v12, v13
	v_fma_f32 v12, v6, s0, -v9
	v_rndne_f32_e32 v13, v9
	v_fmac_f32_e32 v12, 0x32a5705f, v6
	v_sub_f32_e32 v9, v9, v13
	v_add_f32_e32 v9, v9, v12
	v_exp_f32_e32 v9, v9
	v_cvt_i32_f32_e32 v12, v13
	v_cmp_ngt_f32_e32 vcc, s1, v2
	v_cndmask_b32_e32 v5, 0, v5, vcc
	v_cmp_nlt_f32_e32 vcc, s2, v2
	v_add_f32_e32 v4, v4, v1
	v_cndmask_b32_e32 v2, v10, v5, vcc
	v_ldexp_f32 v5, v9, v12
	v_cmp_ngt_f32_e32 vcc, s1, v6
	v_add_f32_e32 v4, v4, v2
	v_cndmask_b32_e32 v5, 0, v5, vcc
	v_cmp_nlt_f32_e32 vcc, s2, v6
	v_add_f32_e32 v4, v4, v3
	v_cndmask_b32_e32 v5, v10, v5, vcc
	v_add_f32_e32 v4, v4, v5
	ds_bpermute_b32 v6, v22, v4
	s_movk_i32 s2, 0x1f8
	v_lshlrev_b32_e32 v25, 3, v21
	s_waitcnt lgkmcnt(0)
	v_add_f32_e32 v4, v4, v6
	ds_bpermute_b32 v6, v23, v4
	s_waitcnt lgkmcnt(0)
	v_add_f32_e32 v4, v4, v6
	ds_bpermute_b32 v6, v24, v4
	s_waitcnt lgkmcnt(0)
	v_add_f32_e32 v4, v4, v6
	v_div_scale_f32 v6, s[0:1], v4, v4, 1.0
	v_rcp_f32_e32 v9, v6
	s_load_dwordx2 s[0:1], s[4:5], 0x40
	v_fma_f32 v10, -v6, v9, 1.0
	v_fmac_f32_e32 v9, v10, v9
	v_div_scale_f32 v10, vcc, 1.0, v4, 1.0
	v_mul_f32_e32 v12, v10, v9
	v_fma_f32 v13, -v6, v12, v10
	v_fmac_f32_e32 v12, v13, v9
	v_fma_f32 v6, -v6, v12, v10
	v_div_fmas_f32 v6, v6, v9, v12
	v_div_fixup_f32 v4, v6, v4, 1.0
	v_mul_f32_e32 v10, v4, v11
	v_mul_f32_e32 v11, v4, v8
	v_cmp_class_f32_e64 vcc, v10, s2
	v_mul_f32_e32 v12, v4, v7
	v_pk_mul_f32 v[6:7], v[4:5], v[0:1] op_sel_hi:[0,1]
	v_cndmask_b32_e32 v0, 0, v10, vcc
	v_cmp_class_f32_e64 vcc, v11, s2
	v_pk_mul_f32 v[8:9], v[4:5], v[2:3] op_sel_hi:[0,1]
	v_mul_f32_e32 v13, v4, v5
	v_cndmask_b32_e32 v1, 0, v11, vcc
	v_cmp_class_f32_e64 vcc, v12, s2
	v_mov_b32_e32 v5, 0x207
	v_cndmask_b32_e32 v2, 0, v12, vcc
	v_cmp_class_f32_e32 vcc, v7, v5
	v_cndmask_b32_e64 v4, v7, 0, vcc
	v_cmp_class_f32_e32 vcc, v6, v5
	v_cndmask_b32_e64 v3, v6, 0, vcc
	;; [unrolled: 2-line block ×4, first 2 shown]
	v_cmp_class_f32_e64 vcc, v13, s2
	s_waitcnt lgkmcnt(0)
	s_cmp_eq_u64 s[0:1], 0
	v_cndmask_b32_e32 v7, 0, v13, vcc
	s_cbranch_scc1 .LBB139_19
; %bb.4:
	v_lshlrev_b32_e32 v16, 2, v25
	global_load_dwordx4 v[8:11], v16, s[0:1]
	global_load_dwordx4 v[12:15], v16, s[0:1] offset:16
	s_waitcnt vmcnt(1)
	v_pk_add_f32 v[8:9], v[8:9], v[0:1]
	v_pk_add_f32 v[10:11], v[10:11], v[2:3]
	s_waitcnt vmcnt(0)
	v_pk_add_f32 v[12:13], v[12:13], v[4:5]
	v_pk_add_f32 v[14:15], v[14:15], v[6:7]
	s_cbranch_execnz .LBB139_6
.LBB139_5:
	v_pk_mov_b32 v[14:15], v[6:7], v[6:7] op_sel:[0,1]
	v_pk_mov_b32 v[12:13], v[4:5], v[4:5] op_sel:[0,1]
	;; [unrolled: 1-line block ×4, first 2 shown]
.LBB139_6:
	s_load_dwordx4 s[8:11], s[4:5], 0x30
	s_mov_b32 s25, 0
	v_cmp_eq_u32_e64 s[0:1], 0, v21
	s_waitcnt lgkmcnt(0)
	s_bitcmp1_b32 s11, 0
	s_cselect_b64 vcc, -1, 0
	s_cmp_gt_i32 s8, 0
	s_cselect_b64 s[20:21], -1, 0
	s_cmp_lt_i32 s8, 1
	s_cbranch_scc1 .LBB139_20
; %bb.7:
	s_load_dwordx4 s[12:15], s[4:5], 0x20
	v_mul_lo_u32 v27, v17, s8
	v_mov_b32_e32 v26, 0
	v_mov_b32_e32 v28, 0xc61c4000
	;; [unrolled: 1-line block ×3, first 2 shown]
	s_branch .LBB139_10
.LBB139_8:                              ;   in Loop: Header=BB139_10 Depth=1
	s_or_b64 exec, exec, s[4:5]
.LBB139_9:                              ;   in Loop: Header=BB139_10 Depth=1
	s_cmp_eq_u32 s8, s25
	v_add_u32_e32 v29, s24, v29
	s_cbranch_scc1 .LBB139_21
.LBB139_10:                             ; =>This Inner Loop Header: Depth=1
	v_cmp_gt_f32_e64 s[2:3], v9, v8
	v_cndmask_b32_e64 v16, v8, v9, s[2:3]
	v_cndmask_b32_e64 v18, v0, v1, s[2:3]
	s_waitcnt lgkmcnt(0)
	v_cndmask_b32_e64 v19, 0, 1, s[2:3]
	v_cmp_gt_f32_e64 s[2:3], v10, v16
	v_cndmask_b32_e64 v16, v16, v10, s[2:3]
	v_cndmask_b32_e64 v18, v18, v2, s[2:3]
	v_cndmask_b32_e64 v19, v19, 2, s[2:3]
	v_cmp_gt_f32_e64 s[2:3], v11, v16
	v_cndmask_b32_e64 v16, v16, v11, s[2:3]
	v_cndmask_b32_e64 v18, v18, v3, s[2:3]
	v_cndmask_b32_e64 v19, v19, 3, s[2:3]
	v_cmp_gt_f32_e64 s[2:3], v12, v16
	v_cndmask_b32_e64 v16, v16, v12, s[2:3]
	v_cndmask_b32_e64 v18, v18, v4, s[2:3]
	v_cndmask_b32_e64 v19, v19, 4, s[2:3]
	v_cmp_gt_f32_e64 s[2:3], v13, v16
	v_cndmask_b32_e64 v16, v16, v13, s[2:3]
	v_cndmask_b32_e64 v18, v18, v5, s[2:3]
	v_cndmask_b32_e64 v19, v19, 5, s[2:3]
	v_cmp_gt_f32_e64 s[2:3], v14, v16
	v_cndmask_b32_e64 v16, v16, v14, s[2:3]
	v_cndmask_b32_e64 v18, v18, v6, s[2:3]
	v_cndmask_b32_e64 v19, v19, 6, s[2:3]
	v_cmp_gt_f32_e64 s[2:3], v15, v16
	v_cndmask_b32_e64 v19, v19, 7, s[2:3]
	v_cndmask_b32_e64 v16, v16, v15, s[2:3]
	v_or_b32_e32 v19, v25, v19
	ds_bpermute_b32 v20, v22, v16
	ds_bpermute_b32 v30, v22, v19
	v_cndmask_b32_e64 v18, v18, v7, s[2:3]
	ds_bpermute_b32 v32, v22, v18
	s_waitcnt lgkmcnt(0)
	v_cmp_eq_f32_e64 s[4:5], v16, v20
	v_cmp_lt_i32_e64 s[6:7], v30, v19
	v_cmp_lt_f32_e64 s[2:3], v16, v20
	s_and_b64 s[4:5], s[4:5], s[6:7]
	s_or_b64 s[2:3], s[2:3], s[4:5]
	v_cndmask_b32_e64 v31, v16, v20, s[2:3]
	v_cndmask_b32_e64 v30, v19, v30, s[2:3]
	;; [unrolled: 1-line block ×3, first 2 shown]
	ds_bpermute_b32 v33, v23, v31
	ds_bpermute_b32 v20, v23, v16
	;; [unrolled: 1-line block ×3, first 2 shown]
                                        ; implicit-def: $vgpr18_vgpr19
	s_waitcnt lgkmcnt(2)
	v_cmp_lt_f32_e64 s[6:7], v31, v33
	v_cmp_nlt_f32_e64 s[2:3], v31, v33
	s_and_saveexec_b64 s[22:23], s[2:3]
	s_cbranch_execz .LBB139_12
; %bb.11:                               ;   in Loop: Header=BB139_10 Depth=1
	v_cmp_eq_f32_e64 s[2:3], v31, v33
	s_waitcnt lgkmcnt(0)
	v_cmp_lt_i32_e64 s[4:5], v32, v30
	s_and_b64 s[2:3], s[2:3], s[4:5]
	s_andn2_b64 s[4:5], s[6:7], exec
	s_and_b64 s[2:3], s[2:3], exec
	s_or_b64 s[6:7], s[4:5], s[2:3]
	v_pk_mov_b32 v[18:19], v[16:17], v[16:17] op_sel:[0,1]
.LBB139_12:                             ;   in Loop: Header=BB139_10 Depth=1
	s_or_b64 exec, exec, s[22:23]
	s_and_saveexec_b64 s[2:3], s[6:7]
	s_cbranch_execz .LBB139_14
; %bb.13:                               ;   in Loop: Header=BB139_10 Depth=1
	v_mov_b32_e32 v31, v33
	s_waitcnt lgkmcnt(1)
	v_mov_b32_e32 v16, v20
	s_waitcnt lgkmcnt(0)
	v_mov_b32_e32 v30, v32
	v_pk_mov_b32 v[18:19], v[20:21], v[20:21] op_sel:[0,1]
.LBB139_14:                             ;   in Loop: Header=BB139_10 Depth=1
	s_or_b64 exec, exec, s[2:3]
	s_waitcnt lgkmcnt(1)
	ds_bpermute_b32 v20, v24, v31
	s_waitcnt lgkmcnt(1)
	ds_bpermute_b32 v32, v24, v30
	ds_bpermute_b32 v19, v24, v16
	s_waitcnt lgkmcnt(2)
	v_cmp_eq_f32_e64 s[4:5], v31, v20
	s_waitcnt lgkmcnt(1)
	v_cmp_lt_i32_e64 s[6:7], v32, v30
	v_cmp_lt_f32_e64 s[2:3], v31, v20
	s_and_b64 s[4:5], s[4:5], s[6:7]
	s_or_b64 s[2:3], s[2:3], s[4:5]
	v_cndmask_b32_e64 v16, v30, v32, s[2:3]
	s_and_saveexec_b64 s[6:7], s[0:1]
	s_cbranch_execnz .LBB139_16
; %bb.15:                               ;   in Loop: Header=BB139_10 Depth=1
	s_or_b64 exec, exec, s[6:7]
	s_add_i32 s25, s25, 1
	s_cmp_ge_i32 s25, s8
	s_cbranch_scc1 .LBB139_9
	s_branch .LBB139_17
.LBB139_16:                             ;   in Loop: Header=BB139_10 Depth=1
	s_waitcnt lgkmcnt(0)
	v_cndmask_b32_e64 v20, v18, v19, s[2:3]
	v_add_u32_e32 v18, s25, v27
	v_ashrrev_i32_e32 v19, 31, v18
	v_cmp_le_i32_e64 s[2:3], s9, v16
	v_cmp_gt_i32_e64 s[4:5], s10, v16
	v_lshlrev_b64 v[18:19], 2, v[18:19]
	s_and_b64 s[4:5], s[2:3], s[4:5]
	v_mov_b32_e32 v31, s17
	v_add_co_u32_e64 v30, s[2:3], s16, v18
	v_addc_co_u32_e64 v31, s[2:3], v31, v19, s[2:3]
	global_store_dword v[30:31], v20, off
	v_subrev_u32_e32 v30, s9, v16
	s_and_b64 s[2:3], s[18:19], s[4:5]
	v_cndmask_b32_e64 v32, 64, v30, s[2:3]
	v_mov_b32_e32 v31, s13
	v_add_co_u32_e64 v30, s[2:3], s12, v18
	v_addc_co_u32_e64 v31, s[2:3], v31, v19, s[2:3]
	global_store_dword v[30:31], v32, off
	v_mov_b32_e32 v30, s15
	v_add_co_u32_e64 v18, s[2:3], s14, v18
	v_addc_co_u32_e64 v19, s[2:3], v30, v19, s[2:3]
	global_store_dword v[18:19], v29, off
	v_add_f32_e32 v18, v26, v20
	v_cndmask_b32_e32 v26, v26, v18, vcc
	s_or_b64 exec, exec, s[6:7]
	s_add_i32 s25, s25, 1
	s_cmp_ge_i32 s25, s8
	s_cbranch_scc1 .LBB139_9
.LBB139_17:                             ;   in Loop: Header=BB139_10 Depth=1
	s_waitcnt lgkmcnt(0)
	v_ashrrev_i32_e32 v19, 31, v16
	v_lshrrev_b32_e32 v18, 29, v19
	v_add_u32_e32 v18, v16, v18
	v_ashrrev_i32_e32 v18, 3, v18
	v_lshrrev_b32_e32 v20, 29, v18
	v_add_u32_e32 v20, v18, v20
	v_and_b32_e32 v20, -8, v20
	v_sub_u32_e32 v20, v18, v20
	v_cmp_eq_u32_e64 s[2:3], v21, v20
	s_and_saveexec_b64 s[4:5], s[2:3]
	s_cbranch_execz .LBB139_8
; %bb.18:                               ;   in Loop: Header=BB139_10 Depth=1
	v_lshrrev_b32_e32 v19, 26, v19
	v_add_u32_e32 v19, v16, v19
	v_lshlrev_b32_e32 v18, 3, v18
	v_ashrrev_i32_e32 v19, 6, v19
	v_sub_u32_e32 v16, v16, v18
	v_lshl_add_u32 v16, v19, 3, v16
	v_cmp_ne_u32_e64 s[2:3], 7, v16
	v_cndmask_b32_e64 v15, v28, v15, s[2:3]
	v_cmp_ne_u32_e64 s[2:3], 6, v16
	v_cndmask_b32_e64 v14, v28, v14, s[2:3]
	;; [unrolled: 2-line block ×8, first 2 shown]
	s_branch .LBB139_8
.LBB139_19:
                                        ; implicit-def: $vgpr8_vgpr9_vgpr10_vgpr11_vgpr12_vgpr13_vgpr14_vgpr15
	s_andn2_b64 vcc, exec, s[6:7]
	s_cbranch_vccz .LBB139_5
	s_branch .LBB139_6
.LBB139_20:
	v_mov_b32_e32 v26, 0
.LBB139_21:
	v_cmp_eq_u32_e64 s[0:1], 0, v21
	s_and_b64 s[0:1], s[0:1], vcc
	s_and_b64 exec, exec, s[0:1]
	s_cbranch_execz .LBB139_30
; %bb.22:
	s_andn2_b64 vcc, exec, s[20:21]
	s_cbranch_vccnz .LBB139_30
; %bb.23:
	v_cmp_lt_f32_e32 vcc, 0, v26
	s_mov_b32 s2, 0
	v_cndmask_b32_e32 v0, 1.0, v26, vcc
	v_mul_lo_u32 v4, v17, s8
	s_cmp_eq_u32 s8, 1
	s_mov_b64 s[0:1], -1
	s_cbranch_scc1 .LBB139_27
; %bb.24:
	s_and_b32 s2, s8, 0x7ffffffe
	v_mov_b32_e32 v1, v0
	v_mov_b32_e32 v5, s17
	s_mov_b32 s3, s2
	v_mov_b32_e32 v2, v4
.LBB139_25:                             ; =>This Inner Loop Header: Depth=1
	v_ashrrev_i32_e32 v3, 31, v2
	v_lshlrev_b64 v[6:7], 2, v[2:3]
	v_add_co_u32_e32 v6, vcc, s16, v6
	v_addc_co_u32_e32 v7, vcc, v5, v7, vcc
	global_load_dwordx2 v[8:9], v[6:7], off
	s_add_i32 s3, s3, -2
	s_cmp_lg_u32 s3, 0
	v_add_u32_e32 v2, 2, v2
	s_waitcnt vmcnt(0)
	v_div_scale_f32 v3, s[0:1], v1, v1, v9
	v_div_scale_f32 v11, s[0:1], v0, v0, v8
	v_rcp_f32_e32 v12, v3
	v_rcp_f32_e32 v13, v11
	v_div_scale_f32 v10, vcc, v9, v1, v9
	v_fma_f32 v15, -v3, v12, 1.0
	v_fma_f32 v16, -v11, v13, 1.0
	v_fmac_f32_e32 v12, v15, v12
	v_div_scale_f32 v14, s[0:1], v8, v0, v8
	v_fmac_f32_e32 v13, v16, v13
	v_mul_f32_e32 v15, v10, v12
	v_mul_f32_e32 v16, v14, v13
	v_fma_f32 v17, -v3, v15, v10
	v_fma_f32 v18, -v11, v16, v14
	v_fmac_f32_e32 v15, v17, v12
	v_fmac_f32_e32 v16, v18, v13
	v_fma_f32 v3, -v3, v15, v10
	v_fma_f32 v10, -v11, v16, v14
	v_div_fmas_f32 v3, v3, v12, v15
	s_mov_b64 vcc, s[0:1]
	v_div_fixup_f32 v9, v3, v1, v9
	v_div_fmas_f32 v3, v10, v13, v16
	v_div_fixup_f32 v8, v3, v0, v8
	global_store_dwordx2 v[6:7], v[8:9], off
	s_cbranch_scc1 .LBB139_25
; %bb.26:
	s_cmp_lg_u32 s2, s8
	s_cselect_b64 s[0:1], -1, 0
.LBB139_27:
	s_and_b64 vcc, exec, s[0:1]
	s_cbranch_vccz .LBB139_30
; %bb.28:
	v_ashrrev_i32_e32 v1, 31, v4
	v_add_co_u32_e32 v2, vcc, s2, v4
	v_addc_co_u32_e32 v3, vcc, 0, v1, vcc
	v_lshlrev_b64 v[2:3], 2, v[2:3]
	v_mov_b32_e32 v1, s17
	v_add_co_u32_e32 v2, vcc, s16, v2
	s_sub_i32 s0, s8, s2
	v_addc_co_u32_e32 v3, vcc, v1, v3, vcc
.LBB139_29:                             ; =>This Inner Loop Header: Depth=1
	global_load_dword v1, v[2:3], off
	s_add_i32 s0, s0, -1
	s_cmp_lg_u32 s0, 0
	s_waitcnt vmcnt(0)
	v_div_scale_f32 v4, s[2:3], v0, v0, v1
	v_rcp_f32_e32 v5, v4
	v_div_scale_f32 v6, vcc, v1, v0, v1
	v_fma_f32 v7, -v4, v5, 1.0
	v_fmac_f32_e32 v5, v7, v5
	v_mul_f32_e32 v7, v6, v5
	v_fma_f32 v8, -v4, v7, v6
	v_fmac_f32_e32 v7, v8, v5
	v_fma_f32 v4, -v4, v7, v6
	v_div_fmas_f32 v4, v4, v5, v7
	v_div_fixup_f32 v1, v4, v0, v1
	global_store_dword v[2:3], v1, off
	v_add_co_u32_e32 v2, vcc, 4, v2
	v_addc_co_u32_e32 v3, vcc, 0, v3, vcc
	s_cbranch_scc1 .LBB139_29
.LBB139_30:
	s_endpgm
	.section	.rodata,"a",@progbits
	.p2align	6, 0x0
	.amdhsa_kernel _ZN4vllm3moe10topkGatingILi8ELi64ELi4ELi16ELi64Ei14__hip_bfloat16LNS0_11ScoringFuncE0EEEvPKT5_PKbPfiPT4_PiiiibPKf
		.amdhsa_group_segment_fixed_size 0
		.amdhsa_private_segment_fixed_size 0
		.amdhsa_kernarg_size 72
		.amdhsa_user_sgpr_count 6
		.amdhsa_user_sgpr_private_segment_buffer 1
		.amdhsa_user_sgpr_dispatch_ptr 0
		.amdhsa_user_sgpr_queue_ptr 0
		.amdhsa_user_sgpr_kernarg_segment_ptr 1
		.amdhsa_user_sgpr_dispatch_id 0
		.amdhsa_user_sgpr_flat_scratch_init 0
		.amdhsa_user_sgpr_kernarg_preload_length 0
		.amdhsa_user_sgpr_kernarg_preload_offset 0
		.amdhsa_user_sgpr_private_segment_size 0
		.amdhsa_uses_dynamic_stack 0
		.amdhsa_system_sgpr_private_segment_wavefront_offset 0
		.amdhsa_system_sgpr_workgroup_id_x 1
		.amdhsa_system_sgpr_workgroup_id_y 0
		.amdhsa_system_sgpr_workgroup_id_z 0
		.amdhsa_system_sgpr_workgroup_info 0
		.amdhsa_system_vgpr_workitem_id 1
		.amdhsa_next_free_vgpr 34
		.amdhsa_next_free_sgpr 26
		.amdhsa_accum_offset 36
		.amdhsa_reserve_vcc 1
		.amdhsa_reserve_flat_scratch 0
		.amdhsa_float_round_mode_32 0
		.amdhsa_float_round_mode_16_64 0
		.amdhsa_float_denorm_mode_32 3
		.amdhsa_float_denorm_mode_16_64 3
		.amdhsa_dx10_clamp 1
		.amdhsa_ieee_mode 1
		.amdhsa_fp16_overflow 0
		.amdhsa_tg_split 0
		.amdhsa_exception_fp_ieee_invalid_op 0
		.amdhsa_exception_fp_denorm_src 0
		.amdhsa_exception_fp_ieee_div_zero 0
		.amdhsa_exception_fp_ieee_overflow 0
		.amdhsa_exception_fp_ieee_underflow 0
		.amdhsa_exception_fp_ieee_inexact 0
		.amdhsa_exception_int_div_zero 0
	.end_amdhsa_kernel
	.section	.text._ZN4vllm3moe10topkGatingILi8ELi64ELi4ELi16ELi64Ei14__hip_bfloat16LNS0_11ScoringFuncE0EEEvPKT5_PKbPfiPT4_PiiiibPKf,"axG",@progbits,_ZN4vllm3moe10topkGatingILi8ELi64ELi4ELi16ELi64Ei14__hip_bfloat16LNS0_11ScoringFuncE0EEEvPKT5_PKbPfiPT4_PiiiibPKf,comdat
.Lfunc_end139:
	.size	_ZN4vllm3moe10topkGatingILi8ELi64ELi4ELi16ELi64Ei14__hip_bfloat16LNS0_11ScoringFuncE0EEEvPKT5_PKbPfiPT4_PiiiibPKf, .Lfunc_end139-_ZN4vllm3moe10topkGatingILi8ELi64ELi4ELi16ELi64Ei14__hip_bfloat16LNS0_11ScoringFuncE0EEEvPKT5_PKbPfiPT4_PiiiibPKf
                                        ; -- End function
	.section	.AMDGPU.csdata,"",@progbits
; Kernel info:
; codeLenInByte = 2952
; NumSgprs: 30
; NumVgprs: 34
; NumAgprs: 0
; TotalNumVgprs: 34
; ScratchSize: 0
; MemoryBound: 0
; FloatMode: 240
; IeeeMode: 1
; LDSByteSize: 0 bytes/workgroup (compile time only)
; SGPRBlocks: 3
; VGPRBlocks: 4
; NumSGPRsForWavesPerEU: 30
; NumVGPRsForWavesPerEU: 34
; AccumOffset: 36
; Occupancy: 8
; WaveLimiterHint : 0
; COMPUTE_PGM_RSRC2:SCRATCH_EN: 0
; COMPUTE_PGM_RSRC2:USER_SGPR: 6
; COMPUTE_PGM_RSRC2:TRAP_HANDLER: 0
; COMPUTE_PGM_RSRC2:TGID_X_EN: 1
; COMPUTE_PGM_RSRC2:TGID_Y_EN: 0
; COMPUTE_PGM_RSRC2:TGID_Z_EN: 0
; COMPUTE_PGM_RSRC2:TIDIG_COMP_CNT: 1
; COMPUTE_PGM_RSRC3_GFX90A:ACCUM_OFFSET: 8
; COMPUTE_PGM_RSRC3_GFX90A:TG_SPLIT: 0
	.section	.text._ZN4vllm3moe10topkGatingILi8ELi64ELi4ELi16ELi32Ei14__hip_bfloat16LNS0_11ScoringFuncE0EEEvPKT5_PKbPfiPT4_PiiiibPKf,"axG",@progbits,_ZN4vllm3moe10topkGatingILi8ELi64ELi4ELi16ELi32Ei14__hip_bfloat16LNS0_11ScoringFuncE0EEEvPKT5_PKbPfiPT4_PiiiibPKf,comdat
	.protected	_ZN4vllm3moe10topkGatingILi8ELi64ELi4ELi16ELi32Ei14__hip_bfloat16LNS0_11ScoringFuncE0EEEvPKT5_PKbPfiPT4_PiiiibPKf ; -- Begin function _ZN4vllm3moe10topkGatingILi8ELi64ELi4ELi16ELi32Ei14__hip_bfloat16LNS0_11ScoringFuncE0EEEvPKT5_PKbPfiPT4_PiiiibPKf
	.globl	_ZN4vllm3moe10topkGatingILi8ELi64ELi4ELi16ELi32Ei14__hip_bfloat16LNS0_11ScoringFuncE0EEEvPKT5_PKbPfiPT4_PiiiibPKf
	.p2align	8
	.type	_ZN4vllm3moe10topkGatingILi8ELi64ELi4ELi16ELi32Ei14__hip_bfloat16LNS0_11ScoringFuncE0EEEvPKT5_PKbPfiPT4_PiiiibPKf,@function
_ZN4vllm3moe10topkGatingILi8ELi64ELi4ELi16ELi32Ei14__hip_bfloat16LNS0_11ScoringFuncE0EEEvPKT5_PKbPfiPT4_PiiiibPKf: ; @_ZN4vllm3moe10topkGatingILi8ELi64ELi4ELi16ELi32Ei14__hip_bfloat16LNS0_11ScoringFuncE0EEEvPKT5_PKbPfiPT4_PiiiibPKf
; %bb.0:
	s_load_dword s24, s[4:5], 0x18
	v_bfe_u32 v1, v0, 10, 10
	v_and_b32_e32 v0, 0x3ff, v0
	s_lshl_b32 s0, s6, 4
	v_lshlrev_b32_e32 v1, 2, v1
	v_lshrrev_b32_e32 v2, 3, v0
	v_add3_u32 v17, s0, v1, v2
	s_waitcnt lgkmcnt(0)
	v_cmp_gt_i32_e32 vcc, s24, v17
	s_and_saveexec_b64 s[0:1], vcc
	s_cbranch_execz .LBB140_30
; %bb.1:
	s_load_dwordx4 s[0:3], s[4:5], 0x0
	s_load_dwordx2 s[16:17], s[4:5], 0x10
	s_mov_b64 s[6:7], -1
	s_mov_b64 s[18:19], -1
	s_waitcnt lgkmcnt(0)
	s_cmp_eq_u64 s[2:3], 0
	s_cbranch_scc1 .LBB140_3
; %bb.2:
	v_ashrrev_i32_e32 v1, 31, v17
	v_mov_b32_e32 v3, s3
	v_add_co_u32_e32 v2, vcc, s2, v17
	v_addc_co_u32_e32 v3, vcc, v3, v1, vcc
	global_load_ubyte v1, v[2:3], off
	s_waitcnt vmcnt(0)
	v_and_b32_e32 v1, 1, v1
	v_cmp_eq_u32_e32 vcc, 1, v1
	s_xor_b64 s[2:3], vcc, -1
	s_orn2_b64 s[18:19], s[2:3], exec
.LBB140_3:
	v_lshlrev_b32_e32 v2, 6, v17
	v_ashrrev_i32_e32 v3, 31, v2
	v_lshlrev_b64 v[2:3], 1, v[2:3]
	v_mov_b32_e32 v1, s1
	v_add_co_u32_e32 v2, vcc, s0, v2
	v_and_b32_e32 v21, 7, v0
	v_addc_co_u32_e32 v1, vcc, v1, v3, vcc
	v_lshlrev_b32_e32 v0, 4, v21
	v_add_co_u32_e32 v0, vcc, v2, v0
	v_addc_co_u32_e32 v1, vcc, 0, v1, vcc
	global_load_dwordx4 v[0:3], v[0:1], off
	v_mbcnt_lo_u32_b32 v4, -1, 0
	v_mbcnt_hi_u32_b32 v6, -1, v4
	v_and_b32_e32 v4, 0x78, v6
	v_xor_b32_e32 v5, 4, v6
	v_add_u32_e32 v7, 8, v4
	v_cmp_lt_i32_e32 vcc, v5, v7
	v_cndmask_b32_e32 v4, v6, v5, vcc
	v_lshlrev_b32_e32 v22, 2, v4
	v_xor_b32_e32 v12, 2, v6
	v_cmp_lt_i32_e32 vcc, v12, v7
	v_cndmask_b32_e32 v12, v6, v12, vcc
	v_lshlrev_b32_e32 v23, 2, v12
	v_xor_b32_e32 v12, 1, v6
	v_cmp_lt_i32_e32 vcc, v12, v7
	v_cndmask_b32_e32 v6, v6, v12, vcc
	v_lshlrev_b32_e32 v24, 2, v6
	s_mov_b32 s0, 0x3fb8aa3b
	s_mov_b32 s1, 0xc2ce8ed0
	s_mov_b32 s2, 0x42b17218
	s_waitcnt vmcnt(0)
	v_lshlrev_b32_e32 v8, 16, v1
	v_and_b32_e32 v4, 0xffff0000, v1
	v_and_b32_e32 v1, 0xffff0000, v0
	v_lshlrev_b32_e32 v0, 16, v0
	v_max_f32_e32 v10, v1, v1
	v_max_f32_e32 v11, v0, v0
	;; [unrolled: 1-line block ×3, first 2 shown]
	v_lshlrev_b32_e32 v5, 16, v2
	v_and_b32_e32 v2, 0xffff0000, v2
	v_max3_f32 v10, v10, v8, v4
	v_and_b32_e32 v9, 0xffff0000, v3
	v_lshlrev_b32_e32 v3, 16, v3
	v_max3_f32 v10, v10, v5, v2
	v_max3_f32 v10, v10, v3, v9
	ds_bpermute_b32 v11, v22, v10
	s_waitcnt lgkmcnt(0)
	v_max_f32_e32 v11, v11, v11
	v_max_f32_e32 v10, v10, v11
	ds_bpermute_b32 v11, v23, v10
	s_waitcnt lgkmcnt(0)
	v_max_f32_e32 v6, v11, v11
	v_max_f32_e32 v6, v10, v6
	ds_bpermute_b32 v7, v24, v6
	v_mov_b32_e32 v10, 0x7f800000
	s_waitcnt lgkmcnt(0)
	v_max_f32_e32 v7, v7, v7
	v_max_f32_e32 v6, v6, v7
	v_pk_add_f32 v[0:1], v[0:1], v[6:7] op_sel_hi:[1,0] neg_lo:[0,1] neg_hi:[0,1]
	v_sub_f32_e32 v7, v8, v6
	v_mul_f32_e32 v8, 0x3fb8aa3b, v1
	v_mul_f32_e32 v11, 0x3fb8aa3b, v0
	v_fma_f32 v15, v1, s0, -v8
	v_rndne_f32_e32 v16, v8
	v_pk_add_f32 v[4:5], v[4:5], v[6:7] op_sel_hi:[1,0] neg_lo:[0,1] neg_hi:[0,1]
	v_mul_f32_e32 v12, 0x3fb8aa3b, v7
	v_fma_f32 v18, v0, s0, -v11
	v_rndne_f32_e32 v19, v11
	v_fmac_f32_e32 v15, 0x32a5705f, v1
	v_sub_f32_e32 v8, v8, v16
	v_mul_f32_e32 v13, 0x3fb8aa3b, v5
	v_fma_f32 v20, v7, s0, -v12
	v_rndne_f32_e32 v25, v12
	v_fmac_f32_e32 v18, 0x32a5705f, v0
	v_sub_f32_e32 v11, v11, v19
	v_add_f32_e32 v8, v8, v15
	v_mul_f32_e32 v14, 0x3fb8aa3b, v4
	v_fma_f32 v26, v5, s0, -v13
	v_rndne_f32_e32 v27, v13
	v_cvt_i32_f32_e32 v16, v16
	v_fmac_f32_e32 v20, 0x32a5705f, v7
	v_sub_f32_e32 v12, v12, v25
	v_add_f32_e32 v11, v11, v18
	v_exp_f32_e32 v8, v8
	v_fma_f32 v28, v4, s0, -v14
	v_rndne_f32_e32 v29, v14
	v_cvt_i32_f32_e32 v19, v19
	v_fmac_f32_e32 v26, 0x32a5705f, v5
	v_sub_f32_e32 v13, v13, v27
	v_add_f32_e32 v12, v12, v20
	v_exp_f32_e32 v11, v11
	v_cvt_i32_f32_e32 v25, v25
	v_fmac_f32_e32 v28, 0x32a5705f, v4
	v_sub_f32_e32 v14, v14, v29
	v_add_f32_e32 v13, v13, v26
	v_exp_f32_e32 v12, v12
	v_cvt_i32_f32_e32 v27, v27
	v_add_f32_e32 v14, v14, v28
	v_exp_f32_e32 v13, v13
	v_cvt_i32_f32_e32 v29, v29
	v_exp_f32_e32 v14, v14
	v_ldexp_f32 v8, v8, v16
	v_cmp_ngt_f32_e32 vcc, s1, v1
	v_ldexp_f32 v11, v11, v19
	v_cndmask_b32_e32 v8, 0, v8, vcc
	v_cmp_ngt_f32_e32 vcc, s1, v0
	v_ldexp_f32 v12, v12, v25
	v_cndmask_b32_e32 v11, 0, v11, vcc
	;; [unrolled: 3-line block ×4, first 2 shown]
	v_cmp_ngt_f32_e32 vcc, s1, v4
	v_cndmask_b32_e32 v14, 0, v14, vcc
	v_cmp_nlt_f32_e32 vcc, s2, v1
	v_cndmask_b32_e32 v8, v10, v8, vcc
	v_cmp_nlt_f32_e32 vcc, s2, v0
	;; [unrolled: 2-line block ×3, first 2 shown]
	v_cndmask_b32_e32 v7, v10, v12, vcc
	v_add_f32_e32 v0, v11, v8
	v_pk_add_f32 v[2:3], v[2:3], v[6:7] op_sel_hi:[1,0] neg_lo:[0,1] neg_hi:[0,1]
	v_cmp_nlt_f32_e32 vcc, s2, v5
	v_add_f32_e32 v5, v0, v7
	v_mul_f32_e32 v0, 0x3fb8aa3b, v3
	v_cndmask_b32_e32 v1, v10, v13, vcc
	v_fma_f32 v12, v3, s0, -v0
	v_rndne_f32_e32 v13, v0
	v_fmac_f32_e32 v12, 0x32a5705f, v3
	v_sub_f32_e32 v0, v0, v13
	v_add_f32_e32 v0, v0, v12
	v_exp_f32_e32 v12, v0
	v_cvt_i32_f32_e32 v13, v13
	v_cmp_nlt_f32_e32 vcc, s2, v4
	v_cndmask_b32_e32 v0, v10, v14, vcc
	v_add_f32_e32 v4, v5, v0
	v_ldexp_f32 v5, v12, v13
	v_mul_f32_e32 v12, 0x3fb8aa3b, v2
	v_fma_f32 v13, v2, s0, -v12
	v_rndne_f32_e32 v14, v12
	v_fmac_f32_e32 v13, 0x32a5705f, v2
	v_sub_f32_e32 v12, v12, v14
	v_add_f32_e32 v12, v12, v13
	v_exp_f32_e32 v12, v12
	v_cvt_i32_f32_e32 v13, v14
	v_cmp_ngt_f32_e32 vcc, s1, v3
	v_sub_f32_e32 v6, v9, v6
	v_cndmask_b32_e32 v5, 0, v5, vcc
	v_cmp_nlt_f32_e32 vcc, s2, v3
	v_mul_f32_e32 v9, 0x3fb8aa3b, v6
	v_cndmask_b32_e32 v3, v10, v5, vcc
	v_ldexp_f32 v5, v12, v13
	v_fma_f32 v12, v6, s0, -v9
	v_rndne_f32_e32 v13, v9
	v_fmac_f32_e32 v12, 0x32a5705f, v6
	v_sub_f32_e32 v9, v9, v13
	v_add_f32_e32 v9, v9, v12
	v_exp_f32_e32 v9, v9
	v_cvt_i32_f32_e32 v12, v13
	v_cmp_ngt_f32_e32 vcc, s1, v2
	v_cndmask_b32_e32 v5, 0, v5, vcc
	v_cmp_nlt_f32_e32 vcc, s2, v2
	v_add_f32_e32 v4, v4, v1
	v_cndmask_b32_e32 v2, v10, v5, vcc
	v_ldexp_f32 v5, v9, v12
	v_cmp_ngt_f32_e32 vcc, s1, v6
	v_add_f32_e32 v4, v4, v2
	v_cndmask_b32_e32 v5, 0, v5, vcc
	v_cmp_nlt_f32_e32 vcc, s2, v6
	v_add_f32_e32 v4, v4, v3
	v_cndmask_b32_e32 v5, v10, v5, vcc
	v_add_f32_e32 v4, v4, v5
	ds_bpermute_b32 v6, v22, v4
	s_movk_i32 s2, 0x1f8
	v_lshlrev_b32_e32 v25, 3, v21
	s_waitcnt lgkmcnt(0)
	v_add_f32_e32 v4, v4, v6
	ds_bpermute_b32 v6, v23, v4
	s_waitcnt lgkmcnt(0)
	v_add_f32_e32 v4, v4, v6
	ds_bpermute_b32 v6, v24, v4
	s_waitcnt lgkmcnt(0)
	v_add_f32_e32 v4, v4, v6
	v_div_scale_f32 v6, s[0:1], v4, v4, 1.0
	v_rcp_f32_e32 v9, v6
	s_load_dwordx2 s[0:1], s[4:5], 0x40
	v_fma_f32 v10, -v6, v9, 1.0
	v_fmac_f32_e32 v9, v10, v9
	v_div_scale_f32 v10, vcc, 1.0, v4, 1.0
	v_mul_f32_e32 v12, v10, v9
	v_fma_f32 v13, -v6, v12, v10
	v_fmac_f32_e32 v12, v13, v9
	v_fma_f32 v6, -v6, v12, v10
	v_div_fmas_f32 v6, v6, v9, v12
	v_div_fixup_f32 v4, v6, v4, 1.0
	v_mul_f32_e32 v10, v4, v11
	v_mul_f32_e32 v11, v4, v8
	v_cmp_class_f32_e64 vcc, v10, s2
	v_mul_f32_e32 v12, v4, v7
	v_pk_mul_f32 v[6:7], v[4:5], v[0:1] op_sel_hi:[0,1]
	v_cndmask_b32_e32 v0, 0, v10, vcc
	v_cmp_class_f32_e64 vcc, v11, s2
	v_pk_mul_f32 v[8:9], v[4:5], v[2:3] op_sel_hi:[0,1]
	v_mul_f32_e32 v13, v4, v5
	v_cndmask_b32_e32 v1, 0, v11, vcc
	v_cmp_class_f32_e64 vcc, v12, s2
	v_mov_b32_e32 v5, 0x207
	v_cndmask_b32_e32 v2, 0, v12, vcc
	v_cmp_class_f32_e32 vcc, v7, v5
	v_cndmask_b32_e64 v4, v7, 0, vcc
	v_cmp_class_f32_e32 vcc, v6, v5
	v_cndmask_b32_e64 v3, v6, 0, vcc
	;; [unrolled: 2-line block ×4, first 2 shown]
	v_cmp_class_f32_e64 vcc, v13, s2
	s_waitcnt lgkmcnt(0)
	s_cmp_eq_u64 s[0:1], 0
	v_cndmask_b32_e32 v7, 0, v13, vcc
	s_cbranch_scc1 .LBB140_19
; %bb.4:
	v_lshlrev_b32_e32 v16, 2, v25
	global_load_dwordx4 v[8:11], v16, s[0:1]
	global_load_dwordx4 v[12:15], v16, s[0:1] offset:16
	s_waitcnt vmcnt(1)
	v_pk_add_f32 v[8:9], v[8:9], v[0:1]
	v_pk_add_f32 v[10:11], v[10:11], v[2:3]
	s_waitcnt vmcnt(0)
	v_pk_add_f32 v[12:13], v[12:13], v[4:5]
	v_pk_add_f32 v[14:15], v[14:15], v[6:7]
	s_cbranch_execnz .LBB140_6
.LBB140_5:
	v_pk_mov_b32 v[14:15], v[6:7], v[6:7] op_sel:[0,1]
	v_pk_mov_b32 v[12:13], v[4:5], v[4:5] op_sel:[0,1]
	;; [unrolled: 1-line block ×4, first 2 shown]
.LBB140_6:
	s_load_dwordx4 s[8:11], s[4:5], 0x30
	s_mov_b32 s25, 0
	v_cmp_eq_u32_e64 s[0:1], 0, v21
	s_waitcnt lgkmcnt(0)
	s_bitcmp1_b32 s11, 0
	s_cselect_b64 vcc, -1, 0
	s_cmp_gt_i32 s8, 0
	s_cselect_b64 s[20:21], -1, 0
	s_cmp_lt_i32 s8, 1
	s_cbranch_scc1 .LBB140_20
; %bb.7:
	s_load_dwordx4 s[12:15], s[4:5], 0x20
	v_mul_lo_u32 v27, v17, s8
	v_mov_b32_e32 v26, 0
	v_mov_b32_e32 v28, 0xc61c4000
	v_mov_b32_e32 v29, v17
	s_branch .LBB140_10
.LBB140_8:                              ;   in Loop: Header=BB140_10 Depth=1
	s_or_b64 exec, exec, s[4:5]
.LBB140_9:                              ;   in Loop: Header=BB140_10 Depth=1
	s_cmp_eq_u32 s8, s25
	v_add_u32_e32 v29, s24, v29
	s_cbranch_scc1 .LBB140_21
.LBB140_10:                             ; =>This Inner Loop Header: Depth=1
	v_cmp_gt_f32_e64 s[2:3], v9, v8
	v_cndmask_b32_e64 v16, v8, v9, s[2:3]
	v_cndmask_b32_e64 v18, v0, v1, s[2:3]
	s_waitcnt lgkmcnt(0)
	v_cndmask_b32_e64 v19, 0, 1, s[2:3]
	v_cmp_gt_f32_e64 s[2:3], v10, v16
	v_cndmask_b32_e64 v16, v16, v10, s[2:3]
	v_cndmask_b32_e64 v18, v18, v2, s[2:3]
	v_cndmask_b32_e64 v19, v19, 2, s[2:3]
	v_cmp_gt_f32_e64 s[2:3], v11, v16
	v_cndmask_b32_e64 v16, v16, v11, s[2:3]
	v_cndmask_b32_e64 v18, v18, v3, s[2:3]
	;; [unrolled: 4-line block ×6, first 2 shown]
	v_or_b32_e32 v19, v25, v19
	ds_bpermute_b32 v20, v22, v16
	ds_bpermute_b32 v30, v22, v19
	v_cndmask_b32_e64 v18, v18, v7, s[2:3]
	ds_bpermute_b32 v32, v22, v18
	s_waitcnt lgkmcnt(0)
	v_cmp_eq_f32_e64 s[4:5], v16, v20
	v_cmp_lt_i32_e64 s[6:7], v30, v19
	v_cmp_lt_f32_e64 s[2:3], v16, v20
	s_and_b64 s[4:5], s[4:5], s[6:7]
	s_or_b64 s[2:3], s[2:3], s[4:5]
	v_cndmask_b32_e64 v31, v16, v20, s[2:3]
	v_cndmask_b32_e64 v30, v19, v30, s[2:3]
	;; [unrolled: 1-line block ×3, first 2 shown]
	ds_bpermute_b32 v33, v23, v31
	ds_bpermute_b32 v20, v23, v16
	;; [unrolled: 1-line block ×3, first 2 shown]
                                        ; implicit-def: $vgpr18_vgpr19
	s_waitcnt lgkmcnt(2)
	v_cmp_lt_f32_e64 s[6:7], v31, v33
	v_cmp_nlt_f32_e64 s[2:3], v31, v33
	s_and_saveexec_b64 s[22:23], s[2:3]
	s_cbranch_execz .LBB140_12
; %bb.11:                               ;   in Loop: Header=BB140_10 Depth=1
	v_cmp_eq_f32_e64 s[2:3], v31, v33
	s_waitcnt lgkmcnt(0)
	v_cmp_lt_i32_e64 s[4:5], v32, v30
	s_and_b64 s[2:3], s[2:3], s[4:5]
	s_andn2_b64 s[4:5], s[6:7], exec
	s_and_b64 s[2:3], s[2:3], exec
	s_or_b64 s[6:7], s[4:5], s[2:3]
	v_pk_mov_b32 v[18:19], v[16:17], v[16:17] op_sel:[0,1]
.LBB140_12:                             ;   in Loop: Header=BB140_10 Depth=1
	s_or_b64 exec, exec, s[22:23]
	s_and_saveexec_b64 s[2:3], s[6:7]
	s_cbranch_execz .LBB140_14
; %bb.13:                               ;   in Loop: Header=BB140_10 Depth=1
	v_mov_b32_e32 v31, v33
	s_waitcnt lgkmcnt(1)
	v_mov_b32_e32 v16, v20
	s_waitcnt lgkmcnt(0)
	v_mov_b32_e32 v30, v32
	v_pk_mov_b32 v[18:19], v[20:21], v[20:21] op_sel:[0,1]
.LBB140_14:                             ;   in Loop: Header=BB140_10 Depth=1
	s_or_b64 exec, exec, s[2:3]
	s_waitcnt lgkmcnt(1)
	ds_bpermute_b32 v20, v24, v31
	s_waitcnt lgkmcnt(1)
	ds_bpermute_b32 v32, v24, v30
	ds_bpermute_b32 v19, v24, v16
	s_waitcnt lgkmcnt(2)
	v_cmp_eq_f32_e64 s[4:5], v31, v20
	s_waitcnt lgkmcnt(1)
	v_cmp_lt_i32_e64 s[6:7], v32, v30
	v_cmp_lt_f32_e64 s[2:3], v31, v20
	s_and_b64 s[4:5], s[4:5], s[6:7]
	s_or_b64 s[2:3], s[2:3], s[4:5]
	v_cndmask_b32_e64 v16, v30, v32, s[2:3]
	s_and_saveexec_b64 s[6:7], s[0:1]
	s_cbranch_execnz .LBB140_16
; %bb.15:                               ;   in Loop: Header=BB140_10 Depth=1
	s_or_b64 exec, exec, s[6:7]
	s_add_i32 s25, s25, 1
	s_cmp_ge_i32 s25, s8
	s_cbranch_scc1 .LBB140_9
	s_branch .LBB140_17
.LBB140_16:                             ;   in Loop: Header=BB140_10 Depth=1
	s_waitcnt lgkmcnt(0)
	v_cndmask_b32_e64 v20, v18, v19, s[2:3]
	v_add_u32_e32 v18, s25, v27
	v_ashrrev_i32_e32 v19, 31, v18
	v_cmp_le_i32_e64 s[2:3], s9, v16
	v_cmp_gt_i32_e64 s[4:5], s10, v16
	v_lshlrev_b64 v[18:19], 2, v[18:19]
	s_and_b64 s[4:5], s[2:3], s[4:5]
	v_mov_b32_e32 v31, s17
	v_add_co_u32_e64 v30, s[2:3], s16, v18
	v_addc_co_u32_e64 v31, s[2:3], v31, v19, s[2:3]
	global_store_dword v[30:31], v20, off
	v_subrev_u32_e32 v30, s9, v16
	s_and_b64 s[2:3], s[18:19], s[4:5]
	v_cndmask_b32_e64 v32, 64, v30, s[2:3]
	v_mov_b32_e32 v31, s13
	v_add_co_u32_e64 v30, s[2:3], s12, v18
	v_addc_co_u32_e64 v31, s[2:3], v31, v19, s[2:3]
	global_store_dword v[30:31], v32, off
	v_mov_b32_e32 v30, s15
	v_add_co_u32_e64 v18, s[2:3], s14, v18
	v_addc_co_u32_e64 v19, s[2:3], v30, v19, s[2:3]
	global_store_dword v[18:19], v29, off
	v_add_f32_e32 v18, v26, v20
	v_cndmask_b32_e32 v26, v26, v18, vcc
	s_or_b64 exec, exec, s[6:7]
	s_add_i32 s25, s25, 1
	s_cmp_ge_i32 s25, s8
	s_cbranch_scc1 .LBB140_9
.LBB140_17:                             ;   in Loop: Header=BB140_10 Depth=1
	s_waitcnt lgkmcnt(0)
	v_ashrrev_i32_e32 v19, 31, v16
	v_lshrrev_b32_e32 v18, 29, v19
	v_add_u32_e32 v18, v16, v18
	v_ashrrev_i32_e32 v18, 3, v18
	v_lshrrev_b32_e32 v20, 29, v18
	v_add_u32_e32 v20, v18, v20
	v_and_b32_e32 v20, -8, v20
	v_sub_u32_e32 v20, v18, v20
	v_cmp_eq_u32_e64 s[2:3], v21, v20
	s_and_saveexec_b64 s[4:5], s[2:3]
	s_cbranch_execz .LBB140_8
; %bb.18:                               ;   in Loop: Header=BB140_10 Depth=1
	v_lshrrev_b32_e32 v19, 26, v19
	v_add_u32_e32 v19, v16, v19
	v_lshlrev_b32_e32 v18, 3, v18
	v_ashrrev_i32_e32 v19, 6, v19
	v_sub_u32_e32 v16, v16, v18
	v_lshl_add_u32 v16, v19, 3, v16
	v_cmp_ne_u32_e64 s[2:3], 7, v16
	v_cndmask_b32_e64 v15, v28, v15, s[2:3]
	v_cmp_ne_u32_e64 s[2:3], 6, v16
	v_cndmask_b32_e64 v14, v28, v14, s[2:3]
	v_cmp_ne_u32_e64 s[2:3], 5, v16
	v_cndmask_b32_e64 v13, v28, v13, s[2:3]
	v_cmp_ne_u32_e64 s[2:3], 4, v16
	v_cndmask_b32_e64 v12, v28, v12, s[2:3]
	v_cmp_ne_u32_e64 s[2:3], 3, v16
	v_cndmask_b32_e64 v11, v28, v11, s[2:3]
	v_cmp_ne_u32_e64 s[2:3], 2, v16
	v_cndmask_b32_e64 v10, v28, v10, s[2:3]
	v_cmp_ne_u32_e64 s[2:3], 1, v16
	v_cndmask_b32_e64 v9, v28, v9, s[2:3]
	v_cmp_ne_u32_e64 s[2:3], 0, v16
	v_cndmask_b32_e64 v8, v28, v8, s[2:3]
	s_branch .LBB140_8
.LBB140_19:
                                        ; implicit-def: $vgpr8_vgpr9_vgpr10_vgpr11_vgpr12_vgpr13_vgpr14_vgpr15
	s_andn2_b64 vcc, exec, s[6:7]
	s_cbranch_vccz .LBB140_5
	s_branch .LBB140_6
.LBB140_20:
	v_mov_b32_e32 v26, 0
.LBB140_21:
	v_cmp_eq_u32_e64 s[0:1], 0, v21
	s_and_b64 s[0:1], s[0:1], vcc
	s_and_b64 exec, exec, s[0:1]
	s_cbranch_execz .LBB140_30
; %bb.22:
	s_andn2_b64 vcc, exec, s[20:21]
	s_cbranch_vccnz .LBB140_30
; %bb.23:
	v_cmp_lt_f32_e32 vcc, 0, v26
	s_mov_b32 s2, 0
	v_cndmask_b32_e32 v0, 1.0, v26, vcc
	v_mul_lo_u32 v4, v17, s8
	s_cmp_eq_u32 s8, 1
	s_mov_b64 s[0:1], -1
	s_cbranch_scc1 .LBB140_27
; %bb.24:
	s_and_b32 s2, s8, 0x7ffffffe
	v_mov_b32_e32 v1, v0
	v_mov_b32_e32 v5, s17
	s_mov_b32 s3, s2
	v_mov_b32_e32 v2, v4
.LBB140_25:                             ; =>This Inner Loop Header: Depth=1
	v_ashrrev_i32_e32 v3, 31, v2
	v_lshlrev_b64 v[6:7], 2, v[2:3]
	v_add_co_u32_e32 v6, vcc, s16, v6
	v_addc_co_u32_e32 v7, vcc, v5, v7, vcc
	global_load_dwordx2 v[8:9], v[6:7], off
	s_add_i32 s3, s3, -2
	s_cmp_lg_u32 s3, 0
	v_add_u32_e32 v2, 2, v2
	s_waitcnt vmcnt(0)
	v_div_scale_f32 v3, s[0:1], v1, v1, v9
	v_div_scale_f32 v11, s[0:1], v0, v0, v8
	v_rcp_f32_e32 v12, v3
	v_rcp_f32_e32 v13, v11
	v_div_scale_f32 v10, vcc, v9, v1, v9
	v_fma_f32 v15, -v3, v12, 1.0
	v_fma_f32 v16, -v11, v13, 1.0
	v_fmac_f32_e32 v12, v15, v12
	v_div_scale_f32 v14, s[0:1], v8, v0, v8
	v_fmac_f32_e32 v13, v16, v13
	v_mul_f32_e32 v15, v10, v12
	v_mul_f32_e32 v16, v14, v13
	v_fma_f32 v17, -v3, v15, v10
	v_fma_f32 v18, -v11, v16, v14
	v_fmac_f32_e32 v15, v17, v12
	v_fmac_f32_e32 v16, v18, v13
	v_fma_f32 v3, -v3, v15, v10
	v_fma_f32 v10, -v11, v16, v14
	v_div_fmas_f32 v3, v3, v12, v15
	s_mov_b64 vcc, s[0:1]
	v_div_fixup_f32 v9, v3, v1, v9
	v_div_fmas_f32 v3, v10, v13, v16
	v_div_fixup_f32 v8, v3, v0, v8
	global_store_dwordx2 v[6:7], v[8:9], off
	s_cbranch_scc1 .LBB140_25
; %bb.26:
	s_cmp_lg_u32 s2, s8
	s_cselect_b64 s[0:1], -1, 0
.LBB140_27:
	s_and_b64 vcc, exec, s[0:1]
	s_cbranch_vccz .LBB140_30
; %bb.28:
	v_ashrrev_i32_e32 v1, 31, v4
	v_add_co_u32_e32 v2, vcc, s2, v4
	v_addc_co_u32_e32 v3, vcc, 0, v1, vcc
	v_lshlrev_b64 v[2:3], 2, v[2:3]
	v_mov_b32_e32 v1, s17
	v_add_co_u32_e32 v2, vcc, s16, v2
	s_sub_i32 s0, s8, s2
	v_addc_co_u32_e32 v3, vcc, v1, v3, vcc
.LBB140_29:                             ; =>This Inner Loop Header: Depth=1
	global_load_dword v1, v[2:3], off
	s_add_i32 s0, s0, -1
	s_cmp_lg_u32 s0, 0
	s_waitcnt vmcnt(0)
	v_div_scale_f32 v4, s[2:3], v0, v0, v1
	v_rcp_f32_e32 v5, v4
	v_div_scale_f32 v6, vcc, v1, v0, v1
	v_fma_f32 v7, -v4, v5, 1.0
	v_fmac_f32_e32 v5, v7, v5
	v_mul_f32_e32 v7, v6, v5
	v_fma_f32 v8, -v4, v7, v6
	v_fmac_f32_e32 v7, v8, v5
	v_fma_f32 v4, -v4, v7, v6
	v_div_fmas_f32 v4, v4, v5, v7
	v_div_fixup_f32 v1, v4, v0, v1
	global_store_dword v[2:3], v1, off
	v_add_co_u32_e32 v2, vcc, 4, v2
	v_addc_co_u32_e32 v3, vcc, 0, v3, vcc
	s_cbranch_scc1 .LBB140_29
.LBB140_30:
	s_endpgm
	.section	.rodata,"a",@progbits
	.p2align	6, 0x0
	.amdhsa_kernel _ZN4vllm3moe10topkGatingILi8ELi64ELi4ELi16ELi32Ei14__hip_bfloat16LNS0_11ScoringFuncE0EEEvPKT5_PKbPfiPT4_PiiiibPKf
		.amdhsa_group_segment_fixed_size 0
		.amdhsa_private_segment_fixed_size 0
		.amdhsa_kernarg_size 72
		.amdhsa_user_sgpr_count 6
		.amdhsa_user_sgpr_private_segment_buffer 1
		.amdhsa_user_sgpr_dispatch_ptr 0
		.amdhsa_user_sgpr_queue_ptr 0
		.amdhsa_user_sgpr_kernarg_segment_ptr 1
		.amdhsa_user_sgpr_dispatch_id 0
		.amdhsa_user_sgpr_flat_scratch_init 0
		.amdhsa_user_sgpr_kernarg_preload_length 0
		.amdhsa_user_sgpr_kernarg_preload_offset 0
		.amdhsa_user_sgpr_private_segment_size 0
		.amdhsa_uses_dynamic_stack 0
		.amdhsa_system_sgpr_private_segment_wavefront_offset 0
		.amdhsa_system_sgpr_workgroup_id_x 1
		.amdhsa_system_sgpr_workgroup_id_y 0
		.amdhsa_system_sgpr_workgroup_id_z 0
		.amdhsa_system_sgpr_workgroup_info 0
		.amdhsa_system_vgpr_workitem_id 1
		.amdhsa_next_free_vgpr 34
		.amdhsa_next_free_sgpr 26
		.amdhsa_accum_offset 36
		.amdhsa_reserve_vcc 1
		.amdhsa_reserve_flat_scratch 0
		.amdhsa_float_round_mode_32 0
		.amdhsa_float_round_mode_16_64 0
		.amdhsa_float_denorm_mode_32 3
		.amdhsa_float_denorm_mode_16_64 3
		.amdhsa_dx10_clamp 1
		.amdhsa_ieee_mode 1
		.amdhsa_fp16_overflow 0
		.amdhsa_tg_split 0
		.amdhsa_exception_fp_ieee_invalid_op 0
		.amdhsa_exception_fp_denorm_src 0
		.amdhsa_exception_fp_ieee_div_zero 0
		.amdhsa_exception_fp_ieee_overflow 0
		.amdhsa_exception_fp_ieee_underflow 0
		.amdhsa_exception_fp_ieee_inexact 0
		.amdhsa_exception_int_div_zero 0
	.end_amdhsa_kernel
	.section	.text._ZN4vllm3moe10topkGatingILi8ELi64ELi4ELi16ELi32Ei14__hip_bfloat16LNS0_11ScoringFuncE0EEEvPKT5_PKbPfiPT4_PiiiibPKf,"axG",@progbits,_ZN4vllm3moe10topkGatingILi8ELi64ELi4ELi16ELi32Ei14__hip_bfloat16LNS0_11ScoringFuncE0EEEvPKT5_PKbPfiPT4_PiiiibPKf,comdat
.Lfunc_end140:
	.size	_ZN4vllm3moe10topkGatingILi8ELi64ELi4ELi16ELi32Ei14__hip_bfloat16LNS0_11ScoringFuncE0EEEvPKT5_PKbPfiPT4_PiiiibPKf, .Lfunc_end140-_ZN4vllm3moe10topkGatingILi8ELi64ELi4ELi16ELi32Ei14__hip_bfloat16LNS0_11ScoringFuncE0EEEvPKT5_PKbPfiPT4_PiiiibPKf
                                        ; -- End function
	.section	.AMDGPU.csdata,"",@progbits
; Kernel info:
; codeLenInByte = 2952
; NumSgprs: 30
; NumVgprs: 34
; NumAgprs: 0
; TotalNumVgprs: 34
; ScratchSize: 0
; MemoryBound: 0
; FloatMode: 240
; IeeeMode: 1
; LDSByteSize: 0 bytes/workgroup (compile time only)
; SGPRBlocks: 3
; VGPRBlocks: 4
; NumSGPRsForWavesPerEU: 30
; NumVGPRsForWavesPerEU: 34
; AccumOffset: 36
; Occupancy: 8
; WaveLimiterHint : 0
; COMPUTE_PGM_RSRC2:SCRATCH_EN: 0
; COMPUTE_PGM_RSRC2:USER_SGPR: 6
; COMPUTE_PGM_RSRC2:TRAP_HANDLER: 0
; COMPUTE_PGM_RSRC2:TGID_X_EN: 1
; COMPUTE_PGM_RSRC2:TGID_Y_EN: 0
; COMPUTE_PGM_RSRC2:TGID_Z_EN: 0
; COMPUTE_PGM_RSRC2:TIDIG_COMP_CNT: 1
; COMPUTE_PGM_RSRC3_GFX90A:ACCUM_OFFSET: 8
; COMPUTE_PGM_RSRC3_GFX90A:TG_SPLIT: 0
	.section	.text._ZN4vllm3moe10topkGatingILi8ELi128ELi4ELi16ELi64Ei14__hip_bfloat16LNS0_11ScoringFuncE0EEEvPKT5_PKbPfiPT4_PiiiibPKf,"axG",@progbits,_ZN4vllm3moe10topkGatingILi8ELi128ELi4ELi16ELi64Ei14__hip_bfloat16LNS0_11ScoringFuncE0EEEvPKT5_PKbPfiPT4_PiiiibPKf,comdat
	.protected	_ZN4vllm3moe10topkGatingILi8ELi128ELi4ELi16ELi64Ei14__hip_bfloat16LNS0_11ScoringFuncE0EEEvPKT5_PKbPfiPT4_PiiiibPKf ; -- Begin function _ZN4vllm3moe10topkGatingILi8ELi128ELi4ELi16ELi64Ei14__hip_bfloat16LNS0_11ScoringFuncE0EEEvPKT5_PKbPfiPT4_PiiiibPKf
	.globl	_ZN4vllm3moe10topkGatingILi8ELi128ELi4ELi16ELi64Ei14__hip_bfloat16LNS0_11ScoringFuncE0EEEvPKT5_PKbPfiPT4_PiiiibPKf
	.p2align	8
	.type	_ZN4vllm3moe10topkGatingILi8ELi128ELi4ELi16ELi64Ei14__hip_bfloat16LNS0_11ScoringFuncE0EEEvPKT5_PKbPfiPT4_PiiiibPKf,@function
_ZN4vllm3moe10topkGatingILi8ELi128ELi4ELi16ELi64Ei14__hip_bfloat16LNS0_11ScoringFuncE0EEEvPKT5_PKbPfiPT4_PiiiibPKf: ; @_ZN4vllm3moe10topkGatingILi8ELi128ELi4ELi16ELi64Ei14__hip_bfloat16LNS0_11ScoringFuncE0EEEvPKT5_PKbPfiPT4_PiiiibPKf
; %bb.0:
	s_load_dword s24, s[4:5], 0x18
	v_bfe_u32 v1, v0, 10, 10
	v_and_b32_e32 v0, 0x3ff, v0
	s_lshl_b32 s0, s6, 4
	v_lshlrev_b32_e32 v1, 2, v1
	v_lshrrev_b32_e32 v2, 4, v0
	v_add3_u32 v17, s0, v1, v2
	s_waitcnt lgkmcnt(0)
	v_cmp_gt_i32_e32 vcc, s24, v17
	s_and_saveexec_b64 s[0:1], vcc
	s_cbranch_execz .LBB141_34
; %bb.1:
	s_load_dwordx4 s[0:3], s[4:5], 0x0
	s_load_dwordx2 s[16:17], s[4:5], 0x10
	s_mov_b64 s[6:7], -1
	s_mov_b64 s[18:19], -1
	s_waitcnt lgkmcnt(0)
	s_cmp_eq_u64 s[2:3], 0
	s_cbranch_scc1 .LBB141_3
; %bb.2:
	v_ashrrev_i32_e32 v1, 31, v17
	v_mov_b32_e32 v3, s3
	v_add_co_u32_e32 v2, vcc, s2, v17
	v_addc_co_u32_e32 v3, vcc, v3, v1, vcc
	global_load_ubyte v1, v[2:3], off
	s_waitcnt vmcnt(0)
	v_and_b32_e32 v1, 1, v1
	v_cmp_eq_u32_e32 vcc, 1, v1
	s_xor_b64 s[2:3], vcc, -1
	s_orn2_b64 s[18:19], s[2:3], exec
.LBB141_3:
	v_lshlrev_b32_e32 v2, 7, v17
	v_ashrrev_i32_e32 v3, 31, v2
	v_lshlrev_b64 v[2:3], 1, v[2:3]
	v_mov_b32_e32 v1, s1
	v_add_co_u32_e32 v2, vcc, s0, v2
	v_and_b32_e32 v21, 15, v0
	v_addc_co_u32_e32 v1, vcc, v1, v3, vcc
	v_lshlrev_b32_e32 v0, 4, v21
	v_add_co_u32_e32 v0, vcc, v2, v0
	v_addc_co_u32_e32 v1, vcc, 0, v1, vcc
	global_load_dwordx4 v[0:3], v[0:1], off
	v_mbcnt_lo_u32_b32 v4, -1, 0
	v_mbcnt_hi_u32_b32 v4, -1, v4
	v_and_b32_e32 v5, 0x70, v4
	v_xor_b32_e32 v6, 8, v4
	v_add_u32_e32 v5, 16, v5
	v_cmp_lt_i32_e32 vcc, v6, v5
	v_cndmask_b32_e32 v6, v4, v6, vcc
	v_lshlrev_b32_e32 v22, 2, v6
	v_xor_b32_e32 v12, 4, v4
	v_cmp_lt_i32_e32 vcc, v12, v5
	v_cndmask_b32_e32 v12, v4, v12, vcc
	v_lshlrev_b32_e32 v23, 2, v12
	v_xor_b32_e32 v12, 2, v4
	;; [unrolled: 4-line block ×3, first 2 shown]
	v_cmp_lt_i32_e32 vcc, v12, v5
	v_cndmask_b32_e32 v4, v4, v12, vcc
	v_lshlrev_b32_e32 v25, 2, v4
	s_mov_b32 s0, 0x3fb8aa3b
	s_mov_b32 s1, 0xc2ce8ed0
	;; [unrolled: 1-line block ×3, first 2 shown]
	s_waitcnt vmcnt(0)
	v_lshlrev_b32_e32 v6, 16, v0
	v_and_b32_e32 v7, 0xffff0000, v0
	v_max_f32_e32 v10, v7, v7
	v_max_f32_e32 v11, v6, v6
	v_lshlrev_b32_e32 v8, 16, v1
	v_and_b32_e32 v0, 0xffff0000, v1
	v_max_f32_e32 v10, v11, v10
	v_lshlrev_b32_e32 v1, 16, v2
	v_and_b32_e32 v2, 0xffff0000, v2
	v_max3_f32 v10, v10, v8, v0
	v_and_b32_e32 v9, 0xffff0000, v3
	v_lshlrev_b32_e32 v3, 16, v3
	v_max3_f32 v10, v10, v1, v2
	v_max3_f32 v10, v10, v3, v9
	ds_bpermute_b32 v11, v22, v10
	s_waitcnt lgkmcnt(0)
	v_max_f32_e32 v11, v11, v11
	v_max_f32_e32 v10, v10, v11
	ds_bpermute_b32 v11, v23, v10
	s_waitcnt lgkmcnt(0)
	v_max_f32_e32 v11, v11, v11
	v_max_f32_e32 v10, v10, v11
	;; [unrolled: 4-line block ×3, first 2 shown]
	ds_bpermute_b32 v5, v25, v4
	v_mov_b32_e32 v10, 0x7f800000
	s_waitcnt lgkmcnt(0)
	v_max_f32_e32 v5, v5, v5
	v_max_f32_e32 v4, v4, v5
	v_sub_f32_e32 v5, v6, v4
	v_sub_f32_e32 v6, v7, v4
	;; [unrolled: 1-line block ×3, first 2 shown]
	v_mul_f32_e32 v8, 0x3fb8aa3b, v5
	v_mul_f32_e32 v11, 0x3fb8aa3b, v6
	v_fma_f32 v15, v5, s0, -v8
	v_rndne_f32_e32 v16, v8
	v_pk_add_f32 v[0:1], v[0:1], v[4:5] op_sel_hi:[1,0] neg_lo:[0,1] neg_hi:[0,1]
	v_mul_f32_e32 v12, 0x3fb8aa3b, v7
	v_fma_f32 v18, v6, s0, -v11
	v_rndne_f32_e32 v19, v11
	v_fmac_f32_e32 v15, 0x32a5705f, v5
	v_sub_f32_e32 v8, v8, v16
	v_mul_f32_e32 v13, 0x3fb8aa3b, v1
	v_fma_f32 v20, v7, s0, -v12
	v_rndne_f32_e32 v26, v12
	v_fmac_f32_e32 v18, 0x32a5705f, v6
	v_sub_f32_e32 v11, v11, v19
	v_add_f32_e32 v8, v8, v15
	v_fma_f32 v27, v1, s0, -v13
	v_rndne_f32_e32 v28, v13
	v_cvt_i32_f32_e32 v16, v16
	v_fmac_f32_e32 v20, 0x32a5705f, v7
	v_sub_f32_e32 v12, v12, v26
	v_add_f32_e32 v11, v11, v18
	v_exp_f32_e32 v8, v8
	v_cvt_i32_f32_e32 v19, v19
	v_fmac_f32_e32 v27, 0x32a5705f, v1
	v_sub_f32_e32 v13, v13, v28
	v_add_f32_e32 v12, v12, v20
	v_exp_f32_e32 v11, v11
	v_cvt_i32_f32_e32 v26, v26
	v_add_f32_e32 v13, v13, v27
	v_exp_f32_e32 v12, v12
	v_cvt_i32_f32_e32 v28, v28
	v_exp_f32_e32 v13, v13
	v_mul_f32_e32 v14, 0x3fb8aa3b, v0
	v_ldexp_f32 v8, v8, v16
	v_cmp_ngt_f32_e32 vcc, s1, v5
	v_fma_f32 v29, v0, s0, -v14
	v_rndne_f32_e32 v30, v14
	v_ldexp_f32 v11, v11, v19
	v_cndmask_b32_e32 v8, 0, v8, vcc
	v_cmp_ngt_f32_e32 vcc, s1, v6
	v_fmac_f32_e32 v29, 0x32a5705f, v0
	v_sub_f32_e32 v14, v14, v30
	v_ldexp_f32 v12, v12, v26
	v_cndmask_b32_e32 v11, 0, v11, vcc
	v_cmp_ngt_f32_e32 vcc, s1, v7
	v_add_f32_e32 v14, v14, v29
	v_ldexp_f32 v13, v13, v28
	v_cndmask_b32_e32 v12, 0, v12, vcc
	v_cmp_ngt_f32_e32 vcc, s1, v1
	v_cvt_i32_f32_e32 v30, v30
	v_exp_f32_e32 v14, v14
	v_cndmask_b32_e32 v13, 0, v13, vcc
	v_cmp_nlt_f32_e32 vcc, s2, v5
	v_cndmask_b32_e32 v5, v10, v8, vcc
	v_cmp_nlt_f32_e32 vcc, s2, v6
	v_cndmask_b32_e32 v6, v10, v11, vcc
	v_cmp_nlt_f32_e32 vcc, s2, v7
	v_cndmask_b32_e32 v7, v10, v12, vcc
	v_cmp_nlt_f32_e32 vcc, s2, v1
	v_pk_add_f32 v[2:3], v[2:3], v[4:5] op_sel_hi:[1,0] neg_lo:[0,1] neg_hi:[0,1]
	v_ldexp_f32 v14, v14, v30
	v_cndmask_b32_e32 v1, v10, v13, vcc
	v_cmp_ngt_f32_e32 vcc, s1, v0
	v_mul_f32_e32 v12, 0x3fb8aa3b, v3
	v_cndmask_b32_e32 v11, 0, v14, vcc
	v_fma_f32 v13, v3, s0, -v12
	v_rndne_f32_e32 v14, v12
	v_fmac_f32_e32 v13, 0x32a5705f, v3
	v_sub_f32_e32 v12, v12, v14
	v_add_f32_e32 v12, v12, v13
	v_exp_f32_e32 v12, v12
	v_cvt_i32_f32_e32 v13, v14
	v_cmp_nlt_f32_e32 vcc, s2, v0
	v_cndmask_b32_e32 v0, v10, v11, vcc
	v_cmp_ngt_f32_e32 vcc, s1, v3
	v_ldexp_f32 v11, v12, v13
	v_mul_f32_e32 v12, 0x3fb8aa3b, v2
	v_fma_f32 v13, v2, s0, -v12
	v_rndne_f32_e32 v14, v12
	v_fmac_f32_e32 v13, 0x32a5705f, v2
	v_sub_f32_e32 v12, v12, v14
	v_add_f32_e32 v12, v12, v13
	v_exp_f32_e32 v12, v12
	v_cvt_i32_f32_e32 v13, v14
	v_sub_f32_e32 v4, v9, v4
	v_cndmask_b32_e32 v11, 0, v11, vcc
	v_cmp_nlt_f32_e32 vcc, s2, v3
	v_mul_f32_e32 v9, 0x3fb8aa3b, v4
	v_cndmask_b32_e32 v3, v10, v11, vcc
	v_ldexp_f32 v11, v12, v13
	v_fma_f32 v12, v4, s0, -v9
	v_rndne_f32_e32 v13, v9
	v_fmac_f32_e32 v12, 0x32a5705f, v4
	v_sub_f32_e32 v9, v9, v13
	v_add_f32_e32 v9, v9, v12
	v_exp_f32_e32 v9, v9
	v_cvt_i32_f32_e32 v12, v13
	v_add_f32_e32 v8, v5, v6
	v_add_f32_e32 v8, v8, v7
	v_cmp_ngt_f32_e32 vcc, s1, v2
	v_add_f32_e32 v8, v8, v0
	v_cndmask_b32_e32 v11, 0, v11, vcc
	v_cmp_nlt_f32_e32 vcc, s2, v2
	v_add_f32_e32 v8, v8, v1
	v_cndmask_b32_e32 v2, v10, v11, vcc
	v_ldexp_f32 v9, v9, v12
	v_cmp_ngt_f32_e32 vcc, s1, v4
	v_add_f32_e32 v8, v8, v2
	v_cndmask_b32_e32 v9, 0, v9, vcc
	v_cmp_nlt_f32_e32 vcc, s2, v4
	v_add_f32_e32 v8, v8, v3
	v_cndmask_b32_e32 v10, v10, v9, vcc
	v_add_f32_e32 v4, v8, v10
	ds_bpermute_b32 v8, v22, v4
	s_movk_i32 s2, 0x1f8
	v_lshlrev_b32_e32 v26, 3, v21
	s_waitcnt lgkmcnt(0)
	v_add_f32_e32 v4, v4, v8
	ds_bpermute_b32 v8, v23, v4
	s_waitcnt lgkmcnt(0)
	v_add_f32_e32 v4, v4, v8
	ds_bpermute_b32 v8, v24, v4
	;; [unrolled: 3-line block ×3, first 2 shown]
	s_waitcnt lgkmcnt(0)
	v_add_f32_e32 v4, v4, v8
	v_div_scale_f32 v8, s[0:1], v4, v4, 1.0
	v_rcp_f32_e32 v9, v8
	s_load_dwordx2 s[0:1], s[4:5], 0x40
	v_fma_f32 v11, -v8, v9, 1.0
	v_fmac_f32_e32 v9, v11, v9
	v_div_scale_f32 v11, vcc, 1.0, v4, 1.0
	v_mul_f32_e32 v12, v11, v9
	v_fma_f32 v13, -v8, v12, v11
	v_fmac_f32_e32 v12, v13, v9
	v_fma_f32 v8, -v8, v12, v11
	v_div_fmas_f32 v8, v8, v9, v12
	v_div_fixup_f32 v4, v8, v4, 1.0
	v_mul_f32_e32 v5, v4, v5
	v_mul_f32_e32 v11, v4, v6
	v_cmp_class_f32_e64 vcc, v5, s2
	v_mul_f32_e32 v12, v4, v7
	v_pk_mul_f32 v[6:7], v[4:5], v[0:1] op_sel_hi:[0,1]
	v_cndmask_b32_e32 v0, 0, v5, vcc
	v_cmp_class_f32_e64 vcc, v11, s2
	v_pk_mul_f32 v[8:9], v[4:5], v[2:3] op_sel_hi:[0,1]
	v_cndmask_b32_e32 v1, 0, v11, vcc
	v_cmp_class_f32_e64 vcc, v12, s2
	v_mov_b32_e32 v5, 0x207
	v_cndmask_b32_e32 v2, 0, v12, vcc
	v_cmp_class_f32_e32 vcc, v7, v5
	v_mul_f32_e32 v10, v4, v10
	v_cndmask_b32_e64 v4, v7, 0, vcc
	v_cmp_class_f32_e32 vcc, v6, v5
	v_cndmask_b32_e64 v3, v6, 0, vcc
	v_cmp_class_f32_e32 vcc, v9, v5
	;; [unrolled: 2-line block ×3, first 2 shown]
	v_cndmask_b32_e64 v5, v8, 0, vcc
	v_cmp_class_f32_e64 vcc, v10, s2
	s_waitcnt lgkmcnt(0)
	s_cmp_eq_u64 s[0:1], 0
	v_cndmask_b32_e32 v7, 0, v10, vcc
	s_cbranch_scc1 .LBB141_23
; %bb.4:
	v_lshlrev_b32_e32 v16, 2, v26
	global_load_dwordx4 v[8:11], v16, s[0:1]
	global_load_dwordx4 v[12:15], v16, s[0:1] offset:16
	s_waitcnt vmcnt(1)
	v_pk_add_f32 v[8:9], v[8:9], v[0:1]
	v_pk_add_f32 v[10:11], v[10:11], v[2:3]
	s_waitcnt vmcnt(0)
	v_pk_add_f32 v[12:13], v[12:13], v[4:5]
	v_pk_add_f32 v[14:15], v[14:15], v[6:7]
	s_cbranch_execnz .LBB141_6
.LBB141_5:
	v_pk_mov_b32 v[14:15], v[6:7], v[6:7] op_sel:[0,1]
	v_pk_mov_b32 v[12:13], v[4:5], v[4:5] op_sel:[0,1]
	;; [unrolled: 1-line block ×4, first 2 shown]
.LBB141_6:
	s_load_dwordx4 s[8:11], s[4:5], 0x30
	s_mov_b32 s25, 0
	v_cmp_eq_u32_e64 s[0:1], 0, v21
	s_waitcnt lgkmcnt(0)
	s_bitcmp1_b32 s11, 0
	s_cselect_b64 vcc, -1, 0
	s_cmp_gt_i32 s8, 0
	s_cselect_b64 s[20:21], -1, 0
	s_cmp_lt_i32 s8, 1
	s_cbranch_scc1 .LBB141_24
; %bb.7:
	s_load_dwordx4 s[12:15], s[4:5], 0x20
	v_mul_lo_u32 v28, v17, s8
	v_mov_b32_e32 v27, 0
	v_mov_b32_e32 v29, 0x80
	;; [unrolled: 1-line block ×4, first 2 shown]
	s_branch .LBB141_10
.LBB141_8:                              ;   in Loop: Header=BB141_10 Depth=1
	s_or_b64 exec, exec, s[4:5]
.LBB141_9:                              ;   in Loop: Header=BB141_10 Depth=1
	s_cmp_eq_u32 s8, s25
	v_add_u32_e32 v31, s24, v31
	s_cbranch_scc1 .LBB141_25
.LBB141_10:                             ; =>This Inner Loop Header: Depth=1
	v_cmp_gt_f32_e64 s[2:3], v9, v8
	v_cndmask_b32_e64 v16, v8, v9, s[2:3]
	v_cndmask_b32_e64 v18, v0, v1, s[2:3]
	s_waitcnt lgkmcnt(0)
	v_cndmask_b32_e64 v19, 0, 1, s[2:3]
	v_cmp_gt_f32_e64 s[2:3], v10, v16
	v_cndmask_b32_e64 v16, v16, v10, s[2:3]
	v_cndmask_b32_e64 v18, v18, v2, s[2:3]
	v_cndmask_b32_e64 v19, v19, 2, s[2:3]
	v_cmp_gt_f32_e64 s[2:3], v11, v16
	v_cndmask_b32_e64 v16, v16, v11, s[2:3]
	v_cndmask_b32_e64 v18, v18, v3, s[2:3]
	;; [unrolled: 4-line block ×6, first 2 shown]
	v_or_b32_e32 v19, v26, v19
	ds_bpermute_b32 v20, v22, v16
	ds_bpermute_b32 v32, v22, v19
	v_cndmask_b32_e64 v18, v18, v7, s[2:3]
	ds_bpermute_b32 v34, v22, v18
	s_waitcnt lgkmcnt(0)
	v_cmp_eq_f32_e64 s[4:5], v16, v20
	v_cmp_lt_i32_e64 s[6:7], v32, v19
	v_cmp_lt_f32_e64 s[2:3], v16, v20
	s_and_b64 s[4:5], s[4:5], s[6:7]
	s_or_b64 s[2:3], s[2:3], s[4:5]
	v_cndmask_b32_e64 v33, v19, v32, s[2:3]
	v_cndmask_b32_e64 v32, v16, v20, s[2:3]
	;; [unrolled: 1-line block ×3, first 2 shown]
	ds_bpermute_b32 v35, v23, v32
	ds_bpermute_b32 v20, v23, v16
	;; [unrolled: 1-line block ×3, first 2 shown]
                                        ; implicit-def: $vgpr18_vgpr19
	s_waitcnt lgkmcnt(2)
	v_cmp_lt_f32_e64 s[6:7], v32, v35
	v_cmp_nlt_f32_e64 s[2:3], v32, v35
	s_and_saveexec_b64 s[22:23], s[2:3]
	s_cbranch_execz .LBB141_12
; %bb.11:                               ;   in Loop: Header=BB141_10 Depth=1
	v_cmp_eq_f32_e64 s[2:3], v32, v35
	s_waitcnt lgkmcnt(0)
	v_cmp_lt_i32_e64 s[4:5], v34, v33
	s_and_b64 s[2:3], s[2:3], s[4:5]
	s_andn2_b64 s[4:5], s[6:7], exec
	s_and_b64 s[2:3], s[2:3], exec
	s_or_b64 s[6:7], s[4:5], s[2:3]
	v_pk_mov_b32 v[18:19], v[16:17], v[16:17] op_sel:[0,1]
.LBB141_12:                             ;   in Loop: Header=BB141_10 Depth=1
	s_or_b64 exec, exec, s[22:23]
	s_and_saveexec_b64 s[2:3], s[6:7]
	s_cbranch_execz .LBB141_14
; %bb.13:                               ;   in Loop: Header=BB141_10 Depth=1
	v_mov_b32_e32 v32, v35
	s_waitcnt lgkmcnt(1)
	v_mov_b32_e32 v16, v20
	s_waitcnt lgkmcnt(0)
	v_mov_b32_e32 v33, v34
	v_pk_mov_b32 v[18:19], v[20:21], v[20:21] op_sel:[0,1]
.LBB141_14:                             ;   in Loop: Header=BB141_10 Depth=1
	s_or_b64 exec, exec, s[2:3]
	s_waitcnt lgkmcnt(0)
	ds_bpermute_b32 v34, v24, v32
	ds_bpermute_b32 v20, v24, v16
	;; [unrolled: 1-line block ×3, first 2 shown]
	s_waitcnt lgkmcnt(2)
	v_cmp_lt_f32_e64 s[6:7], v32, v34
	v_cmp_nlt_f32_e64 s[2:3], v32, v34
	s_and_saveexec_b64 s[22:23], s[2:3]
	s_cbranch_execz .LBB141_16
; %bb.15:                               ;   in Loop: Header=BB141_10 Depth=1
	v_cmp_eq_f32_e64 s[2:3], v32, v34
	s_waitcnt lgkmcnt(0)
	v_cmp_lt_i32_e64 s[4:5], v19, v33
	s_and_b64 s[2:3], s[2:3], s[4:5]
	s_andn2_b64 s[4:5], s[6:7], exec
	s_and_b64 s[2:3], s[2:3], exec
	s_or_b64 s[6:7], s[4:5], s[2:3]
.LBB141_16:                             ;   in Loop: Header=BB141_10 Depth=1
	s_or_b64 exec, exec, s[22:23]
	s_and_saveexec_b64 s[2:3], s[6:7]
	s_cbranch_execz .LBB141_18
; %bb.17:                               ;   in Loop: Header=BB141_10 Depth=1
	v_mov_b32_e32 v32, v34
	s_waitcnt lgkmcnt(1)
	v_mov_b32_e32 v16, v20
	s_waitcnt lgkmcnt(0)
	v_mov_b32_e32 v33, v19
	v_pk_mov_b32 v[18:19], v[20:21], v[20:21] op_sel:[0,1]
.LBB141_18:                             ;   in Loop: Header=BB141_10 Depth=1
	s_or_b64 exec, exec, s[2:3]
	s_waitcnt lgkmcnt(1)
	ds_bpermute_b32 v20, v25, v32
	ds_bpermute_b32 v34, v25, v33
	s_waitcnt lgkmcnt(2)
	ds_bpermute_b32 v19, v25, v16
	s_waitcnt lgkmcnt(2)
	v_cmp_eq_f32_e64 s[4:5], v32, v20
	s_waitcnt lgkmcnt(1)
	v_cmp_lt_i32_e64 s[6:7], v34, v33
	v_cmp_lt_f32_e64 s[2:3], v32, v20
	s_and_b64 s[4:5], s[4:5], s[6:7]
	s_or_b64 s[2:3], s[2:3], s[4:5]
	v_cndmask_b32_e64 v16, v33, v34, s[2:3]
	s_and_saveexec_b64 s[6:7], s[0:1]
	s_cbranch_execnz .LBB141_20
; %bb.19:                               ;   in Loop: Header=BB141_10 Depth=1
	s_or_b64 exec, exec, s[6:7]
	s_add_i32 s25, s25, 1
	s_cmp_ge_i32 s25, s8
	s_cbranch_scc1 .LBB141_9
	s_branch .LBB141_21
.LBB141_20:                             ;   in Loop: Header=BB141_10 Depth=1
	s_waitcnt lgkmcnt(0)
	v_cndmask_b32_e64 v20, v18, v19, s[2:3]
	v_add_u32_e32 v18, s25, v28
	v_ashrrev_i32_e32 v19, 31, v18
	v_cmp_le_i32_e64 s[2:3], s9, v16
	v_cmp_gt_i32_e64 s[4:5], s10, v16
	v_lshlrev_b64 v[18:19], 2, v[18:19]
	s_and_b64 s[4:5], s[2:3], s[4:5]
	v_mov_b32_e32 v33, s17
	v_add_co_u32_e64 v32, s[2:3], s16, v18
	v_addc_co_u32_e64 v33, s[2:3], v33, v19, s[2:3]
	global_store_dword v[32:33], v20, off
	v_subrev_u32_e32 v32, s9, v16
	s_and_b64 s[2:3], s[18:19], s[4:5]
	v_cndmask_b32_e64 v34, v29, v32, s[2:3]
	v_mov_b32_e32 v33, s13
	v_add_co_u32_e64 v32, s[2:3], s12, v18
	v_addc_co_u32_e64 v33, s[2:3], v33, v19, s[2:3]
	global_store_dword v[32:33], v34, off
	v_mov_b32_e32 v32, s15
	v_add_co_u32_e64 v18, s[2:3], s14, v18
	v_addc_co_u32_e64 v19, s[2:3], v32, v19, s[2:3]
	global_store_dword v[18:19], v31, off
	v_add_f32_e32 v18, v27, v20
	v_cndmask_b32_e32 v27, v27, v18, vcc
	s_or_b64 exec, exec, s[6:7]
	s_add_i32 s25, s25, 1
	s_cmp_ge_i32 s25, s8
	s_cbranch_scc1 .LBB141_9
.LBB141_21:                             ;   in Loop: Header=BB141_10 Depth=1
	s_waitcnt lgkmcnt(0)
	v_ashrrev_i32_e32 v19, 31, v16
	v_lshrrev_b32_e32 v18, 29, v19
	v_add_u32_e32 v18, v16, v18
	v_ashrrev_i32_e32 v18, 3, v18
	v_lshrrev_b32_e32 v20, 28, v18
	v_add_u32_e32 v20, v18, v20
	v_and_b32_e32 v20, -16, v20
	v_sub_u32_e32 v20, v18, v20
	v_cmp_eq_u32_e64 s[2:3], v21, v20
	s_and_saveexec_b64 s[4:5], s[2:3]
	s_cbranch_execz .LBB141_8
; %bb.22:                               ;   in Loop: Header=BB141_10 Depth=1
	v_lshrrev_b32_e32 v19, 25, v19
	v_add_u32_e32 v19, v16, v19
	v_lshlrev_b32_e32 v18, 3, v18
	v_ashrrev_i32_e32 v19, 7, v19
	v_sub_u32_e32 v16, v16, v18
	v_lshl_add_u32 v16, v19, 3, v16
	v_cmp_ne_u32_e64 s[2:3], 7, v16
	v_cndmask_b32_e64 v15, v30, v15, s[2:3]
	v_cmp_ne_u32_e64 s[2:3], 6, v16
	v_cndmask_b32_e64 v14, v30, v14, s[2:3]
	;; [unrolled: 2-line block ×8, first 2 shown]
	s_branch .LBB141_8
.LBB141_23:
                                        ; implicit-def: $vgpr8_vgpr9_vgpr10_vgpr11_vgpr12_vgpr13_vgpr14_vgpr15
	s_andn2_b64 vcc, exec, s[6:7]
	s_cbranch_vccz .LBB141_5
	s_branch .LBB141_6
.LBB141_24:
	v_mov_b32_e32 v27, 0
.LBB141_25:
	v_cmp_eq_u32_e64 s[0:1], 0, v21
	s_and_b64 s[0:1], s[0:1], vcc
	s_and_b64 exec, exec, s[0:1]
	s_cbranch_execz .LBB141_34
; %bb.26:
	s_andn2_b64 vcc, exec, s[20:21]
	s_cbranch_vccnz .LBB141_34
; %bb.27:
	v_cmp_lt_f32_e32 vcc, 0, v27
	s_mov_b32 s2, 0
	v_cndmask_b32_e32 v0, 1.0, v27, vcc
	v_mul_lo_u32 v4, v17, s8
	s_cmp_eq_u32 s8, 1
	s_mov_b64 s[0:1], -1
	s_cbranch_scc1 .LBB141_31
; %bb.28:
	s_and_b32 s2, s8, 0x7ffffffe
	v_mov_b32_e32 v1, v0
	v_mov_b32_e32 v5, s17
	s_mov_b32 s3, s2
	v_mov_b32_e32 v2, v4
.LBB141_29:                             ; =>This Inner Loop Header: Depth=1
	v_ashrrev_i32_e32 v3, 31, v2
	v_lshlrev_b64 v[6:7], 2, v[2:3]
	v_add_co_u32_e32 v6, vcc, s16, v6
	v_addc_co_u32_e32 v7, vcc, v5, v7, vcc
	global_load_dwordx2 v[8:9], v[6:7], off
	s_add_i32 s3, s3, -2
	s_cmp_lg_u32 s3, 0
	v_add_u32_e32 v2, 2, v2
	s_waitcnt vmcnt(0)
	v_div_scale_f32 v3, s[0:1], v1, v1, v9
	v_div_scale_f32 v11, s[0:1], v0, v0, v8
	v_rcp_f32_e32 v12, v3
	v_rcp_f32_e32 v13, v11
	v_div_scale_f32 v10, vcc, v9, v1, v9
	v_fma_f32 v15, -v3, v12, 1.0
	v_fma_f32 v16, -v11, v13, 1.0
	v_fmac_f32_e32 v12, v15, v12
	v_div_scale_f32 v14, s[0:1], v8, v0, v8
	v_fmac_f32_e32 v13, v16, v13
	v_mul_f32_e32 v15, v10, v12
	v_mul_f32_e32 v16, v14, v13
	v_fma_f32 v17, -v3, v15, v10
	v_fma_f32 v18, -v11, v16, v14
	v_fmac_f32_e32 v15, v17, v12
	v_fmac_f32_e32 v16, v18, v13
	v_fma_f32 v3, -v3, v15, v10
	v_fma_f32 v10, -v11, v16, v14
	v_div_fmas_f32 v3, v3, v12, v15
	s_mov_b64 vcc, s[0:1]
	v_div_fixup_f32 v9, v3, v1, v9
	v_div_fmas_f32 v3, v10, v13, v16
	v_div_fixup_f32 v8, v3, v0, v8
	global_store_dwordx2 v[6:7], v[8:9], off
	s_cbranch_scc1 .LBB141_29
; %bb.30:
	s_cmp_lg_u32 s2, s8
	s_cselect_b64 s[0:1], -1, 0
.LBB141_31:
	s_and_b64 vcc, exec, s[0:1]
	s_cbranch_vccz .LBB141_34
; %bb.32:
	v_ashrrev_i32_e32 v1, 31, v4
	v_add_co_u32_e32 v2, vcc, s2, v4
	v_addc_co_u32_e32 v3, vcc, 0, v1, vcc
	v_lshlrev_b64 v[2:3], 2, v[2:3]
	v_mov_b32_e32 v1, s17
	v_add_co_u32_e32 v2, vcc, s16, v2
	s_sub_i32 s0, s8, s2
	v_addc_co_u32_e32 v3, vcc, v1, v3, vcc
.LBB141_33:                             ; =>This Inner Loop Header: Depth=1
	global_load_dword v1, v[2:3], off
	s_add_i32 s0, s0, -1
	s_cmp_lg_u32 s0, 0
	s_waitcnt vmcnt(0)
	v_div_scale_f32 v4, s[2:3], v0, v0, v1
	v_rcp_f32_e32 v5, v4
	v_div_scale_f32 v6, vcc, v1, v0, v1
	v_fma_f32 v7, -v4, v5, 1.0
	v_fmac_f32_e32 v5, v7, v5
	v_mul_f32_e32 v7, v6, v5
	v_fma_f32 v8, -v4, v7, v6
	v_fmac_f32_e32 v7, v8, v5
	v_fma_f32 v4, -v4, v7, v6
	v_div_fmas_f32 v4, v4, v5, v7
	v_div_fixup_f32 v1, v4, v0, v1
	global_store_dword v[2:3], v1, off
	v_add_co_u32_e32 v2, vcc, 4, v2
	v_addc_co_u32_e32 v3, vcc, 0, v3, vcc
	s_cbranch_scc1 .LBB141_33
.LBB141_34:
	s_endpgm
	.section	.rodata,"a",@progbits
	.p2align	6, 0x0
	.amdhsa_kernel _ZN4vllm3moe10topkGatingILi8ELi128ELi4ELi16ELi64Ei14__hip_bfloat16LNS0_11ScoringFuncE0EEEvPKT5_PKbPfiPT4_PiiiibPKf
		.amdhsa_group_segment_fixed_size 0
		.amdhsa_private_segment_fixed_size 0
		.amdhsa_kernarg_size 72
		.amdhsa_user_sgpr_count 6
		.amdhsa_user_sgpr_private_segment_buffer 1
		.amdhsa_user_sgpr_dispatch_ptr 0
		.amdhsa_user_sgpr_queue_ptr 0
		.amdhsa_user_sgpr_kernarg_segment_ptr 1
		.amdhsa_user_sgpr_dispatch_id 0
		.amdhsa_user_sgpr_flat_scratch_init 0
		.amdhsa_user_sgpr_kernarg_preload_length 0
		.amdhsa_user_sgpr_kernarg_preload_offset 0
		.amdhsa_user_sgpr_private_segment_size 0
		.amdhsa_uses_dynamic_stack 0
		.amdhsa_system_sgpr_private_segment_wavefront_offset 0
		.amdhsa_system_sgpr_workgroup_id_x 1
		.amdhsa_system_sgpr_workgroup_id_y 0
		.amdhsa_system_sgpr_workgroup_id_z 0
		.amdhsa_system_sgpr_workgroup_info 0
		.amdhsa_system_vgpr_workitem_id 1
		.amdhsa_next_free_vgpr 36
		.amdhsa_next_free_sgpr 26
		.amdhsa_accum_offset 36
		.amdhsa_reserve_vcc 1
		.amdhsa_reserve_flat_scratch 0
		.amdhsa_float_round_mode_32 0
		.amdhsa_float_round_mode_16_64 0
		.amdhsa_float_denorm_mode_32 3
		.amdhsa_float_denorm_mode_16_64 3
		.amdhsa_dx10_clamp 1
		.amdhsa_ieee_mode 1
		.amdhsa_fp16_overflow 0
		.amdhsa_tg_split 0
		.amdhsa_exception_fp_ieee_invalid_op 0
		.amdhsa_exception_fp_denorm_src 0
		.amdhsa_exception_fp_ieee_div_zero 0
		.amdhsa_exception_fp_ieee_overflow 0
		.amdhsa_exception_fp_ieee_underflow 0
		.amdhsa_exception_fp_ieee_inexact 0
		.amdhsa_exception_int_div_zero 0
	.end_amdhsa_kernel
	.section	.text._ZN4vllm3moe10topkGatingILi8ELi128ELi4ELi16ELi64Ei14__hip_bfloat16LNS0_11ScoringFuncE0EEEvPKT5_PKbPfiPT4_PiiiibPKf,"axG",@progbits,_ZN4vllm3moe10topkGatingILi8ELi128ELi4ELi16ELi64Ei14__hip_bfloat16LNS0_11ScoringFuncE0EEEvPKT5_PKbPfiPT4_PiiiibPKf,comdat
.Lfunc_end141:
	.size	_ZN4vllm3moe10topkGatingILi8ELi128ELi4ELi16ELi64Ei14__hip_bfloat16LNS0_11ScoringFuncE0EEEvPKT5_PKbPfiPT4_PiiiibPKf, .Lfunc_end141-_ZN4vllm3moe10topkGatingILi8ELi128ELi4ELi16ELi64Ei14__hip_bfloat16LNS0_11ScoringFuncE0EEEvPKT5_PKbPfiPT4_PiiiibPKf
                                        ; -- End function
	.section	.AMDGPU.csdata,"",@progbits
; Kernel info:
; codeLenInByte = 3148
; NumSgprs: 30
; NumVgprs: 36
; NumAgprs: 0
; TotalNumVgprs: 36
; ScratchSize: 0
; MemoryBound: 0
; FloatMode: 240
; IeeeMode: 1
; LDSByteSize: 0 bytes/workgroup (compile time only)
; SGPRBlocks: 3
; VGPRBlocks: 4
; NumSGPRsForWavesPerEU: 30
; NumVGPRsForWavesPerEU: 36
; AccumOffset: 36
; Occupancy: 8
; WaveLimiterHint : 0
; COMPUTE_PGM_RSRC2:SCRATCH_EN: 0
; COMPUTE_PGM_RSRC2:USER_SGPR: 6
; COMPUTE_PGM_RSRC2:TRAP_HANDLER: 0
; COMPUTE_PGM_RSRC2:TGID_X_EN: 1
; COMPUTE_PGM_RSRC2:TGID_Y_EN: 0
; COMPUTE_PGM_RSRC2:TGID_Z_EN: 0
; COMPUTE_PGM_RSRC2:TIDIG_COMP_CNT: 1
; COMPUTE_PGM_RSRC3_GFX90A:ACCUM_OFFSET: 8
; COMPUTE_PGM_RSRC3_GFX90A:TG_SPLIT: 0
	.section	.text._ZN4vllm3moe10topkGatingILi8ELi128ELi4ELi16ELi32Ei14__hip_bfloat16LNS0_11ScoringFuncE0EEEvPKT5_PKbPfiPT4_PiiiibPKf,"axG",@progbits,_ZN4vllm3moe10topkGatingILi8ELi128ELi4ELi16ELi32Ei14__hip_bfloat16LNS0_11ScoringFuncE0EEEvPKT5_PKbPfiPT4_PiiiibPKf,comdat
	.protected	_ZN4vllm3moe10topkGatingILi8ELi128ELi4ELi16ELi32Ei14__hip_bfloat16LNS0_11ScoringFuncE0EEEvPKT5_PKbPfiPT4_PiiiibPKf ; -- Begin function _ZN4vllm3moe10topkGatingILi8ELi128ELi4ELi16ELi32Ei14__hip_bfloat16LNS0_11ScoringFuncE0EEEvPKT5_PKbPfiPT4_PiiiibPKf
	.globl	_ZN4vllm3moe10topkGatingILi8ELi128ELi4ELi16ELi32Ei14__hip_bfloat16LNS0_11ScoringFuncE0EEEvPKT5_PKbPfiPT4_PiiiibPKf
	.p2align	8
	.type	_ZN4vllm3moe10topkGatingILi8ELi128ELi4ELi16ELi32Ei14__hip_bfloat16LNS0_11ScoringFuncE0EEEvPKT5_PKbPfiPT4_PiiiibPKf,@function
_ZN4vllm3moe10topkGatingILi8ELi128ELi4ELi16ELi32Ei14__hip_bfloat16LNS0_11ScoringFuncE0EEEvPKT5_PKbPfiPT4_PiiiibPKf: ; @_ZN4vllm3moe10topkGatingILi8ELi128ELi4ELi16ELi32Ei14__hip_bfloat16LNS0_11ScoringFuncE0EEEvPKT5_PKbPfiPT4_PiiiibPKf
; %bb.0:
	s_load_dword s24, s[4:5], 0x18
	v_bfe_u32 v1, v0, 10, 10
	v_and_b32_e32 v0, 0x3ff, v0
	s_lshl_b32 s0, s6, 3
	v_lshlrev_b32_e32 v1, 1, v1
	v_lshrrev_b32_e32 v2, 4, v0
	v_add3_u32 v17, s0, v1, v2
	s_waitcnt lgkmcnt(0)
	v_cmp_gt_i32_e32 vcc, s24, v17
	s_and_saveexec_b64 s[0:1], vcc
	s_cbranch_execz .LBB142_34
; %bb.1:
	s_load_dwordx4 s[0:3], s[4:5], 0x0
	s_load_dwordx2 s[16:17], s[4:5], 0x10
	s_mov_b64 s[6:7], -1
	s_mov_b64 s[18:19], -1
	s_waitcnt lgkmcnt(0)
	s_cmp_eq_u64 s[2:3], 0
	s_cbranch_scc1 .LBB142_3
; %bb.2:
	v_ashrrev_i32_e32 v1, 31, v17
	v_mov_b32_e32 v3, s3
	v_add_co_u32_e32 v2, vcc, s2, v17
	v_addc_co_u32_e32 v3, vcc, v3, v1, vcc
	global_load_ubyte v1, v[2:3], off
	s_waitcnt vmcnt(0)
	v_and_b32_e32 v1, 1, v1
	v_cmp_eq_u32_e32 vcc, 1, v1
	s_xor_b64 s[2:3], vcc, -1
	s_orn2_b64 s[18:19], s[2:3], exec
.LBB142_3:
	v_lshlrev_b32_e32 v2, 7, v17
	v_ashrrev_i32_e32 v3, 31, v2
	v_lshlrev_b64 v[2:3], 1, v[2:3]
	v_mov_b32_e32 v1, s1
	v_add_co_u32_e32 v2, vcc, s0, v2
	v_and_b32_e32 v21, 15, v0
	v_addc_co_u32_e32 v1, vcc, v1, v3, vcc
	v_lshlrev_b32_e32 v0, 4, v21
	v_add_co_u32_e32 v0, vcc, v2, v0
	v_addc_co_u32_e32 v1, vcc, 0, v1, vcc
	global_load_dwordx4 v[0:3], v[0:1], off
	v_mbcnt_lo_u32_b32 v4, -1, 0
	v_mbcnt_hi_u32_b32 v4, -1, v4
	v_and_b32_e32 v5, 0x70, v4
	v_xor_b32_e32 v6, 8, v4
	v_add_u32_e32 v5, 16, v5
	v_cmp_lt_i32_e32 vcc, v6, v5
	v_cndmask_b32_e32 v6, v4, v6, vcc
	v_lshlrev_b32_e32 v22, 2, v6
	v_xor_b32_e32 v12, 4, v4
	v_cmp_lt_i32_e32 vcc, v12, v5
	v_cndmask_b32_e32 v12, v4, v12, vcc
	v_lshlrev_b32_e32 v23, 2, v12
	v_xor_b32_e32 v12, 2, v4
	;; [unrolled: 4-line block ×3, first 2 shown]
	v_cmp_lt_i32_e32 vcc, v12, v5
	v_cndmask_b32_e32 v4, v4, v12, vcc
	v_lshlrev_b32_e32 v25, 2, v4
	s_mov_b32 s0, 0x3fb8aa3b
	s_mov_b32 s1, 0xc2ce8ed0
	;; [unrolled: 1-line block ×3, first 2 shown]
	s_waitcnt vmcnt(0)
	v_lshlrev_b32_e32 v6, 16, v0
	v_and_b32_e32 v7, 0xffff0000, v0
	v_max_f32_e32 v10, v7, v7
	v_max_f32_e32 v11, v6, v6
	v_lshlrev_b32_e32 v8, 16, v1
	v_and_b32_e32 v0, 0xffff0000, v1
	v_max_f32_e32 v10, v11, v10
	v_lshlrev_b32_e32 v1, 16, v2
	v_and_b32_e32 v2, 0xffff0000, v2
	v_max3_f32 v10, v10, v8, v0
	v_and_b32_e32 v9, 0xffff0000, v3
	v_lshlrev_b32_e32 v3, 16, v3
	v_max3_f32 v10, v10, v1, v2
	v_max3_f32 v10, v10, v3, v9
	ds_bpermute_b32 v11, v22, v10
	s_waitcnt lgkmcnt(0)
	v_max_f32_e32 v11, v11, v11
	v_max_f32_e32 v10, v10, v11
	ds_bpermute_b32 v11, v23, v10
	s_waitcnt lgkmcnt(0)
	v_max_f32_e32 v11, v11, v11
	v_max_f32_e32 v10, v10, v11
	;; [unrolled: 4-line block ×3, first 2 shown]
	ds_bpermute_b32 v5, v25, v4
	v_mov_b32_e32 v10, 0x7f800000
	s_waitcnt lgkmcnt(0)
	v_max_f32_e32 v5, v5, v5
	v_max_f32_e32 v4, v4, v5
	v_sub_f32_e32 v5, v6, v4
	v_sub_f32_e32 v6, v7, v4
	;; [unrolled: 1-line block ×3, first 2 shown]
	v_mul_f32_e32 v8, 0x3fb8aa3b, v5
	v_mul_f32_e32 v11, 0x3fb8aa3b, v6
	v_fma_f32 v15, v5, s0, -v8
	v_rndne_f32_e32 v16, v8
	v_pk_add_f32 v[0:1], v[0:1], v[4:5] op_sel_hi:[1,0] neg_lo:[0,1] neg_hi:[0,1]
	v_mul_f32_e32 v12, 0x3fb8aa3b, v7
	v_fma_f32 v18, v6, s0, -v11
	v_rndne_f32_e32 v19, v11
	v_fmac_f32_e32 v15, 0x32a5705f, v5
	v_sub_f32_e32 v8, v8, v16
	v_mul_f32_e32 v13, 0x3fb8aa3b, v1
	v_fma_f32 v20, v7, s0, -v12
	v_rndne_f32_e32 v26, v12
	v_fmac_f32_e32 v18, 0x32a5705f, v6
	v_sub_f32_e32 v11, v11, v19
	v_add_f32_e32 v8, v8, v15
	v_fma_f32 v27, v1, s0, -v13
	v_rndne_f32_e32 v28, v13
	v_cvt_i32_f32_e32 v16, v16
	v_fmac_f32_e32 v20, 0x32a5705f, v7
	v_sub_f32_e32 v12, v12, v26
	v_add_f32_e32 v11, v11, v18
	v_exp_f32_e32 v8, v8
	v_cvt_i32_f32_e32 v19, v19
	v_fmac_f32_e32 v27, 0x32a5705f, v1
	v_sub_f32_e32 v13, v13, v28
	v_add_f32_e32 v12, v12, v20
	v_exp_f32_e32 v11, v11
	v_cvt_i32_f32_e32 v26, v26
	v_add_f32_e32 v13, v13, v27
	v_exp_f32_e32 v12, v12
	v_cvt_i32_f32_e32 v28, v28
	v_exp_f32_e32 v13, v13
	v_mul_f32_e32 v14, 0x3fb8aa3b, v0
	v_ldexp_f32 v8, v8, v16
	v_cmp_ngt_f32_e32 vcc, s1, v5
	v_fma_f32 v29, v0, s0, -v14
	v_rndne_f32_e32 v30, v14
	v_ldexp_f32 v11, v11, v19
	v_cndmask_b32_e32 v8, 0, v8, vcc
	v_cmp_ngt_f32_e32 vcc, s1, v6
	v_fmac_f32_e32 v29, 0x32a5705f, v0
	v_sub_f32_e32 v14, v14, v30
	v_ldexp_f32 v12, v12, v26
	v_cndmask_b32_e32 v11, 0, v11, vcc
	v_cmp_ngt_f32_e32 vcc, s1, v7
	v_add_f32_e32 v14, v14, v29
	v_ldexp_f32 v13, v13, v28
	v_cndmask_b32_e32 v12, 0, v12, vcc
	v_cmp_ngt_f32_e32 vcc, s1, v1
	v_cvt_i32_f32_e32 v30, v30
	v_exp_f32_e32 v14, v14
	v_cndmask_b32_e32 v13, 0, v13, vcc
	v_cmp_nlt_f32_e32 vcc, s2, v5
	v_cndmask_b32_e32 v5, v10, v8, vcc
	v_cmp_nlt_f32_e32 vcc, s2, v6
	v_cndmask_b32_e32 v6, v10, v11, vcc
	v_cmp_nlt_f32_e32 vcc, s2, v7
	v_cndmask_b32_e32 v7, v10, v12, vcc
	v_cmp_nlt_f32_e32 vcc, s2, v1
	v_pk_add_f32 v[2:3], v[2:3], v[4:5] op_sel_hi:[1,0] neg_lo:[0,1] neg_hi:[0,1]
	v_ldexp_f32 v14, v14, v30
	v_cndmask_b32_e32 v1, v10, v13, vcc
	v_cmp_ngt_f32_e32 vcc, s1, v0
	v_mul_f32_e32 v12, 0x3fb8aa3b, v3
	v_cndmask_b32_e32 v11, 0, v14, vcc
	v_fma_f32 v13, v3, s0, -v12
	v_rndne_f32_e32 v14, v12
	v_fmac_f32_e32 v13, 0x32a5705f, v3
	v_sub_f32_e32 v12, v12, v14
	v_add_f32_e32 v12, v12, v13
	v_exp_f32_e32 v12, v12
	v_cvt_i32_f32_e32 v13, v14
	v_cmp_nlt_f32_e32 vcc, s2, v0
	v_cndmask_b32_e32 v0, v10, v11, vcc
	v_cmp_ngt_f32_e32 vcc, s1, v3
	v_ldexp_f32 v11, v12, v13
	v_mul_f32_e32 v12, 0x3fb8aa3b, v2
	v_fma_f32 v13, v2, s0, -v12
	v_rndne_f32_e32 v14, v12
	v_fmac_f32_e32 v13, 0x32a5705f, v2
	v_sub_f32_e32 v12, v12, v14
	v_add_f32_e32 v12, v12, v13
	v_exp_f32_e32 v12, v12
	v_cvt_i32_f32_e32 v13, v14
	v_sub_f32_e32 v4, v9, v4
	v_cndmask_b32_e32 v11, 0, v11, vcc
	v_cmp_nlt_f32_e32 vcc, s2, v3
	v_mul_f32_e32 v9, 0x3fb8aa3b, v4
	v_cndmask_b32_e32 v3, v10, v11, vcc
	v_ldexp_f32 v11, v12, v13
	v_fma_f32 v12, v4, s0, -v9
	v_rndne_f32_e32 v13, v9
	v_fmac_f32_e32 v12, 0x32a5705f, v4
	v_sub_f32_e32 v9, v9, v13
	v_add_f32_e32 v9, v9, v12
	v_exp_f32_e32 v9, v9
	v_cvt_i32_f32_e32 v12, v13
	v_add_f32_e32 v8, v5, v6
	v_add_f32_e32 v8, v8, v7
	v_cmp_ngt_f32_e32 vcc, s1, v2
	v_add_f32_e32 v8, v8, v0
	v_cndmask_b32_e32 v11, 0, v11, vcc
	v_cmp_nlt_f32_e32 vcc, s2, v2
	v_add_f32_e32 v8, v8, v1
	v_cndmask_b32_e32 v2, v10, v11, vcc
	v_ldexp_f32 v9, v9, v12
	v_cmp_ngt_f32_e32 vcc, s1, v4
	v_add_f32_e32 v8, v8, v2
	v_cndmask_b32_e32 v9, 0, v9, vcc
	v_cmp_nlt_f32_e32 vcc, s2, v4
	v_add_f32_e32 v8, v8, v3
	v_cndmask_b32_e32 v10, v10, v9, vcc
	v_add_f32_e32 v4, v8, v10
	ds_bpermute_b32 v8, v22, v4
	s_movk_i32 s2, 0x1f8
	v_lshlrev_b32_e32 v26, 3, v21
	s_waitcnt lgkmcnt(0)
	v_add_f32_e32 v4, v4, v8
	ds_bpermute_b32 v8, v23, v4
	s_waitcnt lgkmcnt(0)
	v_add_f32_e32 v4, v4, v8
	ds_bpermute_b32 v8, v24, v4
	;; [unrolled: 3-line block ×3, first 2 shown]
	s_waitcnt lgkmcnt(0)
	v_add_f32_e32 v4, v4, v8
	v_div_scale_f32 v8, s[0:1], v4, v4, 1.0
	v_rcp_f32_e32 v9, v8
	s_load_dwordx2 s[0:1], s[4:5], 0x40
	v_fma_f32 v11, -v8, v9, 1.0
	v_fmac_f32_e32 v9, v11, v9
	v_div_scale_f32 v11, vcc, 1.0, v4, 1.0
	v_mul_f32_e32 v12, v11, v9
	v_fma_f32 v13, -v8, v12, v11
	v_fmac_f32_e32 v12, v13, v9
	v_fma_f32 v8, -v8, v12, v11
	v_div_fmas_f32 v8, v8, v9, v12
	v_div_fixup_f32 v4, v8, v4, 1.0
	v_mul_f32_e32 v5, v4, v5
	v_mul_f32_e32 v11, v4, v6
	v_cmp_class_f32_e64 vcc, v5, s2
	v_mul_f32_e32 v12, v4, v7
	v_pk_mul_f32 v[6:7], v[4:5], v[0:1] op_sel_hi:[0,1]
	v_cndmask_b32_e32 v0, 0, v5, vcc
	v_cmp_class_f32_e64 vcc, v11, s2
	v_pk_mul_f32 v[8:9], v[4:5], v[2:3] op_sel_hi:[0,1]
	v_cndmask_b32_e32 v1, 0, v11, vcc
	v_cmp_class_f32_e64 vcc, v12, s2
	v_mov_b32_e32 v5, 0x207
	v_cndmask_b32_e32 v2, 0, v12, vcc
	v_cmp_class_f32_e32 vcc, v7, v5
	v_mul_f32_e32 v10, v4, v10
	v_cndmask_b32_e64 v4, v7, 0, vcc
	v_cmp_class_f32_e32 vcc, v6, v5
	v_cndmask_b32_e64 v3, v6, 0, vcc
	v_cmp_class_f32_e32 vcc, v9, v5
	;; [unrolled: 2-line block ×3, first 2 shown]
	v_cndmask_b32_e64 v5, v8, 0, vcc
	v_cmp_class_f32_e64 vcc, v10, s2
	s_waitcnt lgkmcnt(0)
	s_cmp_eq_u64 s[0:1], 0
	v_cndmask_b32_e32 v7, 0, v10, vcc
	s_cbranch_scc1 .LBB142_23
; %bb.4:
	v_lshlrev_b32_e32 v16, 2, v26
	global_load_dwordx4 v[8:11], v16, s[0:1]
	global_load_dwordx4 v[12:15], v16, s[0:1] offset:16
	s_waitcnt vmcnt(1)
	v_pk_add_f32 v[8:9], v[8:9], v[0:1]
	v_pk_add_f32 v[10:11], v[10:11], v[2:3]
	s_waitcnt vmcnt(0)
	v_pk_add_f32 v[12:13], v[12:13], v[4:5]
	v_pk_add_f32 v[14:15], v[14:15], v[6:7]
	s_cbranch_execnz .LBB142_6
.LBB142_5:
	v_pk_mov_b32 v[14:15], v[6:7], v[6:7] op_sel:[0,1]
	v_pk_mov_b32 v[12:13], v[4:5], v[4:5] op_sel:[0,1]
	;; [unrolled: 1-line block ×4, first 2 shown]
.LBB142_6:
	s_load_dwordx4 s[8:11], s[4:5], 0x30
	s_mov_b32 s25, 0
	v_cmp_eq_u32_e64 s[0:1], 0, v21
	s_waitcnt lgkmcnt(0)
	s_bitcmp1_b32 s11, 0
	s_cselect_b64 vcc, -1, 0
	s_cmp_gt_i32 s8, 0
	s_cselect_b64 s[20:21], -1, 0
	s_cmp_lt_i32 s8, 1
	s_cbranch_scc1 .LBB142_24
; %bb.7:
	s_load_dwordx4 s[12:15], s[4:5], 0x20
	v_mul_lo_u32 v28, v17, s8
	v_mov_b32_e32 v27, 0
	v_mov_b32_e32 v29, 0x80
	;; [unrolled: 1-line block ×4, first 2 shown]
	s_branch .LBB142_10
.LBB142_8:                              ;   in Loop: Header=BB142_10 Depth=1
	s_or_b64 exec, exec, s[4:5]
.LBB142_9:                              ;   in Loop: Header=BB142_10 Depth=1
	s_cmp_eq_u32 s8, s25
	v_add_u32_e32 v31, s24, v31
	s_cbranch_scc1 .LBB142_25
.LBB142_10:                             ; =>This Inner Loop Header: Depth=1
	v_cmp_gt_f32_e64 s[2:3], v9, v8
	v_cndmask_b32_e64 v16, v8, v9, s[2:3]
	v_cndmask_b32_e64 v18, v0, v1, s[2:3]
	s_waitcnt lgkmcnt(0)
	v_cndmask_b32_e64 v19, 0, 1, s[2:3]
	v_cmp_gt_f32_e64 s[2:3], v10, v16
	v_cndmask_b32_e64 v16, v16, v10, s[2:3]
	v_cndmask_b32_e64 v18, v18, v2, s[2:3]
	v_cndmask_b32_e64 v19, v19, 2, s[2:3]
	v_cmp_gt_f32_e64 s[2:3], v11, v16
	v_cndmask_b32_e64 v16, v16, v11, s[2:3]
	v_cndmask_b32_e64 v18, v18, v3, s[2:3]
	;; [unrolled: 4-line block ×6, first 2 shown]
	v_or_b32_e32 v19, v26, v19
	ds_bpermute_b32 v20, v22, v16
	ds_bpermute_b32 v32, v22, v19
	v_cndmask_b32_e64 v18, v18, v7, s[2:3]
	ds_bpermute_b32 v34, v22, v18
	s_waitcnt lgkmcnt(0)
	v_cmp_eq_f32_e64 s[4:5], v16, v20
	v_cmp_lt_i32_e64 s[6:7], v32, v19
	v_cmp_lt_f32_e64 s[2:3], v16, v20
	s_and_b64 s[4:5], s[4:5], s[6:7]
	s_or_b64 s[2:3], s[2:3], s[4:5]
	v_cndmask_b32_e64 v33, v19, v32, s[2:3]
	v_cndmask_b32_e64 v32, v16, v20, s[2:3]
	;; [unrolled: 1-line block ×3, first 2 shown]
	ds_bpermute_b32 v35, v23, v32
	ds_bpermute_b32 v20, v23, v16
	;; [unrolled: 1-line block ×3, first 2 shown]
                                        ; implicit-def: $vgpr18_vgpr19
	s_waitcnt lgkmcnt(2)
	v_cmp_lt_f32_e64 s[6:7], v32, v35
	v_cmp_nlt_f32_e64 s[2:3], v32, v35
	s_and_saveexec_b64 s[22:23], s[2:3]
	s_cbranch_execz .LBB142_12
; %bb.11:                               ;   in Loop: Header=BB142_10 Depth=1
	v_cmp_eq_f32_e64 s[2:3], v32, v35
	s_waitcnt lgkmcnt(0)
	v_cmp_lt_i32_e64 s[4:5], v34, v33
	s_and_b64 s[2:3], s[2:3], s[4:5]
	s_andn2_b64 s[4:5], s[6:7], exec
	s_and_b64 s[2:3], s[2:3], exec
	s_or_b64 s[6:7], s[4:5], s[2:3]
	v_pk_mov_b32 v[18:19], v[16:17], v[16:17] op_sel:[0,1]
.LBB142_12:                             ;   in Loop: Header=BB142_10 Depth=1
	s_or_b64 exec, exec, s[22:23]
	s_and_saveexec_b64 s[2:3], s[6:7]
	s_cbranch_execz .LBB142_14
; %bb.13:                               ;   in Loop: Header=BB142_10 Depth=1
	v_mov_b32_e32 v32, v35
	s_waitcnt lgkmcnt(1)
	v_mov_b32_e32 v16, v20
	s_waitcnt lgkmcnt(0)
	v_mov_b32_e32 v33, v34
	v_pk_mov_b32 v[18:19], v[20:21], v[20:21] op_sel:[0,1]
.LBB142_14:                             ;   in Loop: Header=BB142_10 Depth=1
	s_or_b64 exec, exec, s[2:3]
	s_waitcnt lgkmcnt(0)
	ds_bpermute_b32 v34, v24, v32
	ds_bpermute_b32 v20, v24, v16
	;; [unrolled: 1-line block ×3, first 2 shown]
	s_waitcnt lgkmcnt(2)
	v_cmp_lt_f32_e64 s[6:7], v32, v34
	v_cmp_nlt_f32_e64 s[2:3], v32, v34
	s_and_saveexec_b64 s[22:23], s[2:3]
	s_cbranch_execz .LBB142_16
; %bb.15:                               ;   in Loop: Header=BB142_10 Depth=1
	v_cmp_eq_f32_e64 s[2:3], v32, v34
	s_waitcnt lgkmcnt(0)
	v_cmp_lt_i32_e64 s[4:5], v19, v33
	s_and_b64 s[2:3], s[2:3], s[4:5]
	s_andn2_b64 s[4:5], s[6:7], exec
	s_and_b64 s[2:3], s[2:3], exec
	s_or_b64 s[6:7], s[4:5], s[2:3]
.LBB142_16:                             ;   in Loop: Header=BB142_10 Depth=1
	s_or_b64 exec, exec, s[22:23]
	s_and_saveexec_b64 s[2:3], s[6:7]
	s_cbranch_execz .LBB142_18
; %bb.17:                               ;   in Loop: Header=BB142_10 Depth=1
	v_mov_b32_e32 v32, v34
	s_waitcnt lgkmcnt(1)
	v_mov_b32_e32 v16, v20
	s_waitcnt lgkmcnt(0)
	v_mov_b32_e32 v33, v19
	v_pk_mov_b32 v[18:19], v[20:21], v[20:21] op_sel:[0,1]
.LBB142_18:                             ;   in Loop: Header=BB142_10 Depth=1
	s_or_b64 exec, exec, s[2:3]
	s_waitcnt lgkmcnt(1)
	ds_bpermute_b32 v20, v25, v32
	ds_bpermute_b32 v34, v25, v33
	s_waitcnt lgkmcnt(2)
	ds_bpermute_b32 v19, v25, v16
	s_waitcnt lgkmcnt(2)
	v_cmp_eq_f32_e64 s[4:5], v32, v20
	s_waitcnt lgkmcnt(1)
	v_cmp_lt_i32_e64 s[6:7], v34, v33
	v_cmp_lt_f32_e64 s[2:3], v32, v20
	s_and_b64 s[4:5], s[4:5], s[6:7]
	s_or_b64 s[2:3], s[2:3], s[4:5]
	v_cndmask_b32_e64 v16, v33, v34, s[2:3]
	s_and_saveexec_b64 s[6:7], s[0:1]
	s_cbranch_execnz .LBB142_20
; %bb.19:                               ;   in Loop: Header=BB142_10 Depth=1
	s_or_b64 exec, exec, s[6:7]
	s_add_i32 s25, s25, 1
	s_cmp_ge_i32 s25, s8
	s_cbranch_scc1 .LBB142_9
	s_branch .LBB142_21
.LBB142_20:                             ;   in Loop: Header=BB142_10 Depth=1
	s_waitcnt lgkmcnt(0)
	v_cndmask_b32_e64 v20, v18, v19, s[2:3]
	v_add_u32_e32 v18, s25, v28
	v_ashrrev_i32_e32 v19, 31, v18
	v_cmp_le_i32_e64 s[2:3], s9, v16
	v_cmp_gt_i32_e64 s[4:5], s10, v16
	v_lshlrev_b64 v[18:19], 2, v[18:19]
	s_and_b64 s[4:5], s[2:3], s[4:5]
	v_mov_b32_e32 v33, s17
	v_add_co_u32_e64 v32, s[2:3], s16, v18
	v_addc_co_u32_e64 v33, s[2:3], v33, v19, s[2:3]
	global_store_dword v[32:33], v20, off
	v_subrev_u32_e32 v32, s9, v16
	s_and_b64 s[2:3], s[18:19], s[4:5]
	v_cndmask_b32_e64 v34, v29, v32, s[2:3]
	v_mov_b32_e32 v33, s13
	v_add_co_u32_e64 v32, s[2:3], s12, v18
	v_addc_co_u32_e64 v33, s[2:3], v33, v19, s[2:3]
	global_store_dword v[32:33], v34, off
	v_mov_b32_e32 v32, s15
	v_add_co_u32_e64 v18, s[2:3], s14, v18
	v_addc_co_u32_e64 v19, s[2:3], v32, v19, s[2:3]
	global_store_dword v[18:19], v31, off
	v_add_f32_e32 v18, v27, v20
	v_cndmask_b32_e32 v27, v27, v18, vcc
	s_or_b64 exec, exec, s[6:7]
	s_add_i32 s25, s25, 1
	s_cmp_ge_i32 s25, s8
	s_cbranch_scc1 .LBB142_9
.LBB142_21:                             ;   in Loop: Header=BB142_10 Depth=1
	s_waitcnt lgkmcnt(0)
	v_ashrrev_i32_e32 v19, 31, v16
	v_lshrrev_b32_e32 v18, 29, v19
	v_add_u32_e32 v18, v16, v18
	v_ashrrev_i32_e32 v18, 3, v18
	v_lshrrev_b32_e32 v20, 28, v18
	v_add_u32_e32 v20, v18, v20
	v_and_b32_e32 v20, -16, v20
	v_sub_u32_e32 v20, v18, v20
	v_cmp_eq_u32_e64 s[2:3], v21, v20
	s_and_saveexec_b64 s[4:5], s[2:3]
	s_cbranch_execz .LBB142_8
; %bb.22:                               ;   in Loop: Header=BB142_10 Depth=1
	v_lshrrev_b32_e32 v19, 25, v19
	v_add_u32_e32 v19, v16, v19
	v_lshlrev_b32_e32 v18, 3, v18
	v_ashrrev_i32_e32 v19, 7, v19
	v_sub_u32_e32 v16, v16, v18
	v_lshl_add_u32 v16, v19, 3, v16
	v_cmp_ne_u32_e64 s[2:3], 7, v16
	v_cndmask_b32_e64 v15, v30, v15, s[2:3]
	v_cmp_ne_u32_e64 s[2:3], 6, v16
	v_cndmask_b32_e64 v14, v30, v14, s[2:3]
	;; [unrolled: 2-line block ×8, first 2 shown]
	s_branch .LBB142_8
.LBB142_23:
                                        ; implicit-def: $vgpr8_vgpr9_vgpr10_vgpr11_vgpr12_vgpr13_vgpr14_vgpr15
	s_andn2_b64 vcc, exec, s[6:7]
	s_cbranch_vccz .LBB142_5
	s_branch .LBB142_6
.LBB142_24:
	v_mov_b32_e32 v27, 0
.LBB142_25:
	v_cmp_eq_u32_e64 s[0:1], 0, v21
	s_and_b64 s[0:1], s[0:1], vcc
	s_and_b64 exec, exec, s[0:1]
	s_cbranch_execz .LBB142_34
; %bb.26:
	s_andn2_b64 vcc, exec, s[20:21]
	s_cbranch_vccnz .LBB142_34
; %bb.27:
	v_cmp_lt_f32_e32 vcc, 0, v27
	s_mov_b32 s2, 0
	v_cndmask_b32_e32 v0, 1.0, v27, vcc
	v_mul_lo_u32 v4, v17, s8
	s_cmp_eq_u32 s8, 1
	s_mov_b64 s[0:1], -1
	s_cbranch_scc1 .LBB142_31
; %bb.28:
	s_and_b32 s2, s8, 0x7ffffffe
	v_mov_b32_e32 v1, v0
	v_mov_b32_e32 v5, s17
	s_mov_b32 s3, s2
	v_mov_b32_e32 v2, v4
.LBB142_29:                             ; =>This Inner Loop Header: Depth=1
	v_ashrrev_i32_e32 v3, 31, v2
	v_lshlrev_b64 v[6:7], 2, v[2:3]
	v_add_co_u32_e32 v6, vcc, s16, v6
	v_addc_co_u32_e32 v7, vcc, v5, v7, vcc
	global_load_dwordx2 v[8:9], v[6:7], off
	s_add_i32 s3, s3, -2
	s_cmp_lg_u32 s3, 0
	v_add_u32_e32 v2, 2, v2
	s_waitcnt vmcnt(0)
	v_div_scale_f32 v3, s[0:1], v1, v1, v9
	v_div_scale_f32 v11, s[0:1], v0, v0, v8
	v_rcp_f32_e32 v12, v3
	v_rcp_f32_e32 v13, v11
	v_div_scale_f32 v10, vcc, v9, v1, v9
	v_fma_f32 v15, -v3, v12, 1.0
	v_fma_f32 v16, -v11, v13, 1.0
	v_fmac_f32_e32 v12, v15, v12
	v_div_scale_f32 v14, s[0:1], v8, v0, v8
	v_fmac_f32_e32 v13, v16, v13
	v_mul_f32_e32 v15, v10, v12
	v_mul_f32_e32 v16, v14, v13
	v_fma_f32 v17, -v3, v15, v10
	v_fma_f32 v18, -v11, v16, v14
	v_fmac_f32_e32 v15, v17, v12
	v_fmac_f32_e32 v16, v18, v13
	v_fma_f32 v3, -v3, v15, v10
	v_fma_f32 v10, -v11, v16, v14
	v_div_fmas_f32 v3, v3, v12, v15
	s_mov_b64 vcc, s[0:1]
	v_div_fixup_f32 v9, v3, v1, v9
	v_div_fmas_f32 v3, v10, v13, v16
	v_div_fixup_f32 v8, v3, v0, v8
	global_store_dwordx2 v[6:7], v[8:9], off
	s_cbranch_scc1 .LBB142_29
; %bb.30:
	s_cmp_lg_u32 s2, s8
	s_cselect_b64 s[0:1], -1, 0
.LBB142_31:
	s_and_b64 vcc, exec, s[0:1]
	s_cbranch_vccz .LBB142_34
; %bb.32:
	v_ashrrev_i32_e32 v1, 31, v4
	v_add_co_u32_e32 v2, vcc, s2, v4
	v_addc_co_u32_e32 v3, vcc, 0, v1, vcc
	v_lshlrev_b64 v[2:3], 2, v[2:3]
	v_mov_b32_e32 v1, s17
	v_add_co_u32_e32 v2, vcc, s16, v2
	s_sub_i32 s0, s8, s2
	v_addc_co_u32_e32 v3, vcc, v1, v3, vcc
.LBB142_33:                             ; =>This Inner Loop Header: Depth=1
	global_load_dword v1, v[2:3], off
	s_add_i32 s0, s0, -1
	s_cmp_lg_u32 s0, 0
	s_waitcnt vmcnt(0)
	v_div_scale_f32 v4, s[2:3], v0, v0, v1
	v_rcp_f32_e32 v5, v4
	v_div_scale_f32 v6, vcc, v1, v0, v1
	v_fma_f32 v7, -v4, v5, 1.0
	v_fmac_f32_e32 v5, v7, v5
	v_mul_f32_e32 v7, v6, v5
	v_fma_f32 v8, -v4, v7, v6
	v_fmac_f32_e32 v7, v8, v5
	v_fma_f32 v4, -v4, v7, v6
	v_div_fmas_f32 v4, v4, v5, v7
	v_div_fixup_f32 v1, v4, v0, v1
	global_store_dword v[2:3], v1, off
	v_add_co_u32_e32 v2, vcc, 4, v2
	v_addc_co_u32_e32 v3, vcc, 0, v3, vcc
	s_cbranch_scc1 .LBB142_33
.LBB142_34:
	s_endpgm
	.section	.rodata,"a",@progbits
	.p2align	6, 0x0
	.amdhsa_kernel _ZN4vllm3moe10topkGatingILi8ELi128ELi4ELi16ELi32Ei14__hip_bfloat16LNS0_11ScoringFuncE0EEEvPKT5_PKbPfiPT4_PiiiibPKf
		.amdhsa_group_segment_fixed_size 0
		.amdhsa_private_segment_fixed_size 0
		.amdhsa_kernarg_size 72
		.amdhsa_user_sgpr_count 6
		.amdhsa_user_sgpr_private_segment_buffer 1
		.amdhsa_user_sgpr_dispatch_ptr 0
		.amdhsa_user_sgpr_queue_ptr 0
		.amdhsa_user_sgpr_kernarg_segment_ptr 1
		.amdhsa_user_sgpr_dispatch_id 0
		.amdhsa_user_sgpr_flat_scratch_init 0
		.amdhsa_user_sgpr_kernarg_preload_length 0
		.amdhsa_user_sgpr_kernarg_preload_offset 0
		.amdhsa_user_sgpr_private_segment_size 0
		.amdhsa_uses_dynamic_stack 0
		.amdhsa_system_sgpr_private_segment_wavefront_offset 0
		.amdhsa_system_sgpr_workgroup_id_x 1
		.amdhsa_system_sgpr_workgroup_id_y 0
		.amdhsa_system_sgpr_workgroup_id_z 0
		.amdhsa_system_sgpr_workgroup_info 0
		.amdhsa_system_vgpr_workitem_id 1
		.amdhsa_next_free_vgpr 36
		.amdhsa_next_free_sgpr 26
		.amdhsa_accum_offset 36
		.amdhsa_reserve_vcc 1
		.amdhsa_reserve_flat_scratch 0
		.amdhsa_float_round_mode_32 0
		.amdhsa_float_round_mode_16_64 0
		.amdhsa_float_denorm_mode_32 3
		.amdhsa_float_denorm_mode_16_64 3
		.amdhsa_dx10_clamp 1
		.amdhsa_ieee_mode 1
		.amdhsa_fp16_overflow 0
		.amdhsa_tg_split 0
		.amdhsa_exception_fp_ieee_invalid_op 0
		.amdhsa_exception_fp_denorm_src 0
		.amdhsa_exception_fp_ieee_div_zero 0
		.amdhsa_exception_fp_ieee_overflow 0
		.amdhsa_exception_fp_ieee_underflow 0
		.amdhsa_exception_fp_ieee_inexact 0
		.amdhsa_exception_int_div_zero 0
	.end_amdhsa_kernel
	.section	.text._ZN4vllm3moe10topkGatingILi8ELi128ELi4ELi16ELi32Ei14__hip_bfloat16LNS0_11ScoringFuncE0EEEvPKT5_PKbPfiPT4_PiiiibPKf,"axG",@progbits,_ZN4vllm3moe10topkGatingILi8ELi128ELi4ELi16ELi32Ei14__hip_bfloat16LNS0_11ScoringFuncE0EEEvPKT5_PKbPfiPT4_PiiiibPKf,comdat
.Lfunc_end142:
	.size	_ZN4vllm3moe10topkGatingILi8ELi128ELi4ELi16ELi32Ei14__hip_bfloat16LNS0_11ScoringFuncE0EEEvPKT5_PKbPfiPT4_PiiiibPKf, .Lfunc_end142-_ZN4vllm3moe10topkGatingILi8ELi128ELi4ELi16ELi32Ei14__hip_bfloat16LNS0_11ScoringFuncE0EEEvPKT5_PKbPfiPT4_PiiiibPKf
                                        ; -- End function
	.section	.AMDGPU.csdata,"",@progbits
; Kernel info:
; codeLenInByte = 3148
; NumSgprs: 30
; NumVgprs: 36
; NumAgprs: 0
; TotalNumVgprs: 36
; ScratchSize: 0
; MemoryBound: 0
; FloatMode: 240
; IeeeMode: 1
; LDSByteSize: 0 bytes/workgroup (compile time only)
; SGPRBlocks: 3
; VGPRBlocks: 4
; NumSGPRsForWavesPerEU: 30
; NumVGPRsForWavesPerEU: 36
; AccumOffset: 36
; Occupancy: 8
; WaveLimiterHint : 0
; COMPUTE_PGM_RSRC2:SCRATCH_EN: 0
; COMPUTE_PGM_RSRC2:USER_SGPR: 6
; COMPUTE_PGM_RSRC2:TRAP_HANDLER: 0
; COMPUTE_PGM_RSRC2:TGID_X_EN: 1
; COMPUTE_PGM_RSRC2:TGID_Y_EN: 0
; COMPUTE_PGM_RSRC2:TGID_Z_EN: 0
; COMPUTE_PGM_RSRC2:TIDIG_COMP_CNT: 1
; COMPUTE_PGM_RSRC3_GFX90A:ACCUM_OFFSET: 8
; COMPUTE_PGM_RSRC3_GFX90A:TG_SPLIT: 0
	.section	.text._ZN4vllm3moe10topkGatingILi8ELi256ELi4ELi16ELi64Ei14__hip_bfloat16LNS0_11ScoringFuncE0EEEvPKT5_PKbPfiPT4_PiiiibPKf,"axG",@progbits,_ZN4vllm3moe10topkGatingILi8ELi256ELi4ELi16ELi64Ei14__hip_bfloat16LNS0_11ScoringFuncE0EEEvPKT5_PKbPfiPT4_PiiiibPKf,comdat
	.protected	_ZN4vllm3moe10topkGatingILi8ELi256ELi4ELi16ELi64Ei14__hip_bfloat16LNS0_11ScoringFuncE0EEEvPKT5_PKbPfiPT4_PiiiibPKf ; -- Begin function _ZN4vllm3moe10topkGatingILi8ELi256ELi4ELi16ELi64Ei14__hip_bfloat16LNS0_11ScoringFuncE0EEEvPKT5_PKbPfiPT4_PiiiibPKf
	.globl	_ZN4vllm3moe10topkGatingILi8ELi256ELi4ELi16ELi64Ei14__hip_bfloat16LNS0_11ScoringFuncE0EEEvPKT5_PKbPfiPT4_PiiiibPKf
	.p2align	8
	.type	_ZN4vllm3moe10topkGatingILi8ELi256ELi4ELi16ELi64Ei14__hip_bfloat16LNS0_11ScoringFuncE0EEEvPKT5_PKbPfiPT4_PiiiibPKf,@function
_ZN4vllm3moe10topkGatingILi8ELi256ELi4ELi16ELi64Ei14__hip_bfloat16LNS0_11ScoringFuncE0EEEvPKT5_PKbPfiPT4_PiiiibPKf: ; @_ZN4vllm3moe10topkGatingILi8ELi256ELi4ELi16ELi64Ei14__hip_bfloat16LNS0_11ScoringFuncE0EEEvPKT5_PKbPfiPT4_PiiiibPKf
; %bb.0:
	s_load_dword s24, s[4:5], 0x18
	v_bfe_u32 v1, v0, 10, 10
	v_and_b32_e32 v0, 0x3ff, v0
	s_lshl_b32 s0, s6, 3
	v_lshlrev_b32_e32 v1, 1, v1
	v_lshrrev_b32_e32 v2, 5, v0
	v_add3_u32 v17, s0, v1, v2
	s_waitcnt lgkmcnt(0)
	v_cmp_gt_i32_e32 vcc, s24, v17
	s_and_saveexec_b64 s[0:1], vcc
	s_cbranch_execz .LBB143_38
; %bb.1:
	s_load_dwordx4 s[0:3], s[4:5], 0x0
	s_load_dwordx2 s[16:17], s[4:5], 0x10
	s_mov_b64 s[6:7], -1
	s_mov_b64 s[18:19], -1
	s_waitcnt lgkmcnt(0)
	s_cmp_eq_u64 s[2:3], 0
	s_cbranch_scc1 .LBB143_3
; %bb.2:
	v_ashrrev_i32_e32 v1, 31, v17
	v_mov_b32_e32 v3, s3
	v_add_co_u32_e32 v2, vcc, s2, v17
	v_addc_co_u32_e32 v3, vcc, v3, v1, vcc
	global_load_ubyte v1, v[2:3], off
	s_waitcnt vmcnt(0)
	v_and_b32_e32 v1, 1, v1
	v_cmp_eq_u32_e32 vcc, 1, v1
	s_xor_b64 s[2:3], vcc, -1
	s_orn2_b64 s[18:19], s[2:3], exec
.LBB143_3:
	v_lshlrev_b32_e32 v2, 8, v17
	v_ashrrev_i32_e32 v3, 31, v2
	v_lshlrev_b64 v[2:3], 1, v[2:3]
	v_mov_b32_e32 v1, s1
	v_add_co_u32_e32 v2, vcc, s0, v2
	v_and_b32_e32 v21, 31, v0
	v_addc_co_u32_e32 v1, vcc, v1, v3, vcc
	v_lshlrev_b32_e32 v0, 4, v21
	v_add_co_u32_e32 v0, vcc, v2, v0
	v_addc_co_u32_e32 v1, vcc, 0, v1, vcc
	global_load_dwordx4 v[0:3], v[0:1], off
	v_mbcnt_lo_u32_b32 v4, -1, 0
	v_mbcnt_hi_u32_b32 v4, -1, v4
	v_and_b32_e32 v5, 0x60, v4
	v_xor_b32_e32 v6, 16, v4
	v_add_u32_e32 v5, 32, v5
	v_cmp_lt_i32_e32 vcc, v6, v5
	v_cndmask_b32_e32 v6, v4, v6, vcc
	v_lshlrev_b32_e32 v22, 2, v6
	v_xor_b32_e32 v12, 8, v4
	v_cmp_lt_i32_e32 vcc, v12, v5
	v_cndmask_b32_e32 v12, v4, v12, vcc
	v_lshlrev_b32_e32 v23, 2, v12
	v_xor_b32_e32 v12, 4, v4
	v_cmp_lt_i32_e32 vcc, v12, v5
	v_cndmask_b32_e32 v12, v4, v12, vcc
	v_lshlrev_b32_e32 v24, 2, v12
	v_xor_b32_e32 v12, 2, v4
	v_cmp_lt_i32_e32 vcc, v12, v5
	v_cndmask_b32_e32 v12, v4, v12, vcc
	v_lshlrev_b32_e32 v25, 2, v12
	v_xor_b32_e32 v12, 1, v4
	v_cmp_lt_i32_e32 vcc, v12, v5
	v_cndmask_b32_e32 v4, v4, v12, vcc
	v_lshlrev_b32_e32 v26, 2, v4
	s_mov_b32 s0, 0x3fb8aa3b
	s_mov_b32 s1, 0xc2ce8ed0
	;; [unrolled: 1-line block ×3, first 2 shown]
	s_waitcnt vmcnt(0)
	v_lshlrev_b32_e32 v6, 16, v0
	v_and_b32_e32 v7, 0xffff0000, v0
	v_max_f32_e32 v10, v7, v7
	v_max_f32_e32 v11, v6, v6
	v_lshlrev_b32_e32 v8, 16, v1
	v_and_b32_e32 v0, 0xffff0000, v1
	v_max_f32_e32 v10, v11, v10
	v_lshlrev_b32_e32 v1, 16, v2
	v_and_b32_e32 v2, 0xffff0000, v2
	v_max3_f32 v10, v10, v8, v0
	v_and_b32_e32 v9, 0xffff0000, v3
	v_lshlrev_b32_e32 v3, 16, v3
	v_max3_f32 v10, v10, v1, v2
	v_max3_f32 v10, v10, v3, v9
	ds_bpermute_b32 v11, v22, v10
	s_waitcnt lgkmcnt(0)
	v_max_f32_e32 v11, v11, v11
	v_max_f32_e32 v10, v10, v11
	ds_bpermute_b32 v11, v23, v10
	s_waitcnt lgkmcnt(0)
	v_max_f32_e32 v11, v11, v11
	v_max_f32_e32 v10, v10, v11
	;; [unrolled: 4-line block ×4, first 2 shown]
	ds_bpermute_b32 v5, v26, v4
	v_mov_b32_e32 v10, 0x7f800000
	s_waitcnt lgkmcnt(0)
	v_max_f32_e32 v5, v5, v5
	v_max_f32_e32 v4, v4, v5
	v_sub_f32_e32 v5, v6, v4
	v_sub_f32_e32 v6, v7, v4
	;; [unrolled: 1-line block ×3, first 2 shown]
	v_mul_f32_e32 v8, 0x3fb8aa3b, v5
	v_mul_f32_e32 v11, 0x3fb8aa3b, v6
	v_fma_f32 v15, v5, s0, -v8
	v_rndne_f32_e32 v16, v8
	v_pk_add_f32 v[0:1], v[0:1], v[4:5] op_sel_hi:[1,0] neg_lo:[0,1] neg_hi:[0,1]
	v_mul_f32_e32 v12, 0x3fb8aa3b, v7
	v_fma_f32 v18, v6, s0, -v11
	v_rndne_f32_e32 v19, v11
	v_fmac_f32_e32 v15, 0x32a5705f, v5
	v_sub_f32_e32 v8, v8, v16
	v_mul_f32_e32 v13, 0x3fb8aa3b, v1
	v_fma_f32 v20, v7, s0, -v12
	v_rndne_f32_e32 v27, v12
	v_fmac_f32_e32 v18, 0x32a5705f, v6
	v_sub_f32_e32 v11, v11, v19
	v_add_f32_e32 v8, v8, v15
	v_fma_f32 v28, v1, s0, -v13
	v_rndne_f32_e32 v29, v13
	v_cvt_i32_f32_e32 v16, v16
	v_fmac_f32_e32 v20, 0x32a5705f, v7
	v_sub_f32_e32 v12, v12, v27
	v_add_f32_e32 v11, v11, v18
	v_exp_f32_e32 v8, v8
	v_cvt_i32_f32_e32 v19, v19
	v_fmac_f32_e32 v28, 0x32a5705f, v1
	v_sub_f32_e32 v13, v13, v29
	v_add_f32_e32 v12, v12, v20
	v_exp_f32_e32 v11, v11
	v_cvt_i32_f32_e32 v27, v27
	v_add_f32_e32 v13, v13, v28
	v_exp_f32_e32 v12, v12
	v_cvt_i32_f32_e32 v29, v29
	v_exp_f32_e32 v13, v13
	v_mul_f32_e32 v14, 0x3fb8aa3b, v0
	v_ldexp_f32 v8, v8, v16
	v_cmp_ngt_f32_e32 vcc, s1, v5
	v_fma_f32 v30, v0, s0, -v14
	v_rndne_f32_e32 v31, v14
	v_ldexp_f32 v11, v11, v19
	v_cndmask_b32_e32 v8, 0, v8, vcc
	v_cmp_ngt_f32_e32 vcc, s1, v6
	v_fmac_f32_e32 v30, 0x32a5705f, v0
	v_sub_f32_e32 v14, v14, v31
	v_ldexp_f32 v12, v12, v27
	v_cndmask_b32_e32 v11, 0, v11, vcc
	v_cmp_ngt_f32_e32 vcc, s1, v7
	v_add_f32_e32 v14, v14, v30
	v_ldexp_f32 v13, v13, v29
	v_cndmask_b32_e32 v12, 0, v12, vcc
	v_cmp_ngt_f32_e32 vcc, s1, v1
	v_cvt_i32_f32_e32 v31, v31
	v_exp_f32_e32 v14, v14
	v_cndmask_b32_e32 v13, 0, v13, vcc
	v_cmp_nlt_f32_e32 vcc, s2, v5
	v_cndmask_b32_e32 v5, v10, v8, vcc
	v_cmp_nlt_f32_e32 vcc, s2, v6
	;; [unrolled: 2-line block ×4, first 2 shown]
	v_pk_add_f32 v[2:3], v[2:3], v[4:5] op_sel_hi:[1,0] neg_lo:[0,1] neg_hi:[0,1]
	v_ldexp_f32 v14, v14, v31
	v_cndmask_b32_e32 v1, v10, v13, vcc
	v_cmp_ngt_f32_e32 vcc, s1, v0
	v_mul_f32_e32 v12, 0x3fb8aa3b, v3
	v_cndmask_b32_e32 v11, 0, v14, vcc
	v_fma_f32 v13, v3, s0, -v12
	v_rndne_f32_e32 v14, v12
	v_fmac_f32_e32 v13, 0x32a5705f, v3
	v_sub_f32_e32 v12, v12, v14
	v_add_f32_e32 v12, v12, v13
	v_exp_f32_e32 v12, v12
	v_cvt_i32_f32_e32 v13, v14
	v_cmp_nlt_f32_e32 vcc, s2, v0
	v_cndmask_b32_e32 v0, v10, v11, vcc
	v_cmp_ngt_f32_e32 vcc, s1, v3
	v_ldexp_f32 v11, v12, v13
	v_mul_f32_e32 v12, 0x3fb8aa3b, v2
	v_fma_f32 v13, v2, s0, -v12
	v_rndne_f32_e32 v14, v12
	v_fmac_f32_e32 v13, 0x32a5705f, v2
	v_sub_f32_e32 v12, v12, v14
	v_add_f32_e32 v12, v12, v13
	v_exp_f32_e32 v12, v12
	v_cvt_i32_f32_e32 v13, v14
	v_sub_f32_e32 v4, v9, v4
	v_cndmask_b32_e32 v11, 0, v11, vcc
	v_cmp_nlt_f32_e32 vcc, s2, v3
	v_mul_f32_e32 v9, 0x3fb8aa3b, v4
	v_cndmask_b32_e32 v3, v10, v11, vcc
	v_ldexp_f32 v11, v12, v13
	v_fma_f32 v12, v4, s0, -v9
	v_rndne_f32_e32 v13, v9
	v_fmac_f32_e32 v12, 0x32a5705f, v4
	v_sub_f32_e32 v9, v9, v13
	v_add_f32_e32 v9, v9, v12
	v_exp_f32_e32 v9, v9
	v_cvt_i32_f32_e32 v12, v13
	v_add_f32_e32 v8, v5, v6
	v_add_f32_e32 v8, v8, v7
	v_cmp_ngt_f32_e32 vcc, s1, v2
	v_add_f32_e32 v8, v8, v0
	v_cndmask_b32_e32 v11, 0, v11, vcc
	v_cmp_nlt_f32_e32 vcc, s2, v2
	v_add_f32_e32 v8, v8, v1
	v_cndmask_b32_e32 v2, v10, v11, vcc
	v_ldexp_f32 v9, v9, v12
	v_cmp_ngt_f32_e32 vcc, s1, v4
	v_add_f32_e32 v8, v8, v2
	v_cndmask_b32_e32 v9, 0, v9, vcc
	v_cmp_nlt_f32_e32 vcc, s2, v4
	v_add_f32_e32 v8, v8, v3
	v_cndmask_b32_e32 v10, v10, v9, vcc
	v_add_f32_e32 v4, v8, v10
	ds_bpermute_b32 v8, v22, v4
	s_movk_i32 s2, 0x1f8
	v_lshlrev_b32_e32 v27, 3, v21
	s_waitcnt lgkmcnt(0)
	v_add_f32_e32 v4, v4, v8
	ds_bpermute_b32 v8, v23, v4
	s_waitcnt lgkmcnt(0)
	v_add_f32_e32 v4, v4, v8
	ds_bpermute_b32 v8, v24, v4
	;; [unrolled: 3-line block ×4, first 2 shown]
	s_waitcnt lgkmcnt(0)
	v_add_f32_e32 v4, v4, v8
	v_div_scale_f32 v8, s[0:1], v4, v4, 1.0
	v_rcp_f32_e32 v9, v8
	s_load_dwordx2 s[0:1], s[4:5], 0x40
	v_fma_f32 v11, -v8, v9, 1.0
	v_fmac_f32_e32 v9, v11, v9
	v_div_scale_f32 v11, vcc, 1.0, v4, 1.0
	v_mul_f32_e32 v12, v11, v9
	v_fma_f32 v13, -v8, v12, v11
	v_fmac_f32_e32 v12, v13, v9
	v_fma_f32 v8, -v8, v12, v11
	v_div_fmas_f32 v8, v8, v9, v12
	v_div_fixup_f32 v4, v8, v4, 1.0
	v_mul_f32_e32 v5, v4, v5
	v_mul_f32_e32 v11, v4, v6
	v_cmp_class_f32_e64 vcc, v5, s2
	v_mul_f32_e32 v12, v4, v7
	v_pk_mul_f32 v[6:7], v[4:5], v[0:1] op_sel_hi:[0,1]
	v_cndmask_b32_e32 v0, 0, v5, vcc
	v_cmp_class_f32_e64 vcc, v11, s2
	v_pk_mul_f32 v[8:9], v[4:5], v[2:3] op_sel_hi:[0,1]
	v_cndmask_b32_e32 v1, 0, v11, vcc
	v_cmp_class_f32_e64 vcc, v12, s2
	v_mov_b32_e32 v5, 0x207
	v_cndmask_b32_e32 v2, 0, v12, vcc
	v_cmp_class_f32_e32 vcc, v7, v5
	v_mul_f32_e32 v10, v4, v10
	v_cndmask_b32_e64 v4, v7, 0, vcc
	v_cmp_class_f32_e32 vcc, v6, v5
	v_cndmask_b32_e64 v3, v6, 0, vcc
	v_cmp_class_f32_e32 vcc, v9, v5
	;; [unrolled: 2-line block ×3, first 2 shown]
	v_cndmask_b32_e64 v5, v8, 0, vcc
	v_cmp_class_f32_e64 vcc, v10, s2
	s_waitcnt lgkmcnt(0)
	s_cmp_eq_u64 s[0:1], 0
	v_cndmask_b32_e32 v7, 0, v10, vcc
	s_cbranch_scc1 .LBB143_27
; %bb.4:
	v_lshlrev_b32_e32 v16, 2, v27
	global_load_dwordx4 v[8:11], v16, s[0:1]
	global_load_dwordx4 v[12:15], v16, s[0:1] offset:16
	s_waitcnt vmcnt(1)
	v_pk_add_f32 v[8:9], v[8:9], v[0:1]
	v_pk_add_f32 v[10:11], v[10:11], v[2:3]
	s_waitcnt vmcnt(0)
	v_pk_add_f32 v[12:13], v[12:13], v[4:5]
	v_pk_add_f32 v[14:15], v[14:15], v[6:7]
	s_cbranch_execnz .LBB143_6
.LBB143_5:
	v_pk_mov_b32 v[14:15], v[6:7], v[6:7] op_sel:[0,1]
	v_pk_mov_b32 v[12:13], v[4:5], v[4:5] op_sel:[0,1]
	;; [unrolled: 1-line block ×4, first 2 shown]
.LBB143_6:
	s_load_dwordx4 s[8:11], s[4:5], 0x30
	s_mov_b32 s25, 0
	v_cmp_eq_u32_e64 s[0:1], 0, v21
	s_waitcnt lgkmcnt(0)
	s_bitcmp1_b32 s11, 0
	s_cselect_b64 vcc, -1, 0
	s_cmp_gt_i32 s8, 0
	s_cselect_b64 s[20:21], -1, 0
	s_cmp_lt_i32 s8, 1
	s_cbranch_scc1 .LBB143_28
; %bb.7:
	s_load_dwordx4 s[12:15], s[4:5], 0x20
	v_mul_lo_u32 v29, v17, s8
	v_mov_b32_e32 v28, 0
	v_mov_b32_e32 v30, 0x100
	;; [unrolled: 1-line block ×4, first 2 shown]
	s_branch .LBB143_10
.LBB143_8:                              ;   in Loop: Header=BB143_10 Depth=1
	s_or_b64 exec, exec, s[4:5]
.LBB143_9:                              ;   in Loop: Header=BB143_10 Depth=1
	s_cmp_eq_u32 s8, s25
	v_add_u32_e32 v32, s24, v32
	s_cbranch_scc1 .LBB143_29
.LBB143_10:                             ; =>This Inner Loop Header: Depth=1
	v_cmp_gt_f32_e64 s[2:3], v9, v8
	v_cndmask_b32_e64 v16, v8, v9, s[2:3]
	v_cndmask_b32_e64 v18, v0, v1, s[2:3]
	s_waitcnt lgkmcnt(0)
	v_cndmask_b32_e64 v19, 0, 1, s[2:3]
	v_cmp_gt_f32_e64 s[2:3], v10, v16
	v_cndmask_b32_e64 v16, v16, v10, s[2:3]
	v_cndmask_b32_e64 v18, v18, v2, s[2:3]
	v_cndmask_b32_e64 v19, v19, 2, s[2:3]
	v_cmp_gt_f32_e64 s[2:3], v11, v16
	v_cndmask_b32_e64 v16, v16, v11, s[2:3]
	v_cndmask_b32_e64 v18, v18, v3, s[2:3]
	;; [unrolled: 4-line block ×6, first 2 shown]
	v_or_b32_e32 v19, v27, v19
	ds_bpermute_b32 v20, v22, v16
	ds_bpermute_b32 v33, v22, v19
	v_cndmask_b32_e64 v18, v18, v7, s[2:3]
	ds_bpermute_b32 v35, v22, v18
	s_waitcnt lgkmcnt(0)
	v_cmp_eq_f32_e64 s[4:5], v16, v20
	v_cmp_lt_i32_e64 s[6:7], v33, v19
	v_cmp_lt_f32_e64 s[2:3], v16, v20
	s_and_b64 s[4:5], s[4:5], s[6:7]
	s_or_b64 s[2:3], s[2:3], s[4:5]
	v_cndmask_b32_e64 v34, v19, v33, s[2:3]
	v_cndmask_b32_e64 v33, v16, v20, s[2:3]
	;; [unrolled: 1-line block ×3, first 2 shown]
	ds_bpermute_b32 v36, v23, v33
	ds_bpermute_b32 v20, v23, v16
	;; [unrolled: 1-line block ×3, first 2 shown]
                                        ; implicit-def: $vgpr18_vgpr19
	s_waitcnt lgkmcnt(2)
	v_cmp_lt_f32_e64 s[6:7], v33, v36
	v_cmp_nlt_f32_e64 s[2:3], v33, v36
	s_and_saveexec_b64 s[22:23], s[2:3]
	s_cbranch_execz .LBB143_12
; %bb.11:                               ;   in Loop: Header=BB143_10 Depth=1
	v_cmp_eq_f32_e64 s[2:3], v33, v36
	s_waitcnt lgkmcnt(0)
	v_cmp_lt_i32_e64 s[4:5], v35, v34
	s_and_b64 s[2:3], s[2:3], s[4:5]
	s_andn2_b64 s[4:5], s[6:7], exec
	s_and_b64 s[2:3], s[2:3], exec
	s_or_b64 s[6:7], s[4:5], s[2:3]
	v_pk_mov_b32 v[18:19], v[16:17], v[16:17] op_sel:[0,1]
.LBB143_12:                             ;   in Loop: Header=BB143_10 Depth=1
	s_or_b64 exec, exec, s[22:23]
	s_and_saveexec_b64 s[2:3], s[6:7]
	s_cbranch_execz .LBB143_14
; %bb.13:                               ;   in Loop: Header=BB143_10 Depth=1
	v_mov_b32_e32 v33, v36
	s_waitcnt lgkmcnt(1)
	v_mov_b32_e32 v16, v20
	s_waitcnt lgkmcnt(0)
	v_mov_b32_e32 v34, v35
	v_pk_mov_b32 v[18:19], v[20:21], v[20:21] op_sel:[0,1]
.LBB143_14:                             ;   in Loop: Header=BB143_10 Depth=1
	s_or_b64 exec, exec, s[2:3]
	s_waitcnt lgkmcnt(0)
	ds_bpermute_b32 v35, v24, v33
	ds_bpermute_b32 v20, v24, v16
	;; [unrolled: 1-line block ×3, first 2 shown]
	s_waitcnt lgkmcnt(2)
	v_cmp_lt_f32_e64 s[6:7], v33, v35
	v_cmp_nlt_f32_e64 s[2:3], v33, v35
	s_and_saveexec_b64 s[22:23], s[2:3]
	s_cbranch_execz .LBB143_16
; %bb.15:                               ;   in Loop: Header=BB143_10 Depth=1
	v_cmp_eq_f32_e64 s[2:3], v33, v35
	s_waitcnt lgkmcnt(0)
	v_cmp_lt_i32_e64 s[4:5], v19, v34
	s_and_b64 s[2:3], s[2:3], s[4:5]
	s_andn2_b64 s[4:5], s[6:7], exec
	s_and_b64 s[2:3], s[2:3], exec
	s_or_b64 s[6:7], s[4:5], s[2:3]
.LBB143_16:                             ;   in Loop: Header=BB143_10 Depth=1
	s_or_b64 exec, exec, s[22:23]
	s_and_saveexec_b64 s[2:3], s[6:7]
	s_cbranch_execz .LBB143_18
; %bb.17:                               ;   in Loop: Header=BB143_10 Depth=1
	v_mov_b32_e32 v33, v35
	s_waitcnt lgkmcnt(1)
	v_mov_b32_e32 v16, v20
	s_waitcnt lgkmcnt(0)
	v_mov_b32_e32 v34, v19
	v_pk_mov_b32 v[18:19], v[20:21], v[20:21] op_sel:[0,1]
.LBB143_18:                             ;   in Loop: Header=BB143_10 Depth=1
	s_or_b64 exec, exec, s[2:3]
	ds_bpermute_b32 v35, v25, v33
	s_waitcnt lgkmcnt(2)
	ds_bpermute_b32 v20, v25, v16
	s_waitcnt lgkmcnt(2)
	;; [unrolled: 2-line block ×3, first 2 shown]
	v_cmp_lt_f32_e64 s[6:7], v33, v35
	v_cmp_nlt_f32_e64 s[2:3], v33, v35
	s_and_saveexec_b64 s[22:23], s[2:3]
	s_cbranch_execz .LBB143_20
; %bb.19:                               ;   in Loop: Header=BB143_10 Depth=1
	v_cmp_eq_f32_e64 s[2:3], v33, v35
	s_waitcnt lgkmcnt(0)
	v_cmp_lt_i32_e64 s[4:5], v19, v34
	s_and_b64 s[2:3], s[2:3], s[4:5]
	s_andn2_b64 s[4:5], s[6:7], exec
	s_and_b64 s[2:3], s[2:3], exec
	s_or_b64 s[6:7], s[4:5], s[2:3]
.LBB143_20:                             ;   in Loop: Header=BB143_10 Depth=1
	s_or_b64 exec, exec, s[22:23]
	s_and_saveexec_b64 s[2:3], s[6:7]
	s_cbranch_execz .LBB143_22
; %bb.21:                               ;   in Loop: Header=BB143_10 Depth=1
	v_mov_b32_e32 v33, v35
	s_waitcnt lgkmcnt(1)
	v_mov_b32_e32 v16, v20
	s_waitcnt lgkmcnt(0)
	v_mov_b32_e32 v34, v19
	v_pk_mov_b32 v[18:19], v[20:21], v[20:21] op_sel:[0,1]
.LBB143_22:                             ;   in Loop: Header=BB143_10 Depth=1
	s_or_b64 exec, exec, s[2:3]
	s_waitcnt lgkmcnt(1)
	ds_bpermute_b32 v20, v26, v33
	ds_bpermute_b32 v35, v26, v34
	s_waitcnt lgkmcnt(2)
	ds_bpermute_b32 v19, v26, v16
	s_waitcnt lgkmcnt(2)
	v_cmp_eq_f32_e64 s[4:5], v33, v20
	s_waitcnt lgkmcnt(1)
	v_cmp_lt_i32_e64 s[6:7], v35, v34
	v_cmp_lt_f32_e64 s[2:3], v33, v20
	s_and_b64 s[4:5], s[4:5], s[6:7]
	s_or_b64 s[2:3], s[2:3], s[4:5]
	v_cndmask_b32_e64 v16, v34, v35, s[2:3]
	s_and_saveexec_b64 s[6:7], s[0:1]
	s_cbranch_execnz .LBB143_24
; %bb.23:                               ;   in Loop: Header=BB143_10 Depth=1
	s_or_b64 exec, exec, s[6:7]
	s_add_i32 s25, s25, 1
	s_cmp_ge_i32 s25, s8
	s_cbranch_scc1 .LBB143_9
	s_branch .LBB143_25
.LBB143_24:                             ;   in Loop: Header=BB143_10 Depth=1
	s_waitcnt lgkmcnt(0)
	v_cndmask_b32_e64 v20, v18, v19, s[2:3]
	v_add_u32_e32 v18, s25, v29
	v_ashrrev_i32_e32 v19, 31, v18
	v_cmp_le_i32_e64 s[2:3], s9, v16
	v_cmp_gt_i32_e64 s[4:5], s10, v16
	v_lshlrev_b64 v[18:19], 2, v[18:19]
	s_and_b64 s[4:5], s[2:3], s[4:5]
	v_mov_b32_e32 v33, s17
	v_add_co_u32_e64 v34, s[2:3], s16, v18
	v_addc_co_u32_e64 v35, s[2:3], v33, v19, s[2:3]
	v_subrev_u32_e32 v33, s9, v16
	s_and_b64 s[2:3], s[18:19], s[4:5]
	global_store_dword v[34:35], v20, off
	v_cndmask_b32_e64 v33, v30, v33, s[2:3]
	v_mov_b32_e32 v35, s13
	v_add_co_u32_e64 v34, s[2:3], s12, v18
	v_addc_co_u32_e64 v35, s[2:3], v35, v19, s[2:3]
	global_store_dword v[34:35], v33, off
	v_mov_b32_e32 v33, s15
	v_add_co_u32_e64 v18, s[2:3], s14, v18
	v_addc_co_u32_e64 v19, s[2:3], v33, v19, s[2:3]
	global_store_dword v[18:19], v32, off
	v_add_f32_e32 v18, v28, v20
	v_cndmask_b32_e32 v28, v28, v18, vcc
	s_or_b64 exec, exec, s[6:7]
	s_add_i32 s25, s25, 1
	s_cmp_ge_i32 s25, s8
	s_cbranch_scc1 .LBB143_9
.LBB143_25:                             ;   in Loop: Header=BB143_10 Depth=1
	v_ashrrev_i32_e32 v18, 31, v16
	s_waitcnt lgkmcnt(0)
	v_lshrrev_b32_e32 v19, 29, v18
	v_add_u32_e32 v20, v16, v19
	v_ashrrev_i32_e32 v19, 3, v20
	v_ashrrev_i32_e32 v20, 31, v20
	v_lshrrev_b32_e32 v20, 27, v20
	v_add_u32_e32 v20, v19, v20
	v_and_b32_e32 v20, 0xffffffe0, v20
	v_sub_u32_e32 v20, v19, v20
	v_cmp_eq_u32_e64 s[2:3], v21, v20
	s_and_saveexec_b64 s[4:5], s[2:3]
	s_cbranch_execz .LBB143_8
; %bb.26:                               ;   in Loop: Header=BB143_10 Depth=1
	v_add_u32_sdwa v18, v16, v18 dst_sel:DWORD dst_unused:UNUSED_PAD src0_sel:DWORD src1_sel:BYTE_3
	v_lshlrev_b32_e32 v19, 3, v19
	v_ashrrev_i32_e32 v18, 8, v18
	v_sub_u32_e32 v16, v16, v19
	v_lshl_add_u32 v16, v18, 3, v16
	v_cmp_ne_u32_e64 s[2:3], 7, v16
	v_cndmask_b32_e64 v15, v31, v15, s[2:3]
	v_cmp_ne_u32_e64 s[2:3], 6, v16
	v_cndmask_b32_e64 v14, v31, v14, s[2:3]
	;; [unrolled: 2-line block ×8, first 2 shown]
	s_branch .LBB143_8
.LBB143_27:
                                        ; implicit-def: $vgpr8_vgpr9_vgpr10_vgpr11_vgpr12_vgpr13_vgpr14_vgpr15
	s_andn2_b64 vcc, exec, s[6:7]
	s_cbranch_vccz .LBB143_5
	s_branch .LBB143_6
.LBB143_28:
	v_mov_b32_e32 v28, 0
.LBB143_29:
	v_cmp_eq_u32_e64 s[0:1], 0, v21
	s_and_b64 s[0:1], s[0:1], vcc
	s_and_b64 exec, exec, s[0:1]
	s_cbranch_execz .LBB143_38
; %bb.30:
	s_andn2_b64 vcc, exec, s[20:21]
	s_cbranch_vccnz .LBB143_38
; %bb.31:
	v_cmp_lt_f32_e32 vcc, 0, v28
	s_mov_b32 s2, 0
	v_cndmask_b32_e32 v0, 1.0, v28, vcc
	v_mul_lo_u32 v4, v17, s8
	s_cmp_eq_u32 s8, 1
	s_mov_b64 s[0:1], -1
	s_cbranch_scc1 .LBB143_35
; %bb.32:
	s_and_b32 s2, s8, 0x7ffffffe
	v_mov_b32_e32 v1, v0
	v_mov_b32_e32 v5, s17
	s_mov_b32 s3, s2
	v_mov_b32_e32 v2, v4
.LBB143_33:                             ; =>This Inner Loop Header: Depth=1
	v_ashrrev_i32_e32 v3, 31, v2
	v_lshlrev_b64 v[6:7], 2, v[2:3]
	v_add_co_u32_e32 v6, vcc, s16, v6
	v_addc_co_u32_e32 v7, vcc, v5, v7, vcc
	global_load_dwordx2 v[8:9], v[6:7], off
	s_add_i32 s3, s3, -2
	s_cmp_lg_u32 s3, 0
	v_add_u32_e32 v2, 2, v2
	s_waitcnt vmcnt(0)
	v_div_scale_f32 v3, s[0:1], v1, v1, v9
	v_div_scale_f32 v11, s[0:1], v0, v0, v8
	v_rcp_f32_e32 v12, v3
	v_rcp_f32_e32 v13, v11
	v_div_scale_f32 v10, vcc, v9, v1, v9
	v_fma_f32 v15, -v3, v12, 1.0
	v_fma_f32 v16, -v11, v13, 1.0
	v_fmac_f32_e32 v12, v15, v12
	v_div_scale_f32 v14, s[0:1], v8, v0, v8
	v_fmac_f32_e32 v13, v16, v13
	v_mul_f32_e32 v15, v10, v12
	v_mul_f32_e32 v16, v14, v13
	v_fma_f32 v17, -v3, v15, v10
	v_fma_f32 v18, -v11, v16, v14
	v_fmac_f32_e32 v15, v17, v12
	v_fmac_f32_e32 v16, v18, v13
	v_fma_f32 v3, -v3, v15, v10
	v_fma_f32 v10, -v11, v16, v14
	v_div_fmas_f32 v3, v3, v12, v15
	s_mov_b64 vcc, s[0:1]
	v_div_fixup_f32 v9, v3, v1, v9
	v_div_fmas_f32 v3, v10, v13, v16
	v_div_fixup_f32 v8, v3, v0, v8
	global_store_dwordx2 v[6:7], v[8:9], off
	s_cbranch_scc1 .LBB143_33
; %bb.34:
	s_cmp_lg_u32 s2, s8
	s_cselect_b64 s[0:1], -1, 0
.LBB143_35:
	s_and_b64 vcc, exec, s[0:1]
	s_cbranch_vccz .LBB143_38
; %bb.36:
	v_ashrrev_i32_e32 v1, 31, v4
	v_add_co_u32_e32 v2, vcc, s2, v4
	v_addc_co_u32_e32 v3, vcc, 0, v1, vcc
	v_lshlrev_b64 v[2:3], 2, v[2:3]
	v_mov_b32_e32 v1, s17
	v_add_co_u32_e32 v2, vcc, s16, v2
	s_sub_i32 s0, s8, s2
	v_addc_co_u32_e32 v3, vcc, v1, v3, vcc
.LBB143_37:                             ; =>This Inner Loop Header: Depth=1
	global_load_dword v1, v[2:3], off
	s_add_i32 s0, s0, -1
	s_cmp_lg_u32 s0, 0
	s_waitcnt vmcnt(0)
	v_div_scale_f32 v4, s[2:3], v0, v0, v1
	v_rcp_f32_e32 v5, v4
	v_div_scale_f32 v6, vcc, v1, v0, v1
	v_fma_f32 v7, -v4, v5, 1.0
	v_fmac_f32_e32 v5, v7, v5
	v_mul_f32_e32 v7, v6, v5
	v_fma_f32 v8, -v4, v7, v6
	v_fmac_f32_e32 v7, v8, v5
	v_fma_f32 v4, -v4, v7, v6
	v_div_fmas_f32 v4, v4, v5, v7
	v_div_fixup_f32 v1, v4, v0, v1
	global_store_dword v[2:3], v1, off
	v_add_co_u32_e32 v2, vcc, 4, v2
	v_addc_co_u32_e32 v3, vcc, 0, v3, vcc
	s_cbranch_scc1 .LBB143_37
.LBB143_38:
	s_endpgm
	.section	.rodata,"a",@progbits
	.p2align	6, 0x0
	.amdhsa_kernel _ZN4vllm3moe10topkGatingILi8ELi256ELi4ELi16ELi64Ei14__hip_bfloat16LNS0_11ScoringFuncE0EEEvPKT5_PKbPfiPT4_PiiiibPKf
		.amdhsa_group_segment_fixed_size 0
		.amdhsa_private_segment_fixed_size 0
		.amdhsa_kernarg_size 72
		.amdhsa_user_sgpr_count 6
		.amdhsa_user_sgpr_private_segment_buffer 1
		.amdhsa_user_sgpr_dispatch_ptr 0
		.amdhsa_user_sgpr_queue_ptr 0
		.amdhsa_user_sgpr_kernarg_segment_ptr 1
		.amdhsa_user_sgpr_dispatch_id 0
		.amdhsa_user_sgpr_flat_scratch_init 0
		.amdhsa_user_sgpr_kernarg_preload_length 0
		.amdhsa_user_sgpr_kernarg_preload_offset 0
		.amdhsa_user_sgpr_private_segment_size 0
		.amdhsa_uses_dynamic_stack 0
		.amdhsa_system_sgpr_private_segment_wavefront_offset 0
		.amdhsa_system_sgpr_workgroup_id_x 1
		.amdhsa_system_sgpr_workgroup_id_y 0
		.amdhsa_system_sgpr_workgroup_id_z 0
		.amdhsa_system_sgpr_workgroup_info 0
		.amdhsa_system_vgpr_workitem_id 1
		.amdhsa_next_free_vgpr 37
		.amdhsa_next_free_sgpr 26
		.amdhsa_accum_offset 40
		.amdhsa_reserve_vcc 1
		.amdhsa_reserve_flat_scratch 0
		.amdhsa_float_round_mode_32 0
		.amdhsa_float_round_mode_16_64 0
		.amdhsa_float_denorm_mode_32 3
		.amdhsa_float_denorm_mode_16_64 3
		.amdhsa_dx10_clamp 1
		.amdhsa_ieee_mode 1
		.amdhsa_fp16_overflow 0
		.amdhsa_tg_split 0
		.amdhsa_exception_fp_ieee_invalid_op 0
		.amdhsa_exception_fp_denorm_src 0
		.amdhsa_exception_fp_ieee_div_zero 0
		.amdhsa_exception_fp_ieee_overflow 0
		.amdhsa_exception_fp_ieee_underflow 0
		.amdhsa_exception_fp_ieee_inexact 0
		.amdhsa_exception_int_div_zero 0
	.end_amdhsa_kernel
	.section	.text._ZN4vllm3moe10topkGatingILi8ELi256ELi4ELi16ELi64Ei14__hip_bfloat16LNS0_11ScoringFuncE0EEEvPKT5_PKbPfiPT4_PiiiibPKf,"axG",@progbits,_ZN4vllm3moe10topkGatingILi8ELi256ELi4ELi16ELi64Ei14__hip_bfloat16LNS0_11ScoringFuncE0EEEvPKT5_PKbPfiPT4_PiiiibPKf,comdat
.Lfunc_end143:
	.size	_ZN4vllm3moe10topkGatingILi8ELi256ELi4ELi16ELi64Ei14__hip_bfloat16LNS0_11ScoringFuncE0EEEvPKT5_PKbPfiPT4_PiiiibPKf, .Lfunc_end143-_ZN4vllm3moe10topkGatingILi8ELi256ELi4ELi16ELi64Ei14__hip_bfloat16LNS0_11ScoringFuncE0EEEvPKT5_PKbPfiPT4_PiiiibPKf
                                        ; -- End function
	.section	.AMDGPU.csdata,"",@progbits
; Kernel info:
; codeLenInByte = 3348
; NumSgprs: 30
; NumVgprs: 37
; NumAgprs: 0
; TotalNumVgprs: 37
; ScratchSize: 0
; MemoryBound: 0
; FloatMode: 240
; IeeeMode: 1
; LDSByteSize: 0 bytes/workgroup (compile time only)
; SGPRBlocks: 3
; VGPRBlocks: 4
; NumSGPRsForWavesPerEU: 30
; NumVGPRsForWavesPerEU: 37
; AccumOffset: 40
; Occupancy: 8
; WaveLimiterHint : 0
; COMPUTE_PGM_RSRC2:SCRATCH_EN: 0
; COMPUTE_PGM_RSRC2:USER_SGPR: 6
; COMPUTE_PGM_RSRC2:TRAP_HANDLER: 0
; COMPUTE_PGM_RSRC2:TGID_X_EN: 1
; COMPUTE_PGM_RSRC2:TGID_Y_EN: 0
; COMPUTE_PGM_RSRC2:TGID_Z_EN: 0
; COMPUTE_PGM_RSRC2:TIDIG_COMP_CNT: 1
; COMPUTE_PGM_RSRC3_GFX90A:ACCUM_OFFSET: 9
; COMPUTE_PGM_RSRC3_GFX90A:TG_SPLIT: 0
	.section	.text._ZN4vllm3moe10topkGatingILi8ELi256ELi4ELi16ELi32Ei14__hip_bfloat16LNS0_11ScoringFuncE0EEEvPKT5_PKbPfiPT4_PiiiibPKf,"axG",@progbits,_ZN4vllm3moe10topkGatingILi8ELi256ELi4ELi16ELi32Ei14__hip_bfloat16LNS0_11ScoringFuncE0EEEvPKT5_PKbPfiPT4_PiiiibPKf,comdat
	.protected	_ZN4vllm3moe10topkGatingILi8ELi256ELi4ELi16ELi32Ei14__hip_bfloat16LNS0_11ScoringFuncE0EEEvPKT5_PKbPfiPT4_PiiiibPKf ; -- Begin function _ZN4vllm3moe10topkGatingILi8ELi256ELi4ELi16ELi32Ei14__hip_bfloat16LNS0_11ScoringFuncE0EEEvPKT5_PKbPfiPT4_PiiiibPKf
	.globl	_ZN4vllm3moe10topkGatingILi8ELi256ELi4ELi16ELi32Ei14__hip_bfloat16LNS0_11ScoringFuncE0EEEvPKT5_PKbPfiPT4_PiiiibPKf
	.p2align	8
	.type	_ZN4vllm3moe10topkGatingILi8ELi256ELi4ELi16ELi32Ei14__hip_bfloat16LNS0_11ScoringFuncE0EEEvPKT5_PKbPfiPT4_PiiiibPKf,@function
_ZN4vllm3moe10topkGatingILi8ELi256ELi4ELi16ELi32Ei14__hip_bfloat16LNS0_11ScoringFuncE0EEEvPKT5_PKbPfiPT4_PiiiibPKf: ; @_ZN4vllm3moe10topkGatingILi8ELi256ELi4ELi16ELi32Ei14__hip_bfloat16LNS0_11ScoringFuncE0EEEvPKT5_PKbPfiPT4_PiiiibPKf
; %bb.0:
	s_load_dword s24, s[4:5], 0x18
	v_and_b32_e32 v1, 0x3ff, v0
	s_lshl_b32 s0, s6, 2
	v_lshrrev_b32_e32 v2, 5, v1
	v_bfe_u32 v0, v0, 10, 10
	v_add3_u32 v17, s0, v0, v2
	s_waitcnt lgkmcnt(0)
	v_cmp_gt_i32_e32 vcc, s24, v17
	s_and_saveexec_b64 s[0:1], vcc
	s_cbranch_execz .LBB144_38
; %bb.1:
	s_load_dwordx4 s[0:3], s[4:5], 0x0
	s_load_dwordx2 s[16:17], s[4:5], 0x10
	s_mov_b64 s[6:7], -1
	s_mov_b64 s[18:19], -1
	s_waitcnt lgkmcnt(0)
	s_cmp_eq_u64 s[2:3], 0
	s_cbranch_scc1 .LBB144_3
; %bb.2:
	v_ashrrev_i32_e32 v0, 31, v17
	v_mov_b32_e32 v3, s3
	v_add_co_u32_e32 v2, vcc, s2, v17
	v_addc_co_u32_e32 v3, vcc, v3, v0, vcc
	global_load_ubyte v0, v[2:3], off
	s_waitcnt vmcnt(0)
	v_and_b32_e32 v0, 1, v0
	v_cmp_eq_u32_e32 vcc, 1, v0
	s_xor_b64 s[2:3], vcc, -1
	s_orn2_b64 s[18:19], s[2:3], exec
.LBB144_3:
	v_lshlrev_b32_e32 v2, 8, v17
	v_ashrrev_i32_e32 v3, 31, v2
	v_lshlrev_b64 v[2:3], 1, v[2:3]
	v_mov_b32_e32 v0, s1
	v_add_co_u32_e32 v2, vcc, s0, v2
	v_and_b32_e32 v21, 31, v1
	v_addc_co_u32_e32 v3, vcc, v0, v3, vcc
	v_lshlrev_b32_e32 v0, 4, v21
	v_add_co_u32_e32 v0, vcc, v2, v0
	v_addc_co_u32_e32 v1, vcc, 0, v3, vcc
	global_load_dwordx4 v[0:3], v[0:1], off
	v_mbcnt_lo_u32_b32 v4, -1, 0
	v_mbcnt_hi_u32_b32 v4, -1, v4
	v_and_b32_e32 v5, 0x60, v4
	v_xor_b32_e32 v6, 16, v4
	v_add_u32_e32 v5, 32, v5
	v_cmp_lt_i32_e32 vcc, v6, v5
	v_cndmask_b32_e32 v6, v4, v6, vcc
	v_lshlrev_b32_e32 v22, 2, v6
	v_xor_b32_e32 v12, 8, v4
	v_cmp_lt_i32_e32 vcc, v12, v5
	v_cndmask_b32_e32 v12, v4, v12, vcc
	v_lshlrev_b32_e32 v23, 2, v12
	v_xor_b32_e32 v12, 4, v4
	;; [unrolled: 4-line block ×4, first 2 shown]
	v_cmp_lt_i32_e32 vcc, v12, v5
	v_cndmask_b32_e32 v4, v4, v12, vcc
	v_lshlrev_b32_e32 v26, 2, v4
	s_mov_b32 s0, 0x3fb8aa3b
	s_mov_b32 s1, 0xc2ce8ed0
	;; [unrolled: 1-line block ×3, first 2 shown]
	s_waitcnt vmcnt(0)
	v_lshlrev_b32_e32 v6, 16, v0
	v_and_b32_e32 v7, 0xffff0000, v0
	v_max_f32_e32 v10, v7, v7
	v_max_f32_e32 v11, v6, v6
	v_lshlrev_b32_e32 v8, 16, v1
	v_and_b32_e32 v0, 0xffff0000, v1
	v_max_f32_e32 v10, v11, v10
	v_lshlrev_b32_e32 v1, 16, v2
	v_and_b32_e32 v2, 0xffff0000, v2
	v_max3_f32 v10, v10, v8, v0
	v_and_b32_e32 v9, 0xffff0000, v3
	v_lshlrev_b32_e32 v3, 16, v3
	v_max3_f32 v10, v10, v1, v2
	v_max3_f32 v10, v10, v3, v9
	ds_bpermute_b32 v11, v22, v10
	s_waitcnt lgkmcnt(0)
	v_max_f32_e32 v11, v11, v11
	v_max_f32_e32 v10, v10, v11
	ds_bpermute_b32 v11, v23, v10
	s_waitcnt lgkmcnt(0)
	v_max_f32_e32 v11, v11, v11
	v_max_f32_e32 v10, v10, v11
	;; [unrolled: 4-line block ×4, first 2 shown]
	ds_bpermute_b32 v5, v26, v4
	v_mov_b32_e32 v10, 0x7f800000
	s_waitcnt lgkmcnt(0)
	v_max_f32_e32 v5, v5, v5
	v_max_f32_e32 v4, v4, v5
	v_sub_f32_e32 v5, v6, v4
	v_sub_f32_e32 v6, v7, v4
	;; [unrolled: 1-line block ×3, first 2 shown]
	v_mul_f32_e32 v8, 0x3fb8aa3b, v5
	v_mul_f32_e32 v11, 0x3fb8aa3b, v6
	v_fma_f32 v15, v5, s0, -v8
	v_rndne_f32_e32 v16, v8
	v_pk_add_f32 v[0:1], v[0:1], v[4:5] op_sel_hi:[1,0] neg_lo:[0,1] neg_hi:[0,1]
	v_mul_f32_e32 v12, 0x3fb8aa3b, v7
	v_fma_f32 v18, v6, s0, -v11
	v_rndne_f32_e32 v19, v11
	v_fmac_f32_e32 v15, 0x32a5705f, v5
	v_sub_f32_e32 v8, v8, v16
	v_mul_f32_e32 v13, 0x3fb8aa3b, v1
	v_fma_f32 v20, v7, s0, -v12
	v_rndne_f32_e32 v27, v12
	v_fmac_f32_e32 v18, 0x32a5705f, v6
	v_sub_f32_e32 v11, v11, v19
	v_add_f32_e32 v8, v8, v15
	v_fma_f32 v28, v1, s0, -v13
	v_rndne_f32_e32 v29, v13
	v_cvt_i32_f32_e32 v16, v16
	v_fmac_f32_e32 v20, 0x32a5705f, v7
	v_sub_f32_e32 v12, v12, v27
	v_add_f32_e32 v11, v11, v18
	v_exp_f32_e32 v8, v8
	v_cvt_i32_f32_e32 v19, v19
	v_fmac_f32_e32 v28, 0x32a5705f, v1
	v_sub_f32_e32 v13, v13, v29
	v_add_f32_e32 v12, v12, v20
	v_exp_f32_e32 v11, v11
	v_cvt_i32_f32_e32 v27, v27
	v_add_f32_e32 v13, v13, v28
	v_exp_f32_e32 v12, v12
	v_cvt_i32_f32_e32 v29, v29
	v_exp_f32_e32 v13, v13
	v_mul_f32_e32 v14, 0x3fb8aa3b, v0
	v_ldexp_f32 v8, v8, v16
	v_cmp_ngt_f32_e32 vcc, s1, v5
	v_fma_f32 v30, v0, s0, -v14
	v_rndne_f32_e32 v31, v14
	v_ldexp_f32 v11, v11, v19
	v_cndmask_b32_e32 v8, 0, v8, vcc
	v_cmp_ngt_f32_e32 vcc, s1, v6
	v_fmac_f32_e32 v30, 0x32a5705f, v0
	v_sub_f32_e32 v14, v14, v31
	v_ldexp_f32 v12, v12, v27
	v_cndmask_b32_e32 v11, 0, v11, vcc
	v_cmp_ngt_f32_e32 vcc, s1, v7
	v_add_f32_e32 v14, v14, v30
	v_ldexp_f32 v13, v13, v29
	v_cndmask_b32_e32 v12, 0, v12, vcc
	v_cmp_ngt_f32_e32 vcc, s1, v1
	v_cvt_i32_f32_e32 v31, v31
	v_exp_f32_e32 v14, v14
	v_cndmask_b32_e32 v13, 0, v13, vcc
	v_cmp_nlt_f32_e32 vcc, s2, v5
	v_cndmask_b32_e32 v5, v10, v8, vcc
	v_cmp_nlt_f32_e32 vcc, s2, v6
	;; [unrolled: 2-line block ×4, first 2 shown]
	v_pk_add_f32 v[2:3], v[2:3], v[4:5] op_sel_hi:[1,0] neg_lo:[0,1] neg_hi:[0,1]
	v_ldexp_f32 v14, v14, v31
	v_cndmask_b32_e32 v1, v10, v13, vcc
	v_cmp_ngt_f32_e32 vcc, s1, v0
	v_mul_f32_e32 v12, 0x3fb8aa3b, v3
	v_cndmask_b32_e32 v11, 0, v14, vcc
	v_fma_f32 v13, v3, s0, -v12
	v_rndne_f32_e32 v14, v12
	v_fmac_f32_e32 v13, 0x32a5705f, v3
	v_sub_f32_e32 v12, v12, v14
	v_add_f32_e32 v12, v12, v13
	v_exp_f32_e32 v12, v12
	v_cvt_i32_f32_e32 v13, v14
	v_cmp_nlt_f32_e32 vcc, s2, v0
	v_cndmask_b32_e32 v0, v10, v11, vcc
	v_cmp_ngt_f32_e32 vcc, s1, v3
	v_ldexp_f32 v11, v12, v13
	v_mul_f32_e32 v12, 0x3fb8aa3b, v2
	v_fma_f32 v13, v2, s0, -v12
	v_rndne_f32_e32 v14, v12
	v_fmac_f32_e32 v13, 0x32a5705f, v2
	v_sub_f32_e32 v12, v12, v14
	v_add_f32_e32 v12, v12, v13
	v_exp_f32_e32 v12, v12
	v_cvt_i32_f32_e32 v13, v14
	v_sub_f32_e32 v4, v9, v4
	v_cndmask_b32_e32 v11, 0, v11, vcc
	v_cmp_nlt_f32_e32 vcc, s2, v3
	v_mul_f32_e32 v9, 0x3fb8aa3b, v4
	v_cndmask_b32_e32 v3, v10, v11, vcc
	v_ldexp_f32 v11, v12, v13
	v_fma_f32 v12, v4, s0, -v9
	v_rndne_f32_e32 v13, v9
	v_fmac_f32_e32 v12, 0x32a5705f, v4
	v_sub_f32_e32 v9, v9, v13
	v_add_f32_e32 v9, v9, v12
	v_exp_f32_e32 v9, v9
	v_cvt_i32_f32_e32 v12, v13
	v_add_f32_e32 v8, v5, v6
	v_add_f32_e32 v8, v8, v7
	v_cmp_ngt_f32_e32 vcc, s1, v2
	v_add_f32_e32 v8, v8, v0
	v_cndmask_b32_e32 v11, 0, v11, vcc
	v_cmp_nlt_f32_e32 vcc, s2, v2
	v_add_f32_e32 v8, v8, v1
	v_cndmask_b32_e32 v2, v10, v11, vcc
	v_ldexp_f32 v9, v9, v12
	v_cmp_ngt_f32_e32 vcc, s1, v4
	v_add_f32_e32 v8, v8, v2
	v_cndmask_b32_e32 v9, 0, v9, vcc
	v_cmp_nlt_f32_e32 vcc, s2, v4
	v_add_f32_e32 v8, v8, v3
	v_cndmask_b32_e32 v10, v10, v9, vcc
	v_add_f32_e32 v4, v8, v10
	ds_bpermute_b32 v8, v22, v4
	s_movk_i32 s2, 0x1f8
	v_lshlrev_b32_e32 v27, 3, v21
	s_waitcnt lgkmcnt(0)
	v_add_f32_e32 v4, v4, v8
	ds_bpermute_b32 v8, v23, v4
	s_waitcnt lgkmcnt(0)
	v_add_f32_e32 v4, v4, v8
	ds_bpermute_b32 v8, v24, v4
	s_waitcnt lgkmcnt(0)
	v_add_f32_e32 v4, v4, v8
	ds_bpermute_b32 v8, v25, v4
	s_waitcnt lgkmcnt(0)
	v_add_f32_e32 v4, v4, v8
	ds_bpermute_b32 v8, v26, v4
	s_waitcnt lgkmcnt(0)
	v_add_f32_e32 v4, v4, v8
	v_div_scale_f32 v8, s[0:1], v4, v4, 1.0
	v_rcp_f32_e32 v9, v8
	s_load_dwordx2 s[0:1], s[4:5], 0x40
	v_fma_f32 v11, -v8, v9, 1.0
	v_fmac_f32_e32 v9, v11, v9
	v_div_scale_f32 v11, vcc, 1.0, v4, 1.0
	v_mul_f32_e32 v12, v11, v9
	v_fma_f32 v13, -v8, v12, v11
	v_fmac_f32_e32 v12, v13, v9
	v_fma_f32 v8, -v8, v12, v11
	v_div_fmas_f32 v8, v8, v9, v12
	v_div_fixup_f32 v4, v8, v4, 1.0
	v_mul_f32_e32 v5, v4, v5
	v_mul_f32_e32 v11, v4, v6
	v_cmp_class_f32_e64 vcc, v5, s2
	v_mul_f32_e32 v12, v4, v7
	v_pk_mul_f32 v[6:7], v[4:5], v[0:1] op_sel_hi:[0,1]
	v_cndmask_b32_e32 v0, 0, v5, vcc
	v_cmp_class_f32_e64 vcc, v11, s2
	v_pk_mul_f32 v[8:9], v[4:5], v[2:3] op_sel_hi:[0,1]
	v_cndmask_b32_e32 v1, 0, v11, vcc
	v_cmp_class_f32_e64 vcc, v12, s2
	v_mov_b32_e32 v5, 0x207
	v_cndmask_b32_e32 v2, 0, v12, vcc
	v_cmp_class_f32_e32 vcc, v7, v5
	v_mul_f32_e32 v10, v4, v10
	v_cndmask_b32_e64 v4, v7, 0, vcc
	v_cmp_class_f32_e32 vcc, v6, v5
	v_cndmask_b32_e64 v3, v6, 0, vcc
	v_cmp_class_f32_e32 vcc, v9, v5
	;; [unrolled: 2-line block ×3, first 2 shown]
	v_cndmask_b32_e64 v5, v8, 0, vcc
	v_cmp_class_f32_e64 vcc, v10, s2
	s_waitcnt lgkmcnt(0)
	s_cmp_eq_u64 s[0:1], 0
	v_cndmask_b32_e32 v7, 0, v10, vcc
	s_cbranch_scc1 .LBB144_27
; %bb.4:
	v_lshlrev_b32_e32 v16, 2, v27
	global_load_dwordx4 v[8:11], v16, s[0:1]
	global_load_dwordx4 v[12:15], v16, s[0:1] offset:16
	s_waitcnt vmcnt(1)
	v_pk_add_f32 v[8:9], v[8:9], v[0:1]
	v_pk_add_f32 v[10:11], v[10:11], v[2:3]
	s_waitcnt vmcnt(0)
	v_pk_add_f32 v[12:13], v[12:13], v[4:5]
	v_pk_add_f32 v[14:15], v[14:15], v[6:7]
	s_cbranch_execnz .LBB144_6
.LBB144_5:
	v_pk_mov_b32 v[14:15], v[6:7], v[6:7] op_sel:[0,1]
	v_pk_mov_b32 v[12:13], v[4:5], v[4:5] op_sel:[0,1]
	;; [unrolled: 1-line block ×4, first 2 shown]
.LBB144_6:
	s_load_dwordx4 s[8:11], s[4:5], 0x30
	s_mov_b32 s25, 0
	v_cmp_eq_u32_e64 s[0:1], 0, v21
	s_waitcnt lgkmcnt(0)
	s_bitcmp1_b32 s11, 0
	s_cselect_b64 vcc, -1, 0
	s_cmp_gt_i32 s8, 0
	s_cselect_b64 s[20:21], -1, 0
	s_cmp_lt_i32 s8, 1
	s_cbranch_scc1 .LBB144_28
; %bb.7:
	s_load_dwordx4 s[12:15], s[4:5], 0x20
	v_mul_lo_u32 v29, v17, s8
	v_mov_b32_e32 v28, 0
	v_mov_b32_e32 v30, 0x100
	;; [unrolled: 1-line block ×4, first 2 shown]
	s_branch .LBB144_10
.LBB144_8:                              ;   in Loop: Header=BB144_10 Depth=1
	s_or_b64 exec, exec, s[4:5]
.LBB144_9:                              ;   in Loop: Header=BB144_10 Depth=1
	s_cmp_eq_u32 s8, s25
	v_add_u32_e32 v32, s24, v32
	s_cbranch_scc1 .LBB144_29
.LBB144_10:                             ; =>This Inner Loop Header: Depth=1
	v_cmp_gt_f32_e64 s[2:3], v9, v8
	v_cndmask_b32_e64 v16, v8, v9, s[2:3]
	v_cndmask_b32_e64 v18, v0, v1, s[2:3]
	s_waitcnt lgkmcnt(0)
	v_cndmask_b32_e64 v19, 0, 1, s[2:3]
	v_cmp_gt_f32_e64 s[2:3], v10, v16
	v_cndmask_b32_e64 v16, v16, v10, s[2:3]
	v_cndmask_b32_e64 v18, v18, v2, s[2:3]
	v_cndmask_b32_e64 v19, v19, 2, s[2:3]
	v_cmp_gt_f32_e64 s[2:3], v11, v16
	v_cndmask_b32_e64 v16, v16, v11, s[2:3]
	v_cndmask_b32_e64 v18, v18, v3, s[2:3]
	v_cndmask_b32_e64 v19, v19, 3, s[2:3]
	v_cmp_gt_f32_e64 s[2:3], v12, v16
	v_cndmask_b32_e64 v16, v16, v12, s[2:3]
	v_cndmask_b32_e64 v18, v18, v4, s[2:3]
	v_cndmask_b32_e64 v19, v19, 4, s[2:3]
	v_cmp_gt_f32_e64 s[2:3], v13, v16
	v_cndmask_b32_e64 v16, v16, v13, s[2:3]
	v_cndmask_b32_e64 v18, v18, v5, s[2:3]
	v_cndmask_b32_e64 v19, v19, 5, s[2:3]
	v_cmp_gt_f32_e64 s[2:3], v14, v16
	v_cndmask_b32_e64 v16, v16, v14, s[2:3]
	v_cndmask_b32_e64 v18, v18, v6, s[2:3]
	v_cndmask_b32_e64 v19, v19, 6, s[2:3]
	v_cmp_gt_f32_e64 s[2:3], v15, v16
	v_cndmask_b32_e64 v19, v19, 7, s[2:3]
	v_cndmask_b32_e64 v16, v16, v15, s[2:3]
	v_or_b32_e32 v19, v27, v19
	ds_bpermute_b32 v20, v22, v16
	ds_bpermute_b32 v33, v22, v19
	v_cndmask_b32_e64 v18, v18, v7, s[2:3]
	ds_bpermute_b32 v35, v22, v18
	s_waitcnt lgkmcnt(0)
	v_cmp_eq_f32_e64 s[4:5], v16, v20
	v_cmp_lt_i32_e64 s[6:7], v33, v19
	v_cmp_lt_f32_e64 s[2:3], v16, v20
	s_and_b64 s[4:5], s[4:5], s[6:7]
	s_or_b64 s[2:3], s[2:3], s[4:5]
	v_cndmask_b32_e64 v34, v19, v33, s[2:3]
	v_cndmask_b32_e64 v33, v16, v20, s[2:3]
	;; [unrolled: 1-line block ×3, first 2 shown]
	ds_bpermute_b32 v36, v23, v33
	ds_bpermute_b32 v20, v23, v16
	;; [unrolled: 1-line block ×3, first 2 shown]
                                        ; implicit-def: $vgpr18_vgpr19
	s_waitcnt lgkmcnt(2)
	v_cmp_lt_f32_e64 s[6:7], v33, v36
	v_cmp_nlt_f32_e64 s[2:3], v33, v36
	s_and_saveexec_b64 s[22:23], s[2:3]
	s_cbranch_execz .LBB144_12
; %bb.11:                               ;   in Loop: Header=BB144_10 Depth=1
	v_cmp_eq_f32_e64 s[2:3], v33, v36
	s_waitcnt lgkmcnt(0)
	v_cmp_lt_i32_e64 s[4:5], v35, v34
	s_and_b64 s[2:3], s[2:3], s[4:5]
	s_andn2_b64 s[4:5], s[6:7], exec
	s_and_b64 s[2:3], s[2:3], exec
	s_or_b64 s[6:7], s[4:5], s[2:3]
	v_pk_mov_b32 v[18:19], v[16:17], v[16:17] op_sel:[0,1]
.LBB144_12:                             ;   in Loop: Header=BB144_10 Depth=1
	s_or_b64 exec, exec, s[22:23]
	s_and_saveexec_b64 s[2:3], s[6:7]
	s_cbranch_execz .LBB144_14
; %bb.13:                               ;   in Loop: Header=BB144_10 Depth=1
	v_mov_b32_e32 v33, v36
	s_waitcnt lgkmcnt(1)
	v_mov_b32_e32 v16, v20
	s_waitcnt lgkmcnt(0)
	v_mov_b32_e32 v34, v35
	v_pk_mov_b32 v[18:19], v[20:21], v[20:21] op_sel:[0,1]
.LBB144_14:                             ;   in Loop: Header=BB144_10 Depth=1
	s_or_b64 exec, exec, s[2:3]
	s_waitcnt lgkmcnt(0)
	ds_bpermute_b32 v35, v24, v33
	ds_bpermute_b32 v20, v24, v16
	;; [unrolled: 1-line block ×3, first 2 shown]
	s_waitcnt lgkmcnt(2)
	v_cmp_lt_f32_e64 s[6:7], v33, v35
	v_cmp_nlt_f32_e64 s[2:3], v33, v35
	s_and_saveexec_b64 s[22:23], s[2:3]
	s_cbranch_execz .LBB144_16
; %bb.15:                               ;   in Loop: Header=BB144_10 Depth=1
	v_cmp_eq_f32_e64 s[2:3], v33, v35
	s_waitcnt lgkmcnt(0)
	v_cmp_lt_i32_e64 s[4:5], v19, v34
	s_and_b64 s[2:3], s[2:3], s[4:5]
	s_andn2_b64 s[4:5], s[6:7], exec
	s_and_b64 s[2:3], s[2:3], exec
	s_or_b64 s[6:7], s[4:5], s[2:3]
.LBB144_16:                             ;   in Loop: Header=BB144_10 Depth=1
	s_or_b64 exec, exec, s[22:23]
	s_and_saveexec_b64 s[2:3], s[6:7]
	s_cbranch_execz .LBB144_18
; %bb.17:                               ;   in Loop: Header=BB144_10 Depth=1
	v_mov_b32_e32 v33, v35
	s_waitcnt lgkmcnt(1)
	v_mov_b32_e32 v16, v20
	s_waitcnt lgkmcnt(0)
	v_mov_b32_e32 v34, v19
	v_pk_mov_b32 v[18:19], v[20:21], v[20:21] op_sel:[0,1]
.LBB144_18:                             ;   in Loop: Header=BB144_10 Depth=1
	s_or_b64 exec, exec, s[2:3]
	ds_bpermute_b32 v35, v25, v33
	s_waitcnt lgkmcnt(2)
	ds_bpermute_b32 v20, v25, v16
	s_waitcnt lgkmcnt(2)
	;; [unrolled: 2-line block ×3, first 2 shown]
	v_cmp_lt_f32_e64 s[6:7], v33, v35
	v_cmp_nlt_f32_e64 s[2:3], v33, v35
	s_and_saveexec_b64 s[22:23], s[2:3]
	s_cbranch_execz .LBB144_20
; %bb.19:                               ;   in Loop: Header=BB144_10 Depth=1
	v_cmp_eq_f32_e64 s[2:3], v33, v35
	s_waitcnt lgkmcnt(0)
	v_cmp_lt_i32_e64 s[4:5], v19, v34
	s_and_b64 s[2:3], s[2:3], s[4:5]
	s_andn2_b64 s[4:5], s[6:7], exec
	s_and_b64 s[2:3], s[2:3], exec
	s_or_b64 s[6:7], s[4:5], s[2:3]
.LBB144_20:                             ;   in Loop: Header=BB144_10 Depth=1
	s_or_b64 exec, exec, s[22:23]
	s_and_saveexec_b64 s[2:3], s[6:7]
	s_cbranch_execz .LBB144_22
; %bb.21:                               ;   in Loop: Header=BB144_10 Depth=1
	v_mov_b32_e32 v33, v35
	s_waitcnt lgkmcnt(1)
	v_mov_b32_e32 v16, v20
	s_waitcnt lgkmcnt(0)
	v_mov_b32_e32 v34, v19
	v_pk_mov_b32 v[18:19], v[20:21], v[20:21] op_sel:[0,1]
.LBB144_22:                             ;   in Loop: Header=BB144_10 Depth=1
	s_or_b64 exec, exec, s[2:3]
	s_waitcnt lgkmcnt(1)
	ds_bpermute_b32 v20, v26, v33
	ds_bpermute_b32 v35, v26, v34
	s_waitcnt lgkmcnt(2)
	ds_bpermute_b32 v19, v26, v16
	s_waitcnt lgkmcnt(2)
	v_cmp_eq_f32_e64 s[4:5], v33, v20
	s_waitcnt lgkmcnt(1)
	v_cmp_lt_i32_e64 s[6:7], v35, v34
	v_cmp_lt_f32_e64 s[2:3], v33, v20
	s_and_b64 s[4:5], s[4:5], s[6:7]
	s_or_b64 s[2:3], s[2:3], s[4:5]
	v_cndmask_b32_e64 v16, v34, v35, s[2:3]
	s_and_saveexec_b64 s[6:7], s[0:1]
	s_cbranch_execnz .LBB144_24
; %bb.23:                               ;   in Loop: Header=BB144_10 Depth=1
	s_or_b64 exec, exec, s[6:7]
	s_add_i32 s25, s25, 1
	s_cmp_ge_i32 s25, s8
	s_cbranch_scc1 .LBB144_9
	s_branch .LBB144_25
.LBB144_24:                             ;   in Loop: Header=BB144_10 Depth=1
	s_waitcnt lgkmcnt(0)
	v_cndmask_b32_e64 v20, v18, v19, s[2:3]
	v_add_u32_e32 v18, s25, v29
	v_ashrrev_i32_e32 v19, 31, v18
	v_cmp_le_i32_e64 s[2:3], s9, v16
	v_cmp_gt_i32_e64 s[4:5], s10, v16
	v_lshlrev_b64 v[18:19], 2, v[18:19]
	s_and_b64 s[4:5], s[2:3], s[4:5]
	v_mov_b32_e32 v33, s17
	v_add_co_u32_e64 v34, s[2:3], s16, v18
	v_addc_co_u32_e64 v35, s[2:3], v33, v19, s[2:3]
	v_subrev_u32_e32 v33, s9, v16
	s_and_b64 s[2:3], s[18:19], s[4:5]
	global_store_dword v[34:35], v20, off
	v_cndmask_b32_e64 v33, v30, v33, s[2:3]
	v_mov_b32_e32 v35, s13
	v_add_co_u32_e64 v34, s[2:3], s12, v18
	v_addc_co_u32_e64 v35, s[2:3], v35, v19, s[2:3]
	global_store_dword v[34:35], v33, off
	v_mov_b32_e32 v33, s15
	v_add_co_u32_e64 v18, s[2:3], s14, v18
	v_addc_co_u32_e64 v19, s[2:3], v33, v19, s[2:3]
	global_store_dword v[18:19], v32, off
	v_add_f32_e32 v18, v28, v20
	v_cndmask_b32_e32 v28, v28, v18, vcc
	s_or_b64 exec, exec, s[6:7]
	s_add_i32 s25, s25, 1
	s_cmp_ge_i32 s25, s8
	s_cbranch_scc1 .LBB144_9
.LBB144_25:                             ;   in Loop: Header=BB144_10 Depth=1
	v_ashrrev_i32_e32 v18, 31, v16
	s_waitcnt lgkmcnt(0)
	v_lshrrev_b32_e32 v19, 29, v18
	v_add_u32_e32 v20, v16, v19
	v_ashrrev_i32_e32 v19, 3, v20
	v_ashrrev_i32_e32 v20, 31, v20
	v_lshrrev_b32_e32 v20, 27, v20
	v_add_u32_e32 v20, v19, v20
	v_and_b32_e32 v20, 0xffffffe0, v20
	v_sub_u32_e32 v20, v19, v20
	v_cmp_eq_u32_e64 s[2:3], v21, v20
	s_and_saveexec_b64 s[4:5], s[2:3]
	s_cbranch_execz .LBB144_8
; %bb.26:                               ;   in Loop: Header=BB144_10 Depth=1
	v_add_u32_sdwa v18, v16, v18 dst_sel:DWORD dst_unused:UNUSED_PAD src0_sel:DWORD src1_sel:BYTE_3
	v_lshlrev_b32_e32 v19, 3, v19
	v_ashrrev_i32_e32 v18, 8, v18
	v_sub_u32_e32 v16, v16, v19
	v_lshl_add_u32 v16, v18, 3, v16
	v_cmp_ne_u32_e64 s[2:3], 7, v16
	v_cndmask_b32_e64 v15, v31, v15, s[2:3]
	v_cmp_ne_u32_e64 s[2:3], 6, v16
	v_cndmask_b32_e64 v14, v31, v14, s[2:3]
	v_cmp_ne_u32_e64 s[2:3], 5, v16
	v_cndmask_b32_e64 v13, v31, v13, s[2:3]
	v_cmp_ne_u32_e64 s[2:3], 4, v16
	v_cndmask_b32_e64 v12, v31, v12, s[2:3]
	v_cmp_ne_u32_e64 s[2:3], 3, v16
	v_cndmask_b32_e64 v11, v31, v11, s[2:3]
	v_cmp_ne_u32_e64 s[2:3], 2, v16
	v_cndmask_b32_e64 v10, v31, v10, s[2:3]
	v_cmp_ne_u32_e64 s[2:3], 1, v16
	v_cndmask_b32_e64 v9, v31, v9, s[2:3]
	v_cmp_ne_u32_e64 s[2:3], 0, v16
	v_cndmask_b32_e64 v8, v31, v8, s[2:3]
	s_branch .LBB144_8
.LBB144_27:
                                        ; implicit-def: $vgpr8_vgpr9_vgpr10_vgpr11_vgpr12_vgpr13_vgpr14_vgpr15
	s_andn2_b64 vcc, exec, s[6:7]
	s_cbranch_vccz .LBB144_5
	s_branch .LBB144_6
.LBB144_28:
	v_mov_b32_e32 v28, 0
.LBB144_29:
	v_cmp_eq_u32_e64 s[0:1], 0, v21
	s_and_b64 s[0:1], s[0:1], vcc
	s_and_b64 exec, exec, s[0:1]
	s_cbranch_execz .LBB144_38
; %bb.30:
	s_andn2_b64 vcc, exec, s[20:21]
	s_cbranch_vccnz .LBB144_38
; %bb.31:
	v_cmp_lt_f32_e32 vcc, 0, v28
	s_mov_b32 s2, 0
	v_cndmask_b32_e32 v0, 1.0, v28, vcc
	v_mul_lo_u32 v4, v17, s8
	s_cmp_eq_u32 s8, 1
	s_mov_b64 s[0:1], -1
	s_cbranch_scc1 .LBB144_35
; %bb.32:
	s_and_b32 s2, s8, 0x7ffffffe
	v_mov_b32_e32 v1, v0
	v_mov_b32_e32 v5, s17
	s_mov_b32 s3, s2
	v_mov_b32_e32 v2, v4
.LBB144_33:                             ; =>This Inner Loop Header: Depth=1
	v_ashrrev_i32_e32 v3, 31, v2
	v_lshlrev_b64 v[6:7], 2, v[2:3]
	v_add_co_u32_e32 v6, vcc, s16, v6
	v_addc_co_u32_e32 v7, vcc, v5, v7, vcc
	global_load_dwordx2 v[8:9], v[6:7], off
	s_add_i32 s3, s3, -2
	s_cmp_lg_u32 s3, 0
	v_add_u32_e32 v2, 2, v2
	s_waitcnt vmcnt(0)
	v_div_scale_f32 v3, s[0:1], v1, v1, v9
	v_div_scale_f32 v11, s[0:1], v0, v0, v8
	v_rcp_f32_e32 v12, v3
	v_rcp_f32_e32 v13, v11
	v_div_scale_f32 v10, vcc, v9, v1, v9
	v_fma_f32 v15, -v3, v12, 1.0
	v_fma_f32 v16, -v11, v13, 1.0
	v_fmac_f32_e32 v12, v15, v12
	v_div_scale_f32 v14, s[0:1], v8, v0, v8
	v_fmac_f32_e32 v13, v16, v13
	v_mul_f32_e32 v15, v10, v12
	v_mul_f32_e32 v16, v14, v13
	v_fma_f32 v17, -v3, v15, v10
	v_fma_f32 v18, -v11, v16, v14
	v_fmac_f32_e32 v15, v17, v12
	v_fmac_f32_e32 v16, v18, v13
	v_fma_f32 v3, -v3, v15, v10
	v_fma_f32 v10, -v11, v16, v14
	v_div_fmas_f32 v3, v3, v12, v15
	s_mov_b64 vcc, s[0:1]
	v_div_fixup_f32 v9, v3, v1, v9
	v_div_fmas_f32 v3, v10, v13, v16
	v_div_fixup_f32 v8, v3, v0, v8
	global_store_dwordx2 v[6:7], v[8:9], off
	s_cbranch_scc1 .LBB144_33
; %bb.34:
	s_cmp_lg_u32 s2, s8
	s_cselect_b64 s[0:1], -1, 0
.LBB144_35:
	s_and_b64 vcc, exec, s[0:1]
	s_cbranch_vccz .LBB144_38
; %bb.36:
	v_ashrrev_i32_e32 v1, 31, v4
	v_add_co_u32_e32 v2, vcc, s2, v4
	v_addc_co_u32_e32 v3, vcc, 0, v1, vcc
	v_lshlrev_b64 v[2:3], 2, v[2:3]
	v_mov_b32_e32 v1, s17
	v_add_co_u32_e32 v2, vcc, s16, v2
	s_sub_i32 s0, s8, s2
	v_addc_co_u32_e32 v3, vcc, v1, v3, vcc
.LBB144_37:                             ; =>This Inner Loop Header: Depth=1
	global_load_dword v1, v[2:3], off
	s_add_i32 s0, s0, -1
	s_cmp_lg_u32 s0, 0
	s_waitcnt vmcnt(0)
	v_div_scale_f32 v4, s[2:3], v0, v0, v1
	v_rcp_f32_e32 v5, v4
	v_div_scale_f32 v6, vcc, v1, v0, v1
	v_fma_f32 v7, -v4, v5, 1.0
	v_fmac_f32_e32 v5, v7, v5
	v_mul_f32_e32 v7, v6, v5
	v_fma_f32 v8, -v4, v7, v6
	v_fmac_f32_e32 v7, v8, v5
	v_fma_f32 v4, -v4, v7, v6
	v_div_fmas_f32 v4, v4, v5, v7
	v_div_fixup_f32 v1, v4, v0, v1
	global_store_dword v[2:3], v1, off
	v_add_co_u32_e32 v2, vcc, 4, v2
	v_addc_co_u32_e32 v3, vcc, 0, v3, vcc
	s_cbranch_scc1 .LBB144_37
.LBB144_38:
	s_endpgm
	.section	.rodata,"a",@progbits
	.p2align	6, 0x0
	.amdhsa_kernel _ZN4vllm3moe10topkGatingILi8ELi256ELi4ELi16ELi32Ei14__hip_bfloat16LNS0_11ScoringFuncE0EEEvPKT5_PKbPfiPT4_PiiiibPKf
		.amdhsa_group_segment_fixed_size 0
		.amdhsa_private_segment_fixed_size 0
		.amdhsa_kernarg_size 72
		.amdhsa_user_sgpr_count 6
		.amdhsa_user_sgpr_private_segment_buffer 1
		.amdhsa_user_sgpr_dispatch_ptr 0
		.amdhsa_user_sgpr_queue_ptr 0
		.amdhsa_user_sgpr_kernarg_segment_ptr 1
		.amdhsa_user_sgpr_dispatch_id 0
		.amdhsa_user_sgpr_flat_scratch_init 0
		.amdhsa_user_sgpr_kernarg_preload_length 0
		.amdhsa_user_sgpr_kernarg_preload_offset 0
		.amdhsa_user_sgpr_private_segment_size 0
		.amdhsa_uses_dynamic_stack 0
		.amdhsa_system_sgpr_private_segment_wavefront_offset 0
		.amdhsa_system_sgpr_workgroup_id_x 1
		.amdhsa_system_sgpr_workgroup_id_y 0
		.amdhsa_system_sgpr_workgroup_id_z 0
		.amdhsa_system_sgpr_workgroup_info 0
		.amdhsa_system_vgpr_workitem_id 1
		.amdhsa_next_free_vgpr 37
		.amdhsa_next_free_sgpr 26
		.amdhsa_accum_offset 40
		.amdhsa_reserve_vcc 1
		.amdhsa_reserve_flat_scratch 0
		.amdhsa_float_round_mode_32 0
		.amdhsa_float_round_mode_16_64 0
		.amdhsa_float_denorm_mode_32 3
		.amdhsa_float_denorm_mode_16_64 3
		.amdhsa_dx10_clamp 1
		.amdhsa_ieee_mode 1
		.amdhsa_fp16_overflow 0
		.amdhsa_tg_split 0
		.amdhsa_exception_fp_ieee_invalid_op 0
		.amdhsa_exception_fp_denorm_src 0
		.amdhsa_exception_fp_ieee_div_zero 0
		.amdhsa_exception_fp_ieee_overflow 0
		.amdhsa_exception_fp_ieee_underflow 0
		.amdhsa_exception_fp_ieee_inexact 0
		.amdhsa_exception_int_div_zero 0
	.end_amdhsa_kernel
	.section	.text._ZN4vllm3moe10topkGatingILi8ELi256ELi4ELi16ELi32Ei14__hip_bfloat16LNS0_11ScoringFuncE0EEEvPKT5_PKbPfiPT4_PiiiibPKf,"axG",@progbits,_ZN4vllm3moe10topkGatingILi8ELi256ELi4ELi16ELi32Ei14__hip_bfloat16LNS0_11ScoringFuncE0EEEvPKT5_PKbPfiPT4_PiiiibPKf,comdat
.Lfunc_end144:
	.size	_ZN4vllm3moe10topkGatingILi8ELi256ELi4ELi16ELi32Ei14__hip_bfloat16LNS0_11ScoringFuncE0EEEvPKT5_PKbPfiPT4_PiiiibPKf, .Lfunc_end144-_ZN4vllm3moe10topkGatingILi8ELi256ELi4ELi16ELi32Ei14__hip_bfloat16LNS0_11ScoringFuncE0EEEvPKT5_PKbPfiPT4_PiiiibPKf
                                        ; -- End function
	.section	.AMDGPU.csdata,"",@progbits
; Kernel info:
; codeLenInByte = 3344
; NumSgprs: 30
; NumVgprs: 37
; NumAgprs: 0
; TotalNumVgprs: 37
; ScratchSize: 0
; MemoryBound: 0
; FloatMode: 240
; IeeeMode: 1
; LDSByteSize: 0 bytes/workgroup (compile time only)
; SGPRBlocks: 3
; VGPRBlocks: 4
; NumSGPRsForWavesPerEU: 30
; NumVGPRsForWavesPerEU: 37
; AccumOffset: 40
; Occupancy: 8
; WaveLimiterHint : 0
; COMPUTE_PGM_RSRC2:SCRATCH_EN: 0
; COMPUTE_PGM_RSRC2:USER_SGPR: 6
; COMPUTE_PGM_RSRC2:TRAP_HANDLER: 0
; COMPUTE_PGM_RSRC2:TGID_X_EN: 1
; COMPUTE_PGM_RSRC2:TGID_Y_EN: 0
; COMPUTE_PGM_RSRC2:TGID_Z_EN: 0
; COMPUTE_PGM_RSRC2:TIDIG_COMP_CNT: 1
; COMPUTE_PGM_RSRC3_GFX90A:ACCUM_OFFSET: 9
; COMPUTE_PGM_RSRC3_GFX90A:TG_SPLIT: 0
	.section	.text._ZN4vllm3moe10topkGatingILi8ELi512ELi4ELi16ELi64Ei14__hip_bfloat16LNS0_11ScoringFuncE0EEEvPKT5_PKbPfiPT4_PiiiibPKf,"axG",@progbits,_ZN4vllm3moe10topkGatingILi8ELi512ELi4ELi16ELi64Ei14__hip_bfloat16LNS0_11ScoringFuncE0EEEvPKT5_PKbPfiPT4_PiiiibPKf,comdat
	.protected	_ZN4vllm3moe10topkGatingILi8ELi512ELi4ELi16ELi64Ei14__hip_bfloat16LNS0_11ScoringFuncE0EEEvPKT5_PKbPfiPT4_PiiiibPKf ; -- Begin function _ZN4vllm3moe10topkGatingILi8ELi512ELi4ELi16ELi64Ei14__hip_bfloat16LNS0_11ScoringFuncE0EEEvPKT5_PKbPfiPT4_PiiiibPKf
	.globl	_ZN4vllm3moe10topkGatingILi8ELi512ELi4ELi16ELi64Ei14__hip_bfloat16LNS0_11ScoringFuncE0EEEvPKT5_PKbPfiPT4_PiiiibPKf
	.p2align	8
	.type	_ZN4vllm3moe10topkGatingILi8ELi512ELi4ELi16ELi64Ei14__hip_bfloat16LNS0_11ScoringFuncE0EEEvPKT5_PKbPfiPT4_PiiiibPKf,@function
_ZN4vllm3moe10topkGatingILi8ELi512ELi4ELi16ELi64Ei14__hip_bfloat16LNS0_11ScoringFuncE0EEEvPKT5_PKbPfiPT4_PiiiibPKf: ; @_ZN4vllm3moe10topkGatingILi8ELi512ELi4ELi16ELi64Ei14__hip_bfloat16LNS0_11ScoringFuncE0EEEvPKT5_PKbPfiPT4_PiiiibPKf
; %bb.0:
	s_load_dword s24, s[4:5], 0x18
	v_and_b32_e32 v1, 0x3ff, v0
	s_lshl_b32 s0, s6, 2
	v_lshrrev_b32_e32 v2, 6, v1
	v_bfe_u32 v0, v0, 10, 10
	v_add3_u32 v17, s0, v0, v2
	s_waitcnt lgkmcnt(0)
	v_cmp_gt_i32_e32 vcc, s24, v17
	s_and_saveexec_b64 s[0:1], vcc
	s_cbranch_execz .LBB145_42
; %bb.1:
	s_load_dwordx4 s[0:3], s[4:5], 0x0
	s_load_dwordx2 s[16:17], s[4:5], 0x10
	s_mov_b64 s[6:7], -1
	s_mov_b64 s[18:19], -1
	s_waitcnt lgkmcnt(0)
	s_cmp_eq_u64 s[2:3], 0
	s_cbranch_scc1 .LBB145_3
; %bb.2:
	v_ashrrev_i32_e32 v0, 31, v17
	v_mov_b32_e32 v3, s3
	v_add_co_u32_e32 v2, vcc, s2, v17
	v_addc_co_u32_e32 v3, vcc, v3, v0, vcc
	global_load_ubyte v0, v[2:3], off
	s_waitcnt vmcnt(0)
	v_and_b32_e32 v0, 1, v0
	v_cmp_eq_u32_e32 vcc, 1, v0
	s_xor_b64 s[2:3], vcc, -1
	s_orn2_b64 s[18:19], s[2:3], exec
.LBB145_3:
	v_lshlrev_b32_e32 v2, 9, v17
	v_ashrrev_i32_e32 v3, 31, v2
	v_lshlrev_b64 v[2:3], 1, v[2:3]
	v_mov_b32_e32 v0, s1
	v_add_co_u32_e32 v2, vcc, s0, v2
	v_and_b32_e32 v21, 63, v1
	v_addc_co_u32_e32 v3, vcc, v0, v3, vcc
	v_lshlrev_b32_e32 v0, 4, v21
	v_add_co_u32_e32 v0, vcc, v2, v0
	v_addc_co_u32_e32 v1, vcc, 0, v3, vcc
	global_load_dwordx4 v[0:3], v[0:1], off
	v_mbcnt_lo_u32_b32 v4, -1, 0
	v_mbcnt_hi_u32_b32 v4, -1, v4
	v_and_b32_e32 v5, 64, v4
	v_xor_b32_e32 v6, 32, v4
	v_add_u32_e32 v5, 64, v5
	v_cmp_lt_i32_e32 vcc, v6, v5
	v_cndmask_b32_e32 v6, v4, v6, vcc
	v_lshlrev_b32_e32 v22, 2, v6
	v_xor_b32_e32 v12, 16, v4
	v_cmp_lt_i32_e32 vcc, v12, v5
	v_cndmask_b32_e32 v12, v4, v12, vcc
	v_lshlrev_b32_e32 v23, 2, v12
	v_xor_b32_e32 v12, 8, v4
	;; [unrolled: 4-line block ×5, first 2 shown]
	v_cmp_lt_i32_e32 vcc, v12, v5
	v_cndmask_b32_e32 v4, v4, v12, vcc
	v_lshlrev_b32_e32 v27, 2, v4
	s_mov_b32 s0, 0x3fb8aa3b
	s_mov_b32 s1, 0xc2ce8ed0
	;; [unrolled: 1-line block ×3, first 2 shown]
	s_waitcnt vmcnt(0)
	v_lshlrev_b32_e32 v6, 16, v0
	v_and_b32_e32 v7, 0xffff0000, v0
	v_max_f32_e32 v10, v7, v7
	v_max_f32_e32 v11, v6, v6
	v_lshlrev_b32_e32 v8, 16, v1
	v_and_b32_e32 v0, 0xffff0000, v1
	v_max_f32_e32 v10, v11, v10
	v_lshlrev_b32_e32 v1, 16, v2
	v_and_b32_e32 v2, 0xffff0000, v2
	v_max3_f32 v10, v10, v8, v0
	v_and_b32_e32 v9, 0xffff0000, v3
	v_lshlrev_b32_e32 v3, 16, v3
	v_max3_f32 v10, v10, v1, v2
	v_max3_f32 v10, v10, v3, v9
	ds_bpermute_b32 v11, v22, v10
	s_waitcnt lgkmcnt(0)
	v_max_f32_e32 v11, v11, v11
	v_max_f32_e32 v10, v10, v11
	ds_bpermute_b32 v11, v23, v10
	s_waitcnt lgkmcnt(0)
	v_max_f32_e32 v11, v11, v11
	v_max_f32_e32 v10, v10, v11
	;; [unrolled: 4-line block ×5, first 2 shown]
	ds_bpermute_b32 v5, v27, v4
	v_mov_b32_e32 v10, 0x7f800000
	s_waitcnt lgkmcnt(0)
	v_max_f32_e32 v5, v5, v5
	v_max_f32_e32 v4, v4, v5
	v_sub_f32_e32 v5, v6, v4
	v_sub_f32_e32 v6, v7, v4
	;; [unrolled: 1-line block ×3, first 2 shown]
	v_mul_f32_e32 v8, 0x3fb8aa3b, v5
	v_mul_f32_e32 v11, 0x3fb8aa3b, v6
	v_fma_f32 v15, v5, s0, -v8
	v_rndne_f32_e32 v16, v8
	v_pk_add_f32 v[0:1], v[0:1], v[4:5] op_sel_hi:[1,0] neg_lo:[0,1] neg_hi:[0,1]
	v_mul_f32_e32 v12, 0x3fb8aa3b, v7
	v_fma_f32 v18, v6, s0, -v11
	v_rndne_f32_e32 v19, v11
	v_fmac_f32_e32 v15, 0x32a5705f, v5
	v_sub_f32_e32 v8, v8, v16
	v_mul_f32_e32 v13, 0x3fb8aa3b, v1
	v_fma_f32 v20, v7, s0, -v12
	v_rndne_f32_e32 v28, v12
	v_fmac_f32_e32 v18, 0x32a5705f, v6
	v_sub_f32_e32 v11, v11, v19
	v_add_f32_e32 v8, v8, v15
	v_fma_f32 v29, v1, s0, -v13
	v_rndne_f32_e32 v30, v13
	v_cvt_i32_f32_e32 v16, v16
	v_fmac_f32_e32 v20, 0x32a5705f, v7
	v_sub_f32_e32 v12, v12, v28
	v_add_f32_e32 v11, v11, v18
	v_exp_f32_e32 v8, v8
	v_cvt_i32_f32_e32 v19, v19
	v_fmac_f32_e32 v29, 0x32a5705f, v1
	v_sub_f32_e32 v13, v13, v30
	v_add_f32_e32 v12, v12, v20
	v_exp_f32_e32 v11, v11
	v_cvt_i32_f32_e32 v28, v28
	v_add_f32_e32 v13, v13, v29
	v_exp_f32_e32 v12, v12
	v_cvt_i32_f32_e32 v30, v30
	v_exp_f32_e32 v13, v13
	v_mul_f32_e32 v14, 0x3fb8aa3b, v0
	v_ldexp_f32 v8, v8, v16
	v_cmp_ngt_f32_e32 vcc, s1, v5
	v_fma_f32 v31, v0, s0, -v14
	v_rndne_f32_e32 v32, v14
	v_ldexp_f32 v11, v11, v19
	v_cndmask_b32_e32 v8, 0, v8, vcc
	v_cmp_ngt_f32_e32 vcc, s1, v6
	v_fmac_f32_e32 v31, 0x32a5705f, v0
	v_sub_f32_e32 v14, v14, v32
	v_ldexp_f32 v12, v12, v28
	v_cndmask_b32_e32 v11, 0, v11, vcc
	v_cmp_ngt_f32_e32 vcc, s1, v7
	v_add_f32_e32 v14, v14, v31
	v_ldexp_f32 v13, v13, v30
	v_cndmask_b32_e32 v12, 0, v12, vcc
	v_cmp_ngt_f32_e32 vcc, s1, v1
	v_cvt_i32_f32_e32 v32, v32
	v_exp_f32_e32 v14, v14
	v_cndmask_b32_e32 v13, 0, v13, vcc
	v_cmp_nlt_f32_e32 vcc, s2, v5
	v_cndmask_b32_e32 v5, v10, v8, vcc
	v_cmp_nlt_f32_e32 vcc, s2, v6
	;; [unrolled: 2-line block ×4, first 2 shown]
	v_pk_add_f32 v[2:3], v[2:3], v[4:5] op_sel_hi:[1,0] neg_lo:[0,1] neg_hi:[0,1]
	v_ldexp_f32 v14, v14, v32
	v_cndmask_b32_e32 v1, v10, v13, vcc
	v_cmp_ngt_f32_e32 vcc, s1, v0
	v_mul_f32_e32 v12, 0x3fb8aa3b, v3
	v_cndmask_b32_e32 v11, 0, v14, vcc
	v_fma_f32 v13, v3, s0, -v12
	v_rndne_f32_e32 v14, v12
	v_fmac_f32_e32 v13, 0x32a5705f, v3
	v_sub_f32_e32 v12, v12, v14
	v_add_f32_e32 v12, v12, v13
	v_exp_f32_e32 v12, v12
	v_cvt_i32_f32_e32 v13, v14
	v_cmp_nlt_f32_e32 vcc, s2, v0
	v_cndmask_b32_e32 v0, v10, v11, vcc
	v_cmp_ngt_f32_e32 vcc, s1, v3
	v_ldexp_f32 v11, v12, v13
	v_mul_f32_e32 v12, 0x3fb8aa3b, v2
	v_fma_f32 v13, v2, s0, -v12
	v_rndne_f32_e32 v14, v12
	v_fmac_f32_e32 v13, 0x32a5705f, v2
	v_sub_f32_e32 v12, v12, v14
	v_add_f32_e32 v12, v12, v13
	v_exp_f32_e32 v12, v12
	v_cvt_i32_f32_e32 v13, v14
	v_sub_f32_e32 v4, v9, v4
	v_cndmask_b32_e32 v11, 0, v11, vcc
	v_cmp_nlt_f32_e32 vcc, s2, v3
	v_mul_f32_e32 v9, 0x3fb8aa3b, v4
	v_cndmask_b32_e32 v3, v10, v11, vcc
	v_ldexp_f32 v11, v12, v13
	v_fma_f32 v12, v4, s0, -v9
	v_rndne_f32_e32 v13, v9
	v_fmac_f32_e32 v12, 0x32a5705f, v4
	v_sub_f32_e32 v9, v9, v13
	v_add_f32_e32 v9, v9, v12
	v_exp_f32_e32 v9, v9
	v_cvt_i32_f32_e32 v12, v13
	v_add_f32_e32 v8, v5, v6
	v_add_f32_e32 v8, v8, v7
	v_cmp_ngt_f32_e32 vcc, s1, v2
	v_add_f32_e32 v8, v8, v0
	v_cndmask_b32_e32 v11, 0, v11, vcc
	v_cmp_nlt_f32_e32 vcc, s2, v2
	v_add_f32_e32 v8, v8, v1
	v_cndmask_b32_e32 v2, v10, v11, vcc
	v_ldexp_f32 v9, v9, v12
	v_cmp_ngt_f32_e32 vcc, s1, v4
	v_add_f32_e32 v8, v8, v2
	v_cndmask_b32_e32 v9, 0, v9, vcc
	v_cmp_nlt_f32_e32 vcc, s2, v4
	v_add_f32_e32 v8, v8, v3
	v_cndmask_b32_e32 v10, v10, v9, vcc
	v_add_f32_e32 v4, v8, v10
	ds_bpermute_b32 v8, v22, v4
	s_movk_i32 s2, 0x1f8
	v_lshlrev_b32_e32 v28, 3, v21
	s_waitcnt lgkmcnt(0)
	v_add_f32_e32 v4, v4, v8
	ds_bpermute_b32 v8, v23, v4
	s_waitcnt lgkmcnt(0)
	v_add_f32_e32 v4, v4, v8
	ds_bpermute_b32 v8, v24, v4
	;; [unrolled: 3-line block ×5, first 2 shown]
	s_waitcnt lgkmcnt(0)
	v_add_f32_e32 v4, v4, v8
	v_div_scale_f32 v8, s[0:1], v4, v4, 1.0
	v_rcp_f32_e32 v9, v8
	s_load_dwordx2 s[0:1], s[4:5], 0x40
	v_fma_f32 v11, -v8, v9, 1.0
	v_fmac_f32_e32 v9, v11, v9
	v_div_scale_f32 v11, vcc, 1.0, v4, 1.0
	v_mul_f32_e32 v12, v11, v9
	v_fma_f32 v13, -v8, v12, v11
	v_fmac_f32_e32 v12, v13, v9
	v_fma_f32 v8, -v8, v12, v11
	v_div_fmas_f32 v8, v8, v9, v12
	v_div_fixup_f32 v4, v8, v4, 1.0
	v_mul_f32_e32 v5, v4, v5
	v_mul_f32_e32 v11, v4, v6
	v_cmp_class_f32_e64 vcc, v5, s2
	v_mul_f32_e32 v12, v4, v7
	v_pk_mul_f32 v[6:7], v[4:5], v[0:1] op_sel_hi:[0,1]
	v_cndmask_b32_e32 v0, 0, v5, vcc
	v_cmp_class_f32_e64 vcc, v11, s2
	v_pk_mul_f32 v[8:9], v[4:5], v[2:3] op_sel_hi:[0,1]
	v_cndmask_b32_e32 v1, 0, v11, vcc
	v_cmp_class_f32_e64 vcc, v12, s2
	v_mov_b32_e32 v5, 0x207
	v_cndmask_b32_e32 v2, 0, v12, vcc
	v_cmp_class_f32_e32 vcc, v7, v5
	v_mul_f32_e32 v10, v4, v10
	v_cndmask_b32_e64 v4, v7, 0, vcc
	v_cmp_class_f32_e32 vcc, v6, v5
	v_cndmask_b32_e64 v3, v6, 0, vcc
	v_cmp_class_f32_e32 vcc, v9, v5
	;; [unrolled: 2-line block ×3, first 2 shown]
	v_cndmask_b32_e64 v5, v8, 0, vcc
	v_cmp_class_f32_e64 vcc, v10, s2
	s_waitcnt lgkmcnt(0)
	s_cmp_eq_u64 s[0:1], 0
	v_cndmask_b32_e32 v7, 0, v10, vcc
	s_cbranch_scc1 .LBB145_31
; %bb.4:
	v_lshlrev_b32_e32 v16, 2, v28
	global_load_dwordx4 v[8:11], v16, s[0:1]
	global_load_dwordx4 v[12:15], v16, s[0:1] offset:16
	s_waitcnt vmcnt(1)
	v_pk_add_f32 v[8:9], v[8:9], v[0:1]
	v_pk_add_f32 v[10:11], v[10:11], v[2:3]
	s_waitcnt vmcnt(0)
	v_pk_add_f32 v[12:13], v[12:13], v[4:5]
	v_pk_add_f32 v[14:15], v[14:15], v[6:7]
	s_cbranch_execnz .LBB145_6
.LBB145_5:
	v_pk_mov_b32 v[14:15], v[6:7], v[6:7] op_sel:[0,1]
	v_pk_mov_b32 v[12:13], v[4:5], v[4:5] op_sel:[0,1]
	;; [unrolled: 1-line block ×4, first 2 shown]
.LBB145_6:
	s_load_dwordx4 s[8:11], s[4:5], 0x30
	s_mov_b32 s25, 0
	v_cmp_eq_u32_e64 s[0:1], 0, v21
	s_waitcnt lgkmcnt(0)
	s_bitcmp1_b32 s11, 0
	s_cselect_b64 vcc, -1, 0
	s_cmp_gt_i32 s8, 0
	s_cselect_b64 s[20:21], -1, 0
	s_cmp_lt_i32 s8, 1
	s_cbranch_scc1 .LBB145_32
; %bb.7:
	s_load_dwordx4 s[12:15], s[4:5], 0x20
	v_mul_lo_u32 v30, v17, s8
	v_mov_b32_e32 v29, 0
	v_mov_b32_e32 v31, 0x200
	;; [unrolled: 1-line block ×4, first 2 shown]
	s_branch .LBB145_10
.LBB145_8:                              ;   in Loop: Header=BB145_10 Depth=1
	s_or_b64 exec, exec, s[4:5]
.LBB145_9:                              ;   in Loop: Header=BB145_10 Depth=1
	s_cmp_eq_u32 s8, s25
	v_add_u32_e32 v33, s24, v33
	s_cbranch_scc1 .LBB145_33
.LBB145_10:                             ; =>This Inner Loop Header: Depth=1
	v_cmp_gt_f32_e64 s[2:3], v9, v8
	v_cndmask_b32_e64 v16, v8, v9, s[2:3]
	v_cndmask_b32_e64 v18, v0, v1, s[2:3]
	s_waitcnt lgkmcnt(0)
	v_cndmask_b32_e64 v19, 0, 1, s[2:3]
	v_cmp_gt_f32_e64 s[2:3], v10, v16
	v_cndmask_b32_e64 v16, v16, v10, s[2:3]
	v_cndmask_b32_e64 v18, v18, v2, s[2:3]
	v_cndmask_b32_e64 v19, v19, 2, s[2:3]
	v_cmp_gt_f32_e64 s[2:3], v11, v16
	v_cndmask_b32_e64 v16, v16, v11, s[2:3]
	v_cndmask_b32_e64 v18, v18, v3, s[2:3]
	;; [unrolled: 4-line block ×6, first 2 shown]
	v_or_b32_e32 v19, v28, v19
	ds_bpermute_b32 v20, v22, v16
	ds_bpermute_b32 v34, v22, v19
	v_cndmask_b32_e64 v18, v18, v7, s[2:3]
	ds_bpermute_b32 v36, v22, v18
	s_waitcnt lgkmcnt(0)
	v_cmp_eq_f32_e64 s[4:5], v16, v20
	v_cmp_lt_i32_e64 s[6:7], v34, v19
	v_cmp_lt_f32_e64 s[2:3], v16, v20
	s_and_b64 s[4:5], s[4:5], s[6:7]
	s_or_b64 s[2:3], s[2:3], s[4:5]
	v_cndmask_b32_e64 v35, v19, v34, s[2:3]
	v_cndmask_b32_e64 v34, v16, v20, s[2:3]
	;; [unrolled: 1-line block ×3, first 2 shown]
	ds_bpermute_b32 v37, v23, v34
	ds_bpermute_b32 v20, v23, v16
	;; [unrolled: 1-line block ×3, first 2 shown]
                                        ; implicit-def: $vgpr18_vgpr19
	s_waitcnt lgkmcnt(2)
	v_cmp_lt_f32_e64 s[6:7], v34, v37
	v_cmp_nlt_f32_e64 s[2:3], v34, v37
	s_and_saveexec_b64 s[22:23], s[2:3]
	s_cbranch_execz .LBB145_12
; %bb.11:                               ;   in Loop: Header=BB145_10 Depth=1
	v_cmp_eq_f32_e64 s[2:3], v34, v37
	s_waitcnt lgkmcnt(0)
	v_cmp_lt_i32_e64 s[4:5], v36, v35
	s_and_b64 s[2:3], s[2:3], s[4:5]
	s_andn2_b64 s[4:5], s[6:7], exec
	s_and_b64 s[2:3], s[2:3], exec
	s_or_b64 s[6:7], s[4:5], s[2:3]
	v_pk_mov_b32 v[18:19], v[16:17], v[16:17] op_sel:[0,1]
.LBB145_12:                             ;   in Loop: Header=BB145_10 Depth=1
	s_or_b64 exec, exec, s[22:23]
	s_and_saveexec_b64 s[2:3], s[6:7]
	s_cbranch_execz .LBB145_14
; %bb.13:                               ;   in Loop: Header=BB145_10 Depth=1
	v_mov_b32_e32 v34, v37
	s_waitcnt lgkmcnt(1)
	v_mov_b32_e32 v16, v20
	s_waitcnt lgkmcnt(0)
	v_mov_b32_e32 v35, v36
	v_pk_mov_b32 v[18:19], v[20:21], v[20:21] op_sel:[0,1]
.LBB145_14:                             ;   in Loop: Header=BB145_10 Depth=1
	s_or_b64 exec, exec, s[2:3]
	s_waitcnt lgkmcnt(0)
	ds_bpermute_b32 v36, v24, v34
	ds_bpermute_b32 v20, v24, v16
	;; [unrolled: 1-line block ×3, first 2 shown]
	s_waitcnt lgkmcnt(2)
	v_cmp_lt_f32_e64 s[6:7], v34, v36
	v_cmp_nlt_f32_e64 s[2:3], v34, v36
	s_and_saveexec_b64 s[22:23], s[2:3]
	s_cbranch_execz .LBB145_16
; %bb.15:                               ;   in Loop: Header=BB145_10 Depth=1
	v_cmp_eq_f32_e64 s[2:3], v34, v36
	s_waitcnt lgkmcnt(0)
	v_cmp_lt_i32_e64 s[4:5], v19, v35
	s_and_b64 s[2:3], s[2:3], s[4:5]
	s_andn2_b64 s[4:5], s[6:7], exec
	s_and_b64 s[2:3], s[2:3], exec
	s_or_b64 s[6:7], s[4:5], s[2:3]
.LBB145_16:                             ;   in Loop: Header=BB145_10 Depth=1
	s_or_b64 exec, exec, s[22:23]
	s_and_saveexec_b64 s[2:3], s[6:7]
	s_cbranch_execz .LBB145_18
; %bb.17:                               ;   in Loop: Header=BB145_10 Depth=1
	v_mov_b32_e32 v34, v36
	s_waitcnt lgkmcnt(1)
	v_mov_b32_e32 v16, v20
	s_waitcnt lgkmcnt(0)
	v_mov_b32_e32 v35, v19
	v_pk_mov_b32 v[18:19], v[20:21], v[20:21] op_sel:[0,1]
.LBB145_18:                             ;   in Loop: Header=BB145_10 Depth=1
	s_or_b64 exec, exec, s[2:3]
	ds_bpermute_b32 v36, v25, v34
	s_waitcnt lgkmcnt(2)
	ds_bpermute_b32 v20, v25, v16
	s_waitcnt lgkmcnt(2)
	;; [unrolled: 2-line block ×3, first 2 shown]
	v_cmp_lt_f32_e64 s[6:7], v34, v36
	v_cmp_nlt_f32_e64 s[2:3], v34, v36
	s_and_saveexec_b64 s[22:23], s[2:3]
	s_cbranch_execz .LBB145_20
; %bb.19:                               ;   in Loop: Header=BB145_10 Depth=1
	v_cmp_eq_f32_e64 s[2:3], v34, v36
	s_waitcnt lgkmcnt(0)
	v_cmp_lt_i32_e64 s[4:5], v19, v35
	s_and_b64 s[2:3], s[2:3], s[4:5]
	s_andn2_b64 s[4:5], s[6:7], exec
	s_and_b64 s[2:3], s[2:3], exec
	s_or_b64 s[6:7], s[4:5], s[2:3]
.LBB145_20:                             ;   in Loop: Header=BB145_10 Depth=1
	s_or_b64 exec, exec, s[22:23]
	s_and_saveexec_b64 s[2:3], s[6:7]
	s_cbranch_execz .LBB145_22
; %bb.21:                               ;   in Loop: Header=BB145_10 Depth=1
	v_mov_b32_e32 v34, v36
	s_waitcnt lgkmcnt(1)
	v_mov_b32_e32 v16, v20
	s_waitcnt lgkmcnt(0)
	v_mov_b32_e32 v35, v19
	v_pk_mov_b32 v[18:19], v[20:21], v[20:21] op_sel:[0,1]
.LBB145_22:                             ;   in Loop: Header=BB145_10 Depth=1
	s_or_b64 exec, exec, s[2:3]
	ds_bpermute_b32 v36, v26, v34
	s_waitcnt lgkmcnt(2)
	ds_bpermute_b32 v20, v26, v16
	s_waitcnt lgkmcnt(2)
	;; [unrolled: 2-line block ×3, first 2 shown]
	v_cmp_lt_f32_e64 s[6:7], v34, v36
	v_cmp_nlt_f32_e64 s[2:3], v34, v36
	s_and_saveexec_b64 s[22:23], s[2:3]
	s_cbranch_execz .LBB145_24
; %bb.23:                               ;   in Loop: Header=BB145_10 Depth=1
	v_cmp_eq_f32_e64 s[2:3], v34, v36
	s_waitcnt lgkmcnt(0)
	v_cmp_lt_i32_e64 s[4:5], v19, v35
	s_and_b64 s[2:3], s[2:3], s[4:5]
	s_andn2_b64 s[4:5], s[6:7], exec
	s_and_b64 s[2:3], s[2:3], exec
	s_or_b64 s[6:7], s[4:5], s[2:3]
.LBB145_24:                             ;   in Loop: Header=BB145_10 Depth=1
	s_or_b64 exec, exec, s[22:23]
	s_and_saveexec_b64 s[2:3], s[6:7]
	s_cbranch_execz .LBB145_26
; %bb.25:                               ;   in Loop: Header=BB145_10 Depth=1
	v_mov_b32_e32 v34, v36
	s_waitcnt lgkmcnt(1)
	v_mov_b32_e32 v16, v20
	s_waitcnt lgkmcnt(0)
	v_mov_b32_e32 v35, v19
	v_pk_mov_b32 v[18:19], v[20:21], v[20:21] op_sel:[0,1]
.LBB145_26:                             ;   in Loop: Header=BB145_10 Depth=1
	s_or_b64 exec, exec, s[2:3]
	s_waitcnt lgkmcnt(1)
	ds_bpermute_b32 v20, v27, v34
	ds_bpermute_b32 v36, v27, v35
	s_waitcnt lgkmcnt(2)
	ds_bpermute_b32 v19, v27, v16
	s_waitcnt lgkmcnt(2)
	v_cmp_eq_f32_e64 s[4:5], v34, v20
	s_waitcnt lgkmcnt(1)
	v_cmp_lt_i32_e64 s[6:7], v36, v35
	v_cmp_lt_f32_e64 s[2:3], v34, v20
	s_and_b64 s[4:5], s[4:5], s[6:7]
	s_or_b64 s[2:3], s[2:3], s[4:5]
	v_cndmask_b32_e64 v16, v35, v36, s[2:3]
	s_and_saveexec_b64 s[6:7], s[0:1]
	s_cbranch_execnz .LBB145_28
; %bb.27:                               ;   in Loop: Header=BB145_10 Depth=1
	s_or_b64 exec, exec, s[6:7]
	s_add_i32 s25, s25, 1
	s_cmp_ge_i32 s25, s8
	s_cbranch_scc1 .LBB145_9
	s_branch .LBB145_29
.LBB145_28:                             ;   in Loop: Header=BB145_10 Depth=1
	s_waitcnt lgkmcnt(0)
	v_cndmask_b32_e64 v20, v18, v19, s[2:3]
	v_add_u32_e32 v18, s25, v30
	v_ashrrev_i32_e32 v19, 31, v18
	v_cmp_le_i32_e64 s[2:3], s9, v16
	v_cmp_gt_i32_e64 s[4:5], s10, v16
	v_lshlrev_b64 v[18:19], 2, v[18:19]
	s_and_b64 s[4:5], s[2:3], s[4:5]
	v_mov_b32_e32 v35, s17
	v_add_co_u32_e64 v34, s[2:3], s16, v18
	v_addc_co_u32_e64 v35, s[2:3], v35, v19, s[2:3]
	global_store_dword v[34:35], v20, off
	v_subrev_u32_e32 v34, s9, v16
	s_and_b64 s[2:3], s[18:19], s[4:5]
	v_cndmask_b32_e64 v36, v31, v34, s[2:3]
	v_mov_b32_e32 v35, s13
	v_add_co_u32_e64 v34, s[2:3], s12, v18
	v_addc_co_u32_e64 v35, s[2:3], v35, v19, s[2:3]
	global_store_dword v[34:35], v36, off
	v_mov_b32_e32 v34, s15
	v_add_co_u32_e64 v18, s[2:3], s14, v18
	v_addc_co_u32_e64 v19, s[2:3], v34, v19, s[2:3]
	global_store_dword v[18:19], v33, off
	v_add_f32_e32 v18, v29, v20
	v_cndmask_b32_e32 v29, v29, v18, vcc
	s_or_b64 exec, exec, s[6:7]
	s_add_i32 s25, s25, 1
	s_cmp_ge_i32 s25, s8
	s_cbranch_scc1 .LBB145_9
.LBB145_29:                             ;   in Loop: Header=BB145_10 Depth=1
	s_waitcnt lgkmcnt(0)
	v_ashrrev_i32_e32 v19, 31, v16
	v_lshrrev_b32_e32 v18, 29, v19
	v_add_u32_e32 v20, v16, v18
	v_ashrrev_i32_e32 v18, 3, v20
	v_ashrrev_i32_e32 v20, 31, v20
	v_lshrrev_b32_e32 v20, 26, v20
	v_add_u32_e32 v20, v18, v20
	v_and_b32_e32 v20, 0xffffffc0, v20
	v_sub_u32_e32 v20, v18, v20
	v_cmp_eq_u32_e64 s[2:3], v21, v20
	s_and_saveexec_b64 s[4:5], s[2:3]
	s_cbranch_execz .LBB145_8
; %bb.30:                               ;   in Loop: Header=BB145_10 Depth=1
	v_lshrrev_b32_e32 v19, 23, v19
	v_add_u32_e32 v19, v16, v19
	v_lshlrev_b32_e32 v18, 3, v18
	v_ashrrev_i32_e32 v19, 9, v19
	v_sub_u32_e32 v16, v16, v18
	v_lshl_add_u32 v16, v19, 3, v16
	v_cmp_ne_u32_e64 s[2:3], 7, v16
	v_cndmask_b32_e64 v15, v32, v15, s[2:3]
	v_cmp_ne_u32_e64 s[2:3], 6, v16
	v_cndmask_b32_e64 v14, v32, v14, s[2:3]
	;; [unrolled: 2-line block ×8, first 2 shown]
	s_branch .LBB145_8
.LBB145_31:
                                        ; implicit-def: $vgpr8_vgpr9_vgpr10_vgpr11_vgpr12_vgpr13_vgpr14_vgpr15
	s_andn2_b64 vcc, exec, s[6:7]
	s_cbranch_vccz .LBB145_5
	s_branch .LBB145_6
.LBB145_32:
	v_mov_b32_e32 v29, 0
.LBB145_33:
	v_cmp_eq_u32_e64 s[0:1], 0, v21
	s_and_b64 s[0:1], s[0:1], vcc
	s_and_b64 exec, exec, s[0:1]
	s_cbranch_execz .LBB145_42
; %bb.34:
	s_andn2_b64 vcc, exec, s[20:21]
	s_cbranch_vccnz .LBB145_42
; %bb.35:
	v_cmp_lt_f32_e32 vcc, 0, v29
	s_mov_b32 s2, 0
	v_cndmask_b32_e32 v0, 1.0, v29, vcc
	v_mul_lo_u32 v4, v17, s8
	s_cmp_eq_u32 s8, 1
	s_mov_b64 s[0:1], -1
	s_cbranch_scc1 .LBB145_39
; %bb.36:
	s_and_b32 s2, s8, 0x7ffffffe
	v_mov_b32_e32 v1, v0
	v_mov_b32_e32 v5, s17
	s_mov_b32 s3, s2
	v_mov_b32_e32 v2, v4
.LBB145_37:                             ; =>This Inner Loop Header: Depth=1
	v_ashrrev_i32_e32 v3, 31, v2
	v_lshlrev_b64 v[6:7], 2, v[2:3]
	v_add_co_u32_e32 v6, vcc, s16, v6
	v_addc_co_u32_e32 v7, vcc, v5, v7, vcc
	global_load_dwordx2 v[8:9], v[6:7], off
	s_add_i32 s3, s3, -2
	s_cmp_lg_u32 s3, 0
	v_add_u32_e32 v2, 2, v2
	s_waitcnt vmcnt(0)
	v_div_scale_f32 v3, s[0:1], v1, v1, v9
	v_div_scale_f32 v11, s[0:1], v0, v0, v8
	v_rcp_f32_e32 v12, v3
	v_rcp_f32_e32 v13, v11
	v_div_scale_f32 v10, vcc, v9, v1, v9
	v_fma_f32 v15, -v3, v12, 1.0
	v_fma_f32 v16, -v11, v13, 1.0
	v_fmac_f32_e32 v12, v15, v12
	v_div_scale_f32 v14, s[0:1], v8, v0, v8
	v_fmac_f32_e32 v13, v16, v13
	v_mul_f32_e32 v15, v10, v12
	v_mul_f32_e32 v16, v14, v13
	v_fma_f32 v17, -v3, v15, v10
	v_fma_f32 v18, -v11, v16, v14
	v_fmac_f32_e32 v15, v17, v12
	v_fmac_f32_e32 v16, v18, v13
	v_fma_f32 v3, -v3, v15, v10
	v_fma_f32 v10, -v11, v16, v14
	v_div_fmas_f32 v3, v3, v12, v15
	s_mov_b64 vcc, s[0:1]
	v_div_fixup_f32 v9, v3, v1, v9
	v_div_fmas_f32 v3, v10, v13, v16
	v_div_fixup_f32 v8, v3, v0, v8
	global_store_dwordx2 v[6:7], v[8:9], off
	s_cbranch_scc1 .LBB145_37
; %bb.38:
	s_cmp_lg_u32 s2, s8
	s_cselect_b64 s[0:1], -1, 0
.LBB145_39:
	s_and_b64 vcc, exec, s[0:1]
	s_cbranch_vccz .LBB145_42
; %bb.40:
	v_ashrrev_i32_e32 v1, 31, v4
	v_add_co_u32_e32 v2, vcc, s2, v4
	v_addc_co_u32_e32 v3, vcc, 0, v1, vcc
	v_lshlrev_b64 v[2:3], 2, v[2:3]
	v_mov_b32_e32 v1, s17
	v_add_co_u32_e32 v2, vcc, s16, v2
	s_sub_i32 s0, s8, s2
	v_addc_co_u32_e32 v3, vcc, v1, v3, vcc
.LBB145_41:                             ; =>This Inner Loop Header: Depth=1
	global_load_dword v1, v[2:3], off
	s_add_i32 s0, s0, -1
	s_cmp_lg_u32 s0, 0
	s_waitcnt vmcnt(0)
	v_div_scale_f32 v4, s[2:3], v0, v0, v1
	v_rcp_f32_e32 v5, v4
	v_div_scale_f32 v6, vcc, v1, v0, v1
	v_fma_f32 v7, -v4, v5, 1.0
	v_fmac_f32_e32 v5, v7, v5
	v_mul_f32_e32 v7, v6, v5
	v_fma_f32 v8, -v4, v7, v6
	v_fmac_f32_e32 v7, v8, v5
	v_fma_f32 v4, -v4, v7, v6
	v_div_fmas_f32 v4, v4, v5, v7
	v_div_fixup_f32 v1, v4, v0, v1
	global_store_dword v[2:3], v1, off
	v_add_co_u32_e32 v2, vcc, 4, v2
	v_addc_co_u32_e32 v3, vcc, 0, v3, vcc
	s_cbranch_scc1 .LBB145_41
.LBB145_42:
	s_endpgm
	.section	.rodata,"a",@progbits
	.p2align	6, 0x0
	.amdhsa_kernel _ZN4vllm3moe10topkGatingILi8ELi512ELi4ELi16ELi64Ei14__hip_bfloat16LNS0_11ScoringFuncE0EEEvPKT5_PKbPfiPT4_PiiiibPKf
		.amdhsa_group_segment_fixed_size 0
		.amdhsa_private_segment_fixed_size 0
		.amdhsa_kernarg_size 72
		.amdhsa_user_sgpr_count 6
		.amdhsa_user_sgpr_private_segment_buffer 1
		.amdhsa_user_sgpr_dispatch_ptr 0
		.amdhsa_user_sgpr_queue_ptr 0
		.amdhsa_user_sgpr_kernarg_segment_ptr 1
		.amdhsa_user_sgpr_dispatch_id 0
		.amdhsa_user_sgpr_flat_scratch_init 0
		.amdhsa_user_sgpr_kernarg_preload_length 0
		.amdhsa_user_sgpr_kernarg_preload_offset 0
		.amdhsa_user_sgpr_private_segment_size 0
		.amdhsa_uses_dynamic_stack 0
		.amdhsa_system_sgpr_private_segment_wavefront_offset 0
		.amdhsa_system_sgpr_workgroup_id_x 1
		.amdhsa_system_sgpr_workgroup_id_y 0
		.amdhsa_system_sgpr_workgroup_id_z 0
		.amdhsa_system_sgpr_workgroup_info 0
		.amdhsa_system_vgpr_workitem_id 1
		.amdhsa_next_free_vgpr 38
		.amdhsa_next_free_sgpr 26
		.amdhsa_accum_offset 40
		.amdhsa_reserve_vcc 1
		.amdhsa_reserve_flat_scratch 0
		.amdhsa_float_round_mode_32 0
		.amdhsa_float_round_mode_16_64 0
		.amdhsa_float_denorm_mode_32 3
		.amdhsa_float_denorm_mode_16_64 3
		.amdhsa_dx10_clamp 1
		.amdhsa_ieee_mode 1
		.amdhsa_fp16_overflow 0
		.amdhsa_tg_split 0
		.amdhsa_exception_fp_ieee_invalid_op 0
		.amdhsa_exception_fp_denorm_src 0
		.amdhsa_exception_fp_ieee_div_zero 0
		.amdhsa_exception_fp_ieee_overflow 0
		.amdhsa_exception_fp_ieee_underflow 0
		.amdhsa_exception_fp_ieee_inexact 0
		.amdhsa_exception_int_div_zero 0
	.end_amdhsa_kernel
	.section	.text._ZN4vllm3moe10topkGatingILi8ELi512ELi4ELi16ELi64Ei14__hip_bfloat16LNS0_11ScoringFuncE0EEEvPKT5_PKbPfiPT4_PiiiibPKf,"axG",@progbits,_ZN4vllm3moe10topkGatingILi8ELi512ELi4ELi16ELi64Ei14__hip_bfloat16LNS0_11ScoringFuncE0EEEvPKT5_PKbPfiPT4_PiiiibPKf,comdat
.Lfunc_end145:
	.size	_ZN4vllm3moe10topkGatingILi8ELi512ELi4ELi16ELi64Ei14__hip_bfloat16LNS0_11ScoringFuncE0EEEvPKT5_PKbPfiPT4_PiiiibPKf, .Lfunc_end145-_ZN4vllm3moe10topkGatingILi8ELi512ELi4ELi16ELi64Ei14__hip_bfloat16LNS0_11ScoringFuncE0EEEvPKT5_PKbPfiPT4_PiiiibPKf
                                        ; -- End function
	.section	.AMDGPU.csdata,"",@progbits
; Kernel info:
; codeLenInByte = 3532
; NumSgprs: 30
; NumVgprs: 38
; NumAgprs: 0
; TotalNumVgprs: 38
; ScratchSize: 0
; MemoryBound: 0
; FloatMode: 240
; IeeeMode: 1
; LDSByteSize: 0 bytes/workgroup (compile time only)
; SGPRBlocks: 3
; VGPRBlocks: 4
; NumSGPRsForWavesPerEU: 30
; NumVGPRsForWavesPerEU: 38
; AccumOffset: 40
; Occupancy: 8
; WaveLimiterHint : 0
; COMPUTE_PGM_RSRC2:SCRATCH_EN: 0
; COMPUTE_PGM_RSRC2:USER_SGPR: 6
; COMPUTE_PGM_RSRC2:TRAP_HANDLER: 0
; COMPUTE_PGM_RSRC2:TGID_X_EN: 1
; COMPUTE_PGM_RSRC2:TGID_Y_EN: 0
; COMPUTE_PGM_RSRC2:TGID_Z_EN: 0
; COMPUTE_PGM_RSRC2:TIDIG_COMP_CNT: 1
; COMPUTE_PGM_RSRC3_GFX90A:ACCUM_OFFSET: 9
; COMPUTE_PGM_RSRC3_GFX90A:TG_SPLIT: 0
	.section	.text._ZN4vllm3moe10topkGatingILi16ELi512ELi4ELi16ELi32Ei14__hip_bfloat16LNS0_11ScoringFuncE0EEEvPKT5_PKbPfiPT4_PiiiibPKf,"axG",@progbits,_ZN4vllm3moe10topkGatingILi16ELi512ELi4ELi16ELi32Ei14__hip_bfloat16LNS0_11ScoringFuncE0EEEvPKT5_PKbPfiPT4_PiiiibPKf,comdat
	.protected	_ZN4vllm3moe10topkGatingILi16ELi512ELi4ELi16ELi32Ei14__hip_bfloat16LNS0_11ScoringFuncE0EEEvPKT5_PKbPfiPT4_PiiiibPKf ; -- Begin function _ZN4vllm3moe10topkGatingILi16ELi512ELi4ELi16ELi32Ei14__hip_bfloat16LNS0_11ScoringFuncE0EEEvPKT5_PKbPfiPT4_PiiiibPKf
	.globl	_ZN4vllm3moe10topkGatingILi16ELi512ELi4ELi16ELi32Ei14__hip_bfloat16LNS0_11ScoringFuncE0EEEvPKT5_PKbPfiPT4_PiiiibPKf
	.p2align	8
	.type	_ZN4vllm3moe10topkGatingILi16ELi512ELi4ELi16ELi32Ei14__hip_bfloat16LNS0_11ScoringFuncE0EEEvPKT5_PKbPfiPT4_PiiiibPKf,@function
_ZN4vllm3moe10topkGatingILi16ELi512ELi4ELi16ELi32Ei14__hip_bfloat16LNS0_11ScoringFuncE0EEEvPKT5_PKbPfiPT4_PiiiibPKf: ; @_ZN4vllm3moe10topkGatingILi16ELi512ELi4ELi16ELi32Ei14__hip_bfloat16LNS0_11ScoringFuncE0EEEvPKT5_PKbPfiPT4_PiiiibPKf
; %bb.0:
	s_load_dword s24, s[4:5], 0x18
	v_and_b32_e32 v1, 0x3ff, v0
	s_lshl_b32 s0, s6, 2
	v_lshrrev_b32_e32 v2, 5, v1
	v_bfe_u32 v0, v0, 10, 10
	v_add3_u32 v33, s0, v0, v2
	s_waitcnt lgkmcnt(0)
	v_cmp_gt_i32_e32 vcc, s24, v33
	s_and_saveexec_b64 s[0:1], vcc
	s_cbranch_execz .LBB146_38
; %bb.1:
	s_load_dwordx4 s[0:3], s[4:5], 0x0
	s_load_dwordx2 s[16:17], s[4:5], 0x10
	s_mov_b64 s[6:7], -1
	s_mov_b64 s[18:19], -1
	s_waitcnt lgkmcnt(0)
	s_cmp_eq_u64 s[2:3], 0
	s_cbranch_scc1 .LBB146_3
; %bb.2:
	v_ashrrev_i32_e32 v0, 31, v33
	v_mov_b32_e32 v3, s3
	v_add_co_u32_e32 v2, vcc, s2, v33
	v_addc_co_u32_e32 v3, vcc, v3, v0, vcc
	global_load_ubyte v0, v[2:3], off
	s_waitcnt vmcnt(0)
	v_and_b32_e32 v0, 1, v0
	v_cmp_eq_u32_e32 vcc, 1, v0
	s_xor_b64 s[2:3], vcc, -1
	s_orn2_b64 s[18:19], s[2:3], exec
.LBB146_3:
	v_lshlrev_b32_e32 v2, 9, v33
	v_ashrrev_i32_e32 v3, 31, v2
	v_lshlrev_b64 v[2:3], 1, v[2:3]
	v_mov_b32_e32 v0, s1
	v_add_co_u32_e32 v2, vcc, s0, v2
	v_and_b32_e32 v37, 31, v1
	v_addc_co_u32_e32 v0, vcc, v0, v3, vcc
	v_lshlrev_b32_e32 v1, 4, v37
	v_add_co_u32_e32 v8, vcc, v2, v1
	v_addc_co_u32_e32 v9, vcc, 0, v0, vcc
	global_load_dwordx4 v[0:3], v[8:9], off
	global_load_dwordx4 v[4:7], v[8:9], off offset:512
	v_mbcnt_lo_u32_b32 v8, -1, 0
	v_mbcnt_hi_u32_b32 v14, -1, v8
	v_and_b32_e32 v8, 0x60, v14
	v_xor_b32_e32 v9, 16, v14
	v_add_u32_e32 v15, 32, v8
	v_cmp_lt_i32_e32 vcc, v9, v15
	v_cndmask_b32_e32 v8, v14, v9, vcc
	v_lshlrev_b32_e32 v38, 2, v8
	s_mov_b32 s2, 0x3fb8aa3b
	s_mov_b32 s0, 0xc2ce8ed0
	;; [unrolled: 1-line block ×3, first 2 shown]
	v_lshlrev_b32_e32 v43, 3, v37
	s_waitcnt vmcnt(1)
	v_lshlrev_b32_e32 v16, 16, v0
	v_and_b32_e32 v17, 0xffff0000, v0
	s_waitcnt vmcnt(0)
	v_and_b32_e32 v19, 0xffff0000, v4
	v_lshlrev_b32_e32 v9, 16, v2
	v_and_b32_e32 v10, 0xffff0000, v2
	v_lshlrev_b32_e32 v11, 16, v3
	v_lshlrev_b32_e32 v13, 16, v4
	v_and_b32_e32 v12, 0xffff0000, v3
	v_and_b32_e32 v3, 0xffff0000, v6
	v_lshlrev_b32_e32 v2, 16, v6
	v_max_f32_e32 v4, v17, v17
	v_max_f32_e32 v6, v16, v16
	v_lshlrev_b32_e32 v18, 16, v1
	v_and_b32_e32 v8, 0xffff0000, v1
	v_max_f32_e32 v4, v6, v4
	v_max3_f32 v4, v4, v18, v8
	v_max3_f32 v4, v4, v9, v10
	;; [unrolled: 1-line block ×3, first 2 shown]
	v_lshlrev_b32_e32 v20, 16, v5
	v_and_b32_e32 v5, 0xffff0000, v5
	v_max3_f32 v4, v4, v13, v19
	v_max3_f32 v4, v4, v20, v5
	v_and_b32_e32 v1, 0xffff0000, v7
	v_lshlrev_b32_e32 v0, 16, v7
	v_max3_f32 v4, v4, v2, v3
	v_max3_f32 v4, v4, v0, v1
	ds_bpermute_b32 v6, v38, v4
	v_xor_b32_e32 v7, 8, v14
	v_cmp_lt_i32_e32 vcc, v7, v15
	v_cndmask_b32_e32 v7, v14, v7, vcc
	v_lshlrev_b32_e32 v39, 2, v7
	s_waitcnt lgkmcnt(0)
	v_max_f32_e32 v6, v6, v6
	v_max_f32_e32 v4, v4, v6
	ds_bpermute_b32 v6, v39, v4
	v_xor_b32_e32 v7, 4, v14
	v_cmp_lt_i32_e32 vcc, v7, v15
	v_cndmask_b32_e32 v7, v14, v7, vcc
	v_lshlrev_b32_e32 v40, 2, v7
	s_waitcnt lgkmcnt(0)
	v_max_f32_e32 v6, v6, v6
	v_max_f32_e32 v4, v4, v6
	;; [unrolled: 8-line block ×4, first 2 shown]
	ds_bpermute_b32 v6, v42, v4
	v_mov_b32_e32 v14, 0x7f800000
	s_waitcnt lgkmcnt(0)
	v_max_f32_e32 v6, v6, v6
	v_max_f32_e32 v4, v4, v6
	v_sub_f32_e32 v15, v16, v4
	v_sub_f32_e32 v16, v17, v4
	v_pk_add_f32 v[6:7], v[8:9], v[4:5] op_sel_hi:[1,0] neg_lo:[0,1] neg_hi:[0,1]
	v_mul_f32_e32 v8, 0x3fb8aa3b, v15
	v_sub_f32_e32 v17, v18, v4
	v_mul_f32_e32 v9, 0x3fb8aa3b, v16
	v_fma_f32 v23, v15, s2, -v8
	v_rndne_f32_e32 v24, v8
	v_mul_f32_e32 v18, 0x3fb8aa3b, v17
	v_fma_f32 v25, v16, s2, -v9
	v_rndne_f32_e32 v26, v9
	v_fmac_f32_e32 v23, 0x32a5705f, v15
	v_sub_f32_e32 v8, v8, v24
	v_fma_f32 v27, v17, s2, -v18
	v_rndne_f32_e32 v28, v18
	v_fmac_f32_e32 v25, 0x32a5705f, v16
	v_sub_f32_e32 v9, v9, v26
	v_add_f32_e32 v8, v8, v23
	v_cvt_i32_f32_e32 v24, v24
	v_fmac_f32_e32 v27, 0x32a5705f, v17
	v_sub_f32_e32 v18, v18, v28
	v_add_f32_e32 v9, v9, v25
	v_exp_f32_e32 v8, v8
	v_cvt_i32_f32_e32 v26, v26
	v_add_f32_e32 v18, v18, v27
	v_exp_f32_e32 v9, v9
	v_cvt_i32_f32_e32 v28, v28
	v_exp_f32_e32 v18, v18
	v_ldexp_f32 v8, v8, v24
	v_cmp_ngt_f32_e32 vcc, s0, v15
	v_ldexp_f32 v9, v9, v26
	v_cndmask_b32_e32 v8, 0, v8, vcc
	v_cmp_ngt_f32_e32 vcc, s0, v16
	v_mul_f32_e32 v21, 0x3fb8aa3b, v7
	v_ldexp_f32 v18, v18, v28
	v_cndmask_b32_e32 v9, 0, v9, vcc
	v_cmp_ngt_f32_e32 vcc, s0, v17
	v_fma_f32 v29, v7, s2, -v21
	v_rndne_f32_e32 v30, v21
	v_cndmask_b32_e32 v18, 0, v18, vcc
	v_cmp_nlt_f32_e32 vcc, s1, v15
	v_mul_f32_e32 v22, 0x3fb8aa3b, v6
	v_fmac_f32_e32 v29, 0x32a5705f, v7
	v_sub_f32_e32 v21, v21, v30
	v_cndmask_b32_e32 v15, v14, v8, vcc
	v_cmp_nlt_f32_e32 vcc, s1, v16
	v_fma_f32 v31, v6, s2, -v22
	v_rndne_f32_e32 v32, v22
	v_add_f32_e32 v21, v21, v29
	v_cndmask_b32_e32 v16, v14, v9, vcc
	v_cmp_nlt_f32_e32 vcc, s1, v17
	v_cvt_i32_f32_e32 v30, v30
	v_fmac_f32_e32 v31, 0x32a5705f, v6
	v_sub_f32_e32 v22, v22, v32
	v_exp_f32_e32 v21, v21
	v_cndmask_b32_e32 v17, v14, v18, vcc
	v_add_f32_e32 v8, v15, v16
	v_add_f32_e32 v18, v8, v17
	;; [unrolled: 1-line block ×3, first 2 shown]
	v_exp_f32_e32 v8, v8
	v_cvt_i32_f32_e32 v9, v32
	v_ldexp_f32 v21, v21, v30
	v_cmp_ngt_f32_e32 vcc, s0, v7
	v_cndmask_b32_e32 v21, 0, v21, vcc
	v_cmp_nlt_f32_e32 vcc, s1, v7
	v_cndmask_b32_e32 v7, v14, v21, vcc
	v_ldexp_f32 v8, v8, v9
	v_cmp_ngt_f32_e32 vcc, s0, v6
	v_cndmask_b32_e32 v21, 0, v8, vcc
	v_pk_add_f32 v[8:9], v[10:11], v[4:5] op_sel_hi:[1,0] neg_lo:[0,1] neg_hi:[0,1]
	v_mul_f32_e32 v10, 0x3fb8aa3b, v9
	v_fma_f32 v11, v9, s2, -v10
	v_rndne_f32_e32 v22, v10
	v_fmac_f32_e32 v11, 0x32a5705f, v9
	v_sub_f32_e32 v10, v10, v22
	v_add_f32_e32 v10, v10, v11
	v_exp_f32_e32 v10, v10
	v_cvt_i32_f32_e32 v11, v22
	v_cmp_nlt_f32_e32 vcc, s1, v6
	v_cndmask_b32_e32 v6, v14, v21, vcc
	v_cmp_ngt_f32_e32 vcc, s0, v9
	v_ldexp_f32 v10, v10, v11
	v_mul_f32_e32 v11, 0x3fb8aa3b, v8
	v_fma_f32 v21, v8, s2, -v11
	v_rndne_f32_e32 v22, v11
	v_fmac_f32_e32 v21, 0x32a5705f, v8
	v_sub_f32_e32 v11, v11, v22
	v_add_f32_e32 v11, v11, v21
	v_exp_f32_e32 v11, v11
	v_cvt_i32_f32_e32 v21, v22
	v_cndmask_b32_e32 v10, 0, v10, vcc
	v_cmp_nlt_f32_e32 vcc, s1, v9
	v_cndmask_b32_e32 v9, v14, v10, vcc
	v_ldexp_f32 v10, v11, v21
	v_cmp_ngt_f32_e32 vcc, s0, v8
	v_cndmask_b32_e32 v21, 0, v10, vcc
	v_pk_add_f32 v[10:11], v[12:13], v[4:5] op_sel_hi:[1,0] neg_lo:[0,1] neg_hi:[0,1]
	v_mul_f32_e32 v12, 0x3fb8aa3b, v11
	v_fma_f32 v13, v11, s2, -v12
	v_rndne_f32_e32 v22, v12
	v_fmac_f32_e32 v13, 0x32a5705f, v11
	v_sub_f32_e32 v12, v12, v22
	v_add_f32_e32 v12, v12, v13
	v_exp_f32_e32 v12, v12
	v_cvt_i32_f32_e32 v13, v22
	v_cmp_nlt_f32_e32 vcc, s1, v8
	v_cndmask_b32_e32 v8, v14, v21, vcc
	v_cmp_ngt_f32_e32 vcc, s0, v11
	v_ldexp_f32 v12, v12, v13
	v_mul_f32_e32 v13, 0x3fb8aa3b, v10
	v_fma_f32 v21, v10, s2, -v13
	v_rndne_f32_e32 v22, v13
	v_fmac_f32_e32 v21, 0x32a5705f, v10
	v_sub_f32_e32 v13, v13, v22
	v_add_f32_e32 v13, v13, v21
	v_exp_f32_e32 v13, v13
	v_cvt_i32_f32_e32 v21, v22
	v_cndmask_b32_e32 v12, 0, v12, vcc
	v_cmp_nlt_f32_e32 vcc, s1, v11
	v_cndmask_b32_e32 v11, v14, v12, vcc
	v_ldexp_f32 v12, v13, v21
	v_sub_f32_e32 v13, v19, v4
	v_mul_f32_e32 v19, 0x3fb8aa3b, v13
	v_fma_f32 v21, v13, s2, -v19
	v_rndne_f32_e32 v22, v19
	v_fmac_f32_e32 v21, 0x32a5705f, v13
	v_sub_f32_e32 v19, v19, v22
	v_add_f32_e32 v19, v19, v21
	v_add_f32_e32 v18, v18, v6
	v_exp_f32_e32 v19, v19
	v_cvt_i32_f32_e32 v21, v22
	v_add_f32_e32 v18, v18, v7
	v_cmp_ngt_f32_e32 vcc, s0, v10
	v_add_f32_e32 v18, v18, v8
	v_cndmask_b32_e32 v12, 0, v12, vcc
	v_cmp_nlt_f32_e32 vcc, s1, v10
	v_add_f32_e32 v18, v18, v9
	v_cndmask_b32_e32 v10, v14, v12, vcc
	v_add_f32_e32 v12, v18, v10
	v_ldexp_f32 v18, v19, v21
	v_sub_f32_e32 v19, v20, v4
	v_mul_f32_e32 v20, 0x3fb8aa3b, v19
	v_fma_f32 v21, v19, s2, -v20
	v_rndne_f32_e32 v22, v20
	v_fmac_f32_e32 v21, 0x32a5705f, v19
	v_sub_f32_e32 v20, v20, v22
	v_add_f32_e32 v20, v20, v21
	v_exp_f32_e32 v20, v20
	v_cvt_i32_f32_e32 v21, v22
	v_cmp_ngt_f32_e32 vcc, s0, v13
	v_cndmask_b32_e32 v18, 0, v18, vcc
	v_cmp_nlt_f32_e32 vcc, s1, v13
	v_sub_f32_e32 v5, v5, v4
	v_cndmask_b32_e32 v13, v14, v18, vcc
	v_ldexp_f32 v18, v20, v21
	v_mul_f32_e32 v20, 0x3fb8aa3b, v5
	v_fma_f32 v21, v5, s2, -v20
	v_rndne_f32_e32 v22, v20
	v_fmac_f32_e32 v21, 0x32a5705f, v5
	v_sub_f32_e32 v20, v20, v22
	v_add_f32_e32 v20, v20, v21
	v_exp_f32_e32 v20, v20
	v_cvt_i32_f32_e32 v21, v22
	v_cmp_ngt_f32_e32 vcc, s0, v19
	v_pk_add_f32 v[2:3], v[2:3], v[4:5] op_sel_hi:[1,0] neg_lo:[0,1] neg_hi:[0,1]
	v_cndmask_b32_e32 v18, 0, v18, vcc
	v_cmp_nlt_f32_e32 vcc, s1, v19
	v_ldexp_f32 v19, v20, v21
	v_mul_f32_e32 v20, 0x3fb8aa3b, v3
	v_fma_f32 v21, v3, s2, -v20
	v_rndne_f32_e32 v22, v20
	v_fmac_f32_e32 v21, 0x32a5705f, v3
	v_sub_f32_e32 v20, v20, v22
	v_add_f32_e32 v20, v20, v21
	v_exp_f32_e32 v20, v20
	v_cvt_i32_f32_e32 v21, v22
	v_cndmask_b32_e32 v18, v14, v18, vcc
	v_cmp_ngt_f32_e32 vcc, s0, v5
	v_cndmask_b32_e32 v19, 0, v19, vcc
	v_cmp_nlt_f32_e32 vcc, s1, v5
	v_cndmask_b32_e32 v5, v14, v19, vcc
	v_ldexp_f32 v19, v20, v21
	v_mul_f32_e32 v20, 0x3fb8aa3b, v2
	v_fma_f32 v21, v2, s2, -v20
	v_rndne_f32_e32 v22, v20
	v_fmac_f32_e32 v21, 0x32a5705f, v2
	v_sub_f32_e32 v20, v20, v22
	v_add_f32_e32 v20, v20, v21
	v_exp_f32_e32 v20, v20
	v_cvt_i32_f32_e32 v21, v22
	v_cmp_ngt_f32_e32 vcc, s0, v3
	v_pk_add_f32 v[0:1], v[0:1], v[4:5] op_sel_hi:[1,0] neg_lo:[0,1] neg_hi:[0,1]
	v_cndmask_b32_e32 v19, 0, v19, vcc
	v_cmp_nlt_f32_e32 vcc, s1, v3
	v_mul_f32_e32 v4, 0x3fb8aa3b, v1
	v_cndmask_b32_e32 v3, v14, v19, vcc
	v_ldexp_f32 v19, v20, v21
	v_fma_f32 v20, v1, s2, -v4
	v_rndne_f32_e32 v21, v4
	v_fmac_f32_e32 v20, 0x32a5705f, v1
	v_sub_f32_e32 v4, v4, v21
	v_add_f32_e32 v4, v4, v20
	v_exp_f32_e32 v4, v4
	v_cvt_i32_f32_e32 v20, v21
	v_cmp_ngt_f32_e32 vcc, s0, v2
	v_cndmask_b32_e32 v19, 0, v19, vcc
	v_cmp_nlt_f32_e32 vcc, s1, v2
	v_cndmask_b32_e32 v2, v14, v19, vcc
	v_mul_f32_e32 v19, 0x3fb8aa3b, v0
	v_ldexp_f32 v4, v4, v20
	v_fma_f32 v20, v0, s2, -v19
	v_rndne_f32_e32 v21, v19
	v_fmac_f32_e32 v20, 0x32a5705f, v0
	v_sub_f32_e32 v19, v19, v21
	v_add_f32_e32 v19, v19, v20
	v_exp_f32_e32 v19, v19
	v_cvt_i32_f32_e32 v20, v21
	v_add_f32_e32 v12, v12, v11
	v_add_f32_e32 v12, v12, v13
	v_cmp_ngt_f32_e32 vcc, s0, v1
	v_add_f32_e32 v12, v12, v18
	v_cndmask_b32_e32 v4, 0, v4, vcc
	v_cmp_nlt_f32_e32 vcc, s1, v1
	v_add_f32_e32 v12, v12, v5
	v_cndmask_b32_e32 v1, v14, v4, vcc
	v_ldexp_f32 v4, v19, v20
	v_cmp_ngt_f32_e32 vcc, s0, v0
	v_add_f32_e32 v12, v12, v2
	v_cndmask_b32_e32 v4, 0, v4, vcc
	v_cmp_nlt_f32_e32 vcc, s1, v0
	v_add_f32_e32 v12, v12, v3
	v_cndmask_b32_e32 v0, v14, v4, vcc
	v_add_f32_e32 v4, v12, v0
	v_add_f32_e32 v4, v4, v1
	ds_bpermute_b32 v12, v38, v4
	s_movk_i32 s2, 0x1f8
	s_waitcnt lgkmcnt(0)
	v_add_f32_e32 v4, v4, v12
	ds_bpermute_b32 v12, v39, v4
	s_waitcnt lgkmcnt(0)
	v_add_f32_e32 v4, v4, v12
	ds_bpermute_b32 v12, v40, v4
	;; [unrolled: 3-line block ×4, first 2 shown]
	s_waitcnt lgkmcnt(0)
	v_add_f32_e32 v4, v4, v12
	v_div_scale_f32 v12, s[0:1], v4, v4, 1.0
	v_rcp_f32_e32 v14, v12
	s_load_dwordx2 s[0:1], s[4:5], 0x40
	v_fma_f32 v19, -v12, v14, 1.0
	v_fmac_f32_e32 v14, v19, v14
	v_div_scale_f32 v19, vcc, 1.0, v4, 1.0
	v_mul_f32_e32 v20, v19, v14
	v_fma_f32 v21, -v12, v20, v19
	v_fmac_f32_e32 v20, v21, v14
	v_fma_f32 v12, -v12, v20, v19
	v_div_fmas_f32 v12, v12, v14, v20
	v_div_fixup_f32 v4, v12, v4, 1.0
	v_mul_f32_e32 v19, v4, v15
	v_mul_f32_e32 v16, v4, v16
	v_cmp_class_f32_e64 vcc, v19, s2
	v_mul_f32_e32 v17, v4, v17
	v_pk_mul_f32 v[14:15], v[4:5], v[0:1] op_sel_hi:[0,1]
	v_cndmask_b32_e32 v0, 0, v19, vcc
	v_cmp_class_f32_e64 vcc, v16, s2
	v_pk_mul_f32 v[6:7], v[4:5], v[6:7] op_sel_hi:[0,1]
	v_cndmask_b32_e32 v1, 0, v16, vcc
	v_cmp_class_f32_e64 vcc, v17, s2
	v_mov_b32_e32 v16, 0x207
	v_mul_f32_e32 v20, v4, v13
	v_pk_mul_f32 v[12:13], v[4:5], v[2:3] op_sel_hi:[0,1]
	v_cndmask_b32_e32 v2, 0, v17, vcc
	v_cmp_class_f32_e32 vcc, v7, v16
	v_pk_mul_f32 v[8:9], v[4:5], v[8:9] op_sel_hi:[0,1]
	v_pk_mul_f32 v[10:11], v[4:5], v[10:11] op_sel_hi:[0,1]
	v_mul_f32_e32 v18, v4, v18
	v_mul_f32_e32 v21, v4, v5
	v_cndmask_b32_e64 v4, v7, 0, vcc
	v_cmp_class_f32_e32 vcc, v6, v16
	v_cndmask_b32_e64 v3, v6, 0, vcc
	v_cmp_class_f32_e32 vcc, v9, v16
	;; [unrolled: 2-line block ×5, first 2 shown]
	v_cndmask_b32_e64 v7, v10, 0, vcc
	v_cmp_class_f32_e64 vcc, v20, s2
	v_cndmask_b32_e32 v9, 0, v20, vcc
	v_cmp_class_f32_e64 vcc, v18, s2
	v_cndmask_b32_e32 v10, 0, v18, vcc
	;; [unrolled: 2-line block ×3, first 2 shown]
	v_cmp_class_f32_e32 vcc, v13, v16
	v_cndmask_b32_e64 v13, v13, 0, vcc
	v_cmp_class_f32_e32 vcc, v12, v16
	v_cndmask_b32_e64 v12, v12, 0, vcc
	;; [unrolled: 2-line block ×3, first 2 shown]
	v_cmp_class_f32_e32 vcc, v14, v16
	s_waitcnt lgkmcnt(0)
	s_cmp_eq_u64 s[0:1], 0
	v_cndmask_b32_e64 v14, v14, 0, vcc
	s_cbranch_scc1 .LBB146_27
; %bb.4:
	v_lshlrev_b32_e32 v32, 2, v43
	global_load_dwordx4 v[16:19], v32, s[0:1]
	global_load_dwordx4 v[20:23], v32, s[0:1] offset:16
	global_load_dwordx4 v[24:27], v32, s[0:1] offset:1024
	;; [unrolled: 1-line block ×3, first 2 shown]
	s_waitcnt vmcnt(3)
	v_pk_add_f32 v[16:17], v[16:17], v[0:1]
	v_pk_add_f32 v[18:19], v[18:19], v[2:3]
	s_waitcnt vmcnt(2)
	v_pk_add_f32 v[20:21], v[20:21], v[4:5]
	v_pk_add_f32 v[22:23], v[22:23], v[6:7]
	;; [unrolled: 3-line block ×4, first 2 shown]
	s_cbranch_execnz .LBB146_6
.LBB146_5:
	v_pk_mov_b32 v[30:31], v[14:15], v[14:15] op_sel:[0,1]
	v_pk_mov_b32 v[28:29], v[12:13], v[12:13] op_sel:[0,1]
	;; [unrolled: 1-line block ×8, first 2 shown]
.LBB146_6:
	s_load_dwordx4 s[8:11], s[4:5], 0x30
	s_mov_b32 s25, 0
	v_cmp_eq_u32_e64 s[0:1], 0, v37
	s_waitcnt lgkmcnt(0)
	s_bitcmp1_b32 s11, 0
	s_cselect_b64 vcc, -1, 0
	s_cmp_gt_i32 s8, 0
	s_cselect_b64 s[20:21], -1, 0
	s_cmp_lt_i32 s8, 1
	s_cbranch_scc1 .LBB146_28
; %bb.7:
	s_load_dwordx4 s[12:15], s[4:5], 0x20
	v_mul_lo_u32 v45, v33, s8
	v_mov_b32_e32 v44, 0
	v_mov_b32_e32 v46, 0x100
	;; [unrolled: 1-line block ×3, first 2 shown]
	v_bfrev_b32_e32 v48, 4.0
	v_bfrev_b32_e32 v49, -4.0
	v_mov_b32_e32 v50, 0x104
	v_mov_b32_e32 v51, 0x105
	;; [unrolled: 1-line block ×7, first 2 shown]
	s_branch .LBB146_10
.LBB146_8:                              ;   in Loop: Header=BB146_10 Depth=1
	s_or_b64 exec, exec, s[4:5]
.LBB146_9:                              ;   in Loop: Header=BB146_10 Depth=1
	s_cmp_eq_u32 s8, s25
	v_add_u32_e32 v56, s24, v56
	s_cbranch_scc1 .LBB146_29
.LBB146_10:                             ; =>This Inner Loop Header: Depth=1
	v_cmp_gt_f32_e64 s[2:3], v17, v16
	v_cndmask_b32_e64 v32, v16, v17, s[2:3]
	v_cndmask_b32_e64 v34, v0, v1, s[2:3]
	s_waitcnt lgkmcnt(0)
	v_cndmask_b32_e64 v35, 0, 1, s[2:3]
	v_cmp_gt_f32_e64 s[2:3], v18, v32
	v_cndmask_b32_e64 v32, v32, v18, s[2:3]
	v_cndmask_b32_e64 v34, v34, v2, s[2:3]
	v_cndmask_b32_e64 v35, v35, 2, s[2:3]
	v_cmp_gt_f32_e64 s[2:3], v19, v32
	v_cndmask_b32_e64 v32, v32, v19, s[2:3]
	v_cndmask_b32_e64 v34, v34, v3, s[2:3]
	;; [unrolled: 4-line block ×14, first 2 shown]
	v_or_b32_e32 v35, v43, v35
	ds_bpermute_b32 v36, v38, v32
	ds_bpermute_b32 v57, v38, v35
	v_cndmask_b32_e64 v34, v34, v15, s[2:3]
	ds_bpermute_b32 v59, v38, v34
	s_waitcnt lgkmcnt(0)
	v_cmp_eq_f32_e64 s[4:5], v32, v36
	v_cmp_lt_i32_e64 s[6:7], v57, v35
	v_cmp_lt_f32_e64 s[2:3], v32, v36
	s_and_b64 s[4:5], s[4:5], s[6:7]
	s_or_b64 s[2:3], s[2:3], s[4:5]
	v_cndmask_b32_e64 v58, v35, v57, s[2:3]
	v_cndmask_b32_e64 v57, v32, v36, s[2:3]
	v_cndmask_b32_e64 v32, v34, v59, s[2:3]
	ds_bpermute_b32 v60, v39, v57
	ds_bpermute_b32 v36, v39, v32
	;; [unrolled: 1-line block ×3, first 2 shown]
                                        ; implicit-def: $vgpr34_vgpr35
	s_waitcnt lgkmcnt(2)
	v_cmp_lt_f32_e64 s[6:7], v57, v60
	v_cmp_nlt_f32_e64 s[2:3], v57, v60
	s_and_saveexec_b64 s[22:23], s[2:3]
	s_cbranch_execz .LBB146_12
; %bb.11:                               ;   in Loop: Header=BB146_10 Depth=1
	v_cmp_eq_f32_e64 s[2:3], v57, v60
	s_waitcnt lgkmcnt(0)
	v_cmp_lt_i32_e64 s[4:5], v59, v58
	s_and_b64 s[2:3], s[2:3], s[4:5]
	s_andn2_b64 s[4:5], s[6:7], exec
	s_and_b64 s[2:3], s[2:3], exec
	s_or_b64 s[6:7], s[4:5], s[2:3]
	v_pk_mov_b32 v[34:35], v[32:33], v[32:33] op_sel:[0,1]
.LBB146_12:                             ;   in Loop: Header=BB146_10 Depth=1
	s_or_b64 exec, exec, s[22:23]
	s_and_saveexec_b64 s[2:3], s[6:7]
	s_cbranch_execz .LBB146_14
; %bb.13:                               ;   in Loop: Header=BB146_10 Depth=1
	v_mov_b32_e32 v57, v60
	s_waitcnt lgkmcnt(1)
	v_mov_b32_e32 v32, v36
	s_waitcnt lgkmcnt(0)
	v_mov_b32_e32 v58, v59
	v_pk_mov_b32 v[34:35], v[36:37], v[36:37] op_sel:[0,1]
.LBB146_14:                             ;   in Loop: Header=BB146_10 Depth=1
	s_or_b64 exec, exec, s[2:3]
	s_waitcnt lgkmcnt(0)
	ds_bpermute_b32 v59, v40, v57
	ds_bpermute_b32 v36, v40, v32
	;; [unrolled: 1-line block ×3, first 2 shown]
	s_waitcnt lgkmcnt(2)
	v_cmp_lt_f32_e64 s[6:7], v57, v59
	v_cmp_nlt_f32_e64 s[2:3], v57, v59
	s_and_saveexec_b64 s[22:23], s[2:3]
	s_cbranch_execz .LBB146_16
; %bb.15:                               ;   in Loop: Header=BB146_10 Depth=1
	v_cmp_eq_f32_e64 s[2:3], v57, v59
	s_waitcnt lgkmcnt(0)
	v_cmp_lt_i32_e64 s[4:5], v35, v58
	s_and_b64 s[2:3], s[2:3], s[4:5]
	s_andn2_b64 s[4:5], s[6:7], exec
	s_and_b64 s[2:3], s[2:3], exec
	s_or_b64 s[6:7], s[4:5], s[2:3]
.LBB146_16:                             ;   in Loop: Header=BB146_10 Depth=1
	s_or_b64 exec, exec, s[22:23]
	s_and_saveexec_b64 s[2:3], s[6:7]
	s_cbranch_execz .LBB146_18
; %bb.17:                               ;   in Loop: Header=BB146_10 Depth=1
	v_mov_b32_e32 v57, v59
	s_waitcnt lgkmcnt(1)
	v_mov_b32_e32 v32, v36
	s_waitcnt lgkmcnt(0)
	v_mov_b32_e32 v58, v35
	v_pk_mov_b32 v[34:35], v[36:37], v[36:37] op_sel:[0,1]
.LBB146_18:                             ;   in Loop: Header=BB146_10 Depth=1
	s_or_b64 exec, exec, s[2:3]
	ds_bpermute_b32 v59, v41, v57
	s_waitcnt lgkmcnt(2)
	ds_bpermute_b32 v36, v41, v32
	s_waitcnt lgkmcnt(2)
	;; [unrolled: 2-line block ×3, first 2 shown]
	v_cmp_lt_f32_e64 s[6:7], v57, v59
	v_cmp_nlt_f32_e64 s[2:3], v57, v59
	s_and_saveexec_b64 s[22:23], s[2:3]
	s_cbranch_execz .LBB146_20
; %bb.19:                               ;   in Loop: Header=BB146_10 Depth=1
	v_cmp_eq_f32_e64 s[2:3], v57, v59
	s_waitcnt lgkmcnt(0)
	v_cmp_lt_i32_e64 s[4:5], v35, v58
	s_and_b64 s[2:3], s[2:3], s[4:5]
	s_andn2_b64 s[4:5], s[6:7], exec
	s_and_b64 s[2:3], s[2:3], exec
	s_or_b64 s[6:7], s[4:5], s[2:3]
.LBB146_20:                             ;   in Loop: Header=BB146_10 Depth=1
	s_or_b64 exec, exec, s[22:23]
	s_and_saveexec_b64 s[2:3], s[6:7]
	s_cbranch_execz .LBB146_22
; %bb.21:                               ;   in Loop: Header=BB146_10 Depth=1
	v_mov_b32_e32 v57, v59
	s_waitcnt lgkmcnt(1)
	v_mov_b32_e32 v32, v36
	s_waitcnt lgkmcnt(0)
	v_mov_b32_e32 v58, v35
	v_pk_mov_b32 v[34:35], v[36:37], v[36:37] op_sel:[0,1]
.LBB146_22:                             ;   in Loop: Header=BB146_10 Depth=1
	s_or_b64 exec, exec, s[2:3]
	s_waitcnt lgkmcnt(1)
	ds_bpermute_b32 v36, v42, v57
	ds_bpermute_b32 v59, v42, v58
	s_waitcnt lgkmcnt(2)
	ds_bpermute_b32 v35, v42, v32
	s_waitcnt lgkmcnt(2)
	v_cmp_eq_f32_e64 s[4:5], v57, v36
	s_waitcnt lgkmcnt(1)
	v_cmp_lt_i32_e64 s[6:7], v59, v58
	v_cmp_lt_f32_e64 s[2:3], v57, v36
	s_and_b64 s[4:5], s[4:5], s[6:7]
	s_or_b64 s[2:3], s[2:3], s[4:5]
	v_cndmask_b32_e64 v32, v58, v59, s[2:3]
	s_and_saveexec_b64 s[6:7], s[0:1]
	s_cbranch_execnz .LBB146_24
; %bb.23:                               ;   in Loop: Header=BB146_10 Depth=1
	s_or_b64 exec, exec, s[6:7]
	s_add_i32 s25, s25, 1
	s_cmp_ge_i32 s25, s8
	s_cbranch_scc1 .LBB146_9
	s_branch .LBB146_25
.LBB146_24:                             ;   in Loop: Header=BB146_10 Depth=1
	s_waitcnt lgkmcnt(0)
	v_cndmask_b32_e64 v36, v34, v35, s[2:3]
	v_add_u32_e32 v34, s25, v45
	v_ashrrev_i32_e32 v35, 31, v34
	v_cmp_le_i32_e64 s[2:3], s9, v32
	v_cmp_gt_i32_e64 s[4:5], s10, v32
	v_lshlrev_b64 v[34:35], 2, v[34:35]
	s_and_b64 s[4:5], s[2:3], s[4:5]
	v_mov_b32_e32 v57, s17
	v_add_co_u32_e64 v58, s[2:3], s16, v34
	v_addc_co_u32_e64 v59, s[2:3], v57, v35, s[2:3]
	v_subrev_u32_e32 v57, s9, v32
	s_and_b64 s[2:3], s[18:19], s[4:5]
	global_store_dword v[58:59], v36, off
	v_cndmask_b32_e64 v57, v54, v57, s[2:3]
	v_mov_b32_e32 v59, s13
	v_add_co_u32_e64 v58, s[2:3], s12, v34
	v_addc_co_u32_e64 v59, s[2:3], v59, v35, s[2:3]
	global_store_dword v[58:59], v57, off
	v_mov_b32_e32 v57, s15
	v_add_co_u32_e64 v34, s[2:3], s14, v34
	v_addc_co_u32_e64 v35, s[2:3], v57, v35, s[2:3]
	global_store_dword v[34:35], v56, off
	v_add_f32_e32 v34, v44, v36
	v_cndmask_b32_e32 v44, v44, v34, vcc
	s_or_b64 exec, exec, s[6:7]
	s_add_i32 s25, s25, 1
	s_cmp_ge_i32 s25, s8
	s_cbranch_scc1 .LBB146_9
.LBB146_25:                             ;   in Loop: Header=BB146_10 Depth=1
	v_ashrrev_i32_e32 v34, 31, v32
	s_waitcnt lgkmcnt(0)
	v_lshrrev_b32_e32 v35, 29, v34
	v_add_u32_e32 v36, v32, v35
	v_ashrrev_i32_e32 v35, 3, v36
	v_ashrrev_i32_e32 v36, 31, v36
	v_lshrrev_b32_e32 v36, 27, v36
	v_add_u32_e32 v36, v35, v36
	v_and_b32_e32 v36, 0xffffffe0, v36
	v_sub_u32_e32 v36, v35, v36
	v_cmp_eq_u32_e64 s[2:3], v37, v36
	s_and_saveexec_b64 s[4:5], s[2:3]
	s_cbranch_execz .LBB146_8
; %bb.26:                               ;   in Loop: Header=BB146_10 Depth=1
	v_add_u32_sdwa v34, v32, v34 dst_sel:DWORD dst_unused:UNUSED_PAD src0_sel:DWORD src1_sel:BYTE_3
	v_lshlrev_b32_e32 v35, 3, v35
	v_ashrrev_i32_e32 v34, 8, v34
	v_sub_u32_e32 v32, v32, v35
	v_lshl_add_u32 v32, v34, 3, v32
	v_cmp_ne_u32_e64 s[2:3], 15, v32
	v_cndmask_b32_e64 v31, v55, v31, s[2:3]
	v_cmp_ne_u32_e64 s[2:3], 14, v32
	v_cndmask_b32_e64 v30, v55, v30, s[2:3]
	v_cmp_ne_u32_e64 s[2:3], 13, v32
	v_cndmask_b32_e64 v29, v55, v29, s[2:3]
	v_cmp_ne_u32_e64 s[2:3], 12, v32
	v_cndmask_b32_e64 v28, v55, v28, s[2:3]
	v_cmp_ne_u32_e64 s[2:3], 11, v32
	v_cndmask_b32_e64 v27, v55, v27, s[2:3]
	v_cmp_ne_u32_e64 s[2:3], 10, v32
	v_cndmask_b32_e64 v26, v55, v26, s[2:3]
	v_cmp_ne_u32_e64 s[2:3], 9, v32
	v_cndmask_b32_e64 v25, v55, v25, s[2:3]
	v_cmp_ne_u32_e64 s[2:3], 8, v32
	v_cndmask_b32_e64 v24, v55, v24, s[2:3]
	v_cmp_ne_u32_e64 s[2:3], 7, v32
	v_cndmask_b32_e64 v23, v55, v23, s[2:3]
	v_cmp_ne_u32_e64 s[2:3], 6, v32
	v_cndmask_b32_e64 v22, v55, v22, s[2:3]
	v_cmp_ne_u32_e64 s[2:3], 5, v32
	v_cndmask_b32_e64 v21, v55, v21, s[2:3]
	v_cmp_ne_u32_e64 s[2:3], 4, v32
	v_cndmask_b32_e64 v20, v55, v20, s[2:3]
	v_cmp_ne_u32_e64 s[2:3], 3, v32
	v_cndmask_b32_e64 v19, v55, v19, s[2:3]
	v_cmp_ne_u32_e64 s[2:3], 2, v32
	v_cndmask_b32_e64 v18, v55, v18, s[2:3]
	v_cmp_ne_u32_e64 s[2:3], 1, v32
	v_cndmask_b32_e64 v17, v55, v17, s[2:3]
	v_cmp_ne_u32_e64 s[2:3], 0, v32
	v_cndmask_b32_e64 v16, v55, v16, s[2:3]
	s_branch .LBB146_8
.LBB146_27:
                                        ; implicit-def: $vgpr16_vgpr17_vgpr18_vgpr19_vgpr20_vgpr21_vgpr22_vgpr23_vgpr24_vgpr25_vgpr26_vgpr27_vgpr28_vgpr29_vgpr30_vgpr31
	s_andn2_b64 vcc, exec, s[6:7]
	s_cbranch_vccz .LBB146_5
	s_branch .LBB146_6
.LBB146_28:
	v_mov_b32_e32 v44, 0
.LBB146_29:
	v_cmp_eq_u32_e64 s[0:1], 0, v37
	s_and_b64 s[0:1], s[0:1], vcc
	s_and_b64 exec, exec, s[0:1]
	s_cbranch_execz .LBB146_38
; %bb.30:
	s_andn2_b64 vcc, exec, s[20:21]
	s_cbranch_vccnz .LBB146_38
; %bb.31:
	v_cmp_lt_f32_e32 vcc, 0, v44
	s_mov_b32 s2, 0
	v_cndmask_b32_e32 v0, 1.0, v44, vcc
	v_mul_lo_u32 v4, v33, s8
	s_cmp_eq_u32 s8, 1
	s_mov_b64 s[0:1], -1
	s_cbranch_scc1 .LBB146_35
; %bb.32:
	s_and_b32 s2, s8, 0x7ffffffe
	v_mov_b32_e32 v1, v0
	v_mov_b32_e32 v5, s17
	s_mov_b32 s3, s2
	v_mov_b32_e32 v2, v4
.LBB146_33:                             ; =>This Inner Loop Header: Depth=1
	v_ashrrev_i32_e32 v3, 31, v2
	v_lshlrev_b64 v[6:7], 2, v[2:3]
	v_add_co_u32_e32 v6, vcc, s16, v6
	v_addc_co_u32_e32 v7, vcc, v5, v7, vcc
	global_load_dwordx2 v[8:9], v[6:7], off
	s_add_i32 s3, s3, -2
	s_cmp_lg_u32 s3, 0
	v_add_u32_e32 v2, 2, v2
	s_waitcnt vmcnt(0)
	v_div_scale_f32 v3, s[0:1], v1, v1, v9
	v_div_scale_f32 v11, s[0:1], v0, v0, v8
	v_rcp_f32_e32 v12, v3
	v_rcp_f32_e32 v13, v11
	v_div_scale_f32 v10, vcc, v9, v1, v9
	v_fma_f32 v15, -v3, v12, 1.0
	v_fma_f32 v16, -v11, v13, 1.0
	v_fmac_f32_e32 v12, v15, v12
	v_div_scale_f32 v14, s[0:1], v8, v0, v8
	v_fmac_f32_e32 v13, v16, v13
	v_mul_f32_e32 v15, v10, v12
	v_mul_f32_e32 v16, v14, v13
	v_fma_f32 v17, -v3, v15, v10
	v_fma_f32 v18, -v11, v16, v14
	v_fmac_f32_e32 v15, v17, v12
	v_fmac_f32_e32 v16, v18, v13
	v_fma_f32 v3, -v3, v15, v10
	v_fma_f32 v10, -v11, v16, v14
	v_div_fmas_f32 v3, v3, v12, v15
	s_mov_b64 vcc, s[0:1]
	v_div_fixup_f32 v9, v3, v1, v9
	v_div_fmas_f32 v3, v10, v13, v16
	v_div_fixup_f32 v8, v3, v0, v8
	global_store_dwordx2 v[6:7], v[8:9], off
	s_cbranch_scc1 .LBB146_33
; %bb.34:
	s_cmp_lg_u32 s2, s8
	s_cselect_b64 s[0:1], -1, 0
.LBB146_35:
	s_and_b64 vcc, exec, s[0:1]
	s_cbranch_vccz .LBB146_38
; %bb.36:
	v_ashrrev_i32_e32 v1, 31, v4
	v_add_co_u32_e32 v2, vcc, s2, v4
	v_addc_co_u32_e32 v3, vcc, 0, v1, vcc
	v_lshlrev_b64 v[2:3], 2, v[2:3]
	v_mov_b32_e32 v1, s17
	v_add_co_u32_e32 v2, vcc, s16, v2
	s_sub_i32 s0, s8, s2
	v_addc_co_u32_e32 v3, vcc, v1, v3, vcc
.LBB146_37:                             ; =>This Inner Loop Header: Depth=1
	global_load_dword v1, v[2:3], off
	s_add_i32 s0, s0, -1
	s_cmp_lg_u32 s0, 0
	s_waitcnt vmcnt(0)
	v_div_scale_f32 v4, s[2:3], v0, v0, v1
	v_rcp_f32_e32 v5, v4
	v_div_scale_f32 v6, vcc, v1, v0, v1
	v_fma_f32 v7, -v4, v5, 1.0
	v_fmac_f32_e32 v5, v7, v5
	v_mul_f32_e32 v7, v6, v5
	v_fma_f32 v8, -v4, v7, v6
	v_fmac_f32_e32 v7, v8, v5
	v_fma_f32 v4, -v4, v7, v6
	v_div_fmas_f32 v4, v4, v5, v7
	v_div_fixup_f32 v1, v4, v0, v1
	global_store_dword v[2:3], v1, off
	v_add_co_u32_e32 v2, vcc, 4, v2
	v_addc_co_u32_e32 v3, vcc, 0, v3, vcc
	s_cbranch_scc1 .LBB146_37
.LBB146_38:
	s_endpgm
	.section	.rodata,"a",@progbits
	.p2align	6, 0x0
	.amdhsa_kernel _ZN4vllm3moe10topkGatingILi16ELi512ELi4ELi16ELi32Ei14__hip_bfloat16LNS0_11ScoringFuncE0EEEvPKT5_PKbPfiPT4_PiiiibPKf
		.amdhsa_group_segment_fixed_size 0
		.amdhsa_private_segment_fixed_size 0
		.amdhsa_kernarg_size 72
		.amdhsa_user_sgpr_count 6
		.amdhsa_user_sgpr_private_segment_buffer 1
		.amdhsa_user_sgpr_dispatch_ptr 0
		.amdhsa_user_sgpr_queue_ptr 0
		.amdhsa_user_sgpr_kernarg_segment_ptr 1
		.amdhsa_user_sgpr_dispatch_id 0
		.amdhsa_user_sgpr_flat_scratch_init 0
		.amdhsa_user_sgpr_kernarg_preload_length 0
		.amdhsa_user_sgpr_kernarg_preload_offset 0
		.amdhsa_user_sgpr_private_segment_size 0
		.amdhsa_uses_dynamic_stack 0
		.amdhsa_system_sgpr_private_segment_wavefront_offset 0
		.amdhsa_system_sgpr_workgroup_id_x 1
		.amdhsa_system_sgpr_workgroup_id_y 0
		.amdhsa_system_sgpr_workgroup_id_z 0
		.amdhsa_system_sgpr_workgroup_info 0
		.amdhsa_system_vgpr_workitem_id 1
		.amdhsa_next_free_vgpr 61
		.amdhsa_next_free_sgpr 26
		.amdhsa_accum_offset 64
		.amdhsa_reserve_vcc 1
		.amdhsa_reserve_flat_scratch 0
		.amdhsa_float_round_mode_32 0
		.amdhsa_float_round_mode_16_64 0
		.amdhsa_float_denorm_mode_32 3
		.amdhsa_float_denorm_mode_16_64 3
		.amdhsa_dx10_clamp 1
		.amdhsa_ieee_mode 1
		.amdhsa_fp16_overflow 0
		.amdhsa_tg_split 0
		.amdhsa_exception_fp_ieee_invalid_op 0
		.amdhsa_exception_fp_denorm_src 0
		.amdhsa_exception_fp_ieee_div_zero 0
		.amdhsa_exception_fp_ieee_overflow 0
		.amdhsa_exception_fp_ieee_underflow 0
		.amdhsa_exception_fp_ieee_inexact 0
		.amdhsa_exception_int_div_zero 0
	.end_amdhsa_kernel
	.section	.text._ZN4vllm3moe10topkGatingILi16ELi512ELi4ELi16ELi32Ei14__hip_bfloat16LNS0_11ScoringFuncE0EEEvPKT5_PKbPfiPT4_PiiiibPKf,"axG",@progbits,_ZN4vllm3moe10topkGatingILi16ELi512ELi4ELi16ELi32Ei14__hip_bfloat16LNS0_11ScoringFuncE0EEEvPKT5_PKbPfiPT4_PiiiibPKf,comdat
.Lfunc_end146:
	.size	_ZN4vllm3moe10topkGatingILi16ELi512ELi4ELi16ELi32Ei14__hip_bfloat16LNS0_11ScoringFuncE0EEEvPKT5_PKbPfiPT4_PiiiibPKf, .Lfunc_end146-_ZN4vllm3moe10topkGatingILi16ELi512ELi4ELi16ELi32Ei14__hip_bfloat16LNS0_11ScoringFuncE0EEEvPKT5_PKbPfiPT4_PiiiibPKf
                                        ; -- End function
	.section	.AMDGPU.csdata,"",@progbits
; Kernel info:
; codeLenInByte = 4700
; NumSgprs: 30
; NumVgprs: 61
; NumAgprs: 0
; TotalNumVgprs: 61
; ScratchSize: 0
; MemoryBound: 0
; FloatMode: 240
; IeeeMode: 1
; LDSByteSize: 0 bytes/workgroup (compile time only)
; SGPRBlocks: 3
; VGPRBlocks: 7
; NumSGPRsForWavesPerEU: 30
; NumVGPRsForWavesPerEU: 61
; AccumOffset: 64
; Occupancy: 8
; WaveLimiterHint : 1
; COMPUTE_PGM_RSRC2:SCRATCH_EN: 0
; COMPUTE_PGM_RSRC2:USER_SGPR: 6
; COMPUTE_PGM_RSRC2:TRAP_HANDLER: 0
; COMPUTE_PGM_RSRC2:TGID_X_EN: 1
; COMPUTE_PGM_RSRC2:TGID_Y_EN: 0
; COMPUTE_PGM_RSRC2:TGID_Z_EN: 0
; COMPUTE_PGM_RSRC2:TIDIG_COMP_CNT: 1
; COMPUTE_PGM_RSRC3_GFX90A:ACCUM_OFFSET: 15
; COMPUTE_PGM_RSRC3_GFX90A:TG_SPLIT: 0
	.section	.text._ZN4vllm3moe10moeSoftmaxILi256E14__hip_bfloat16EEvPKT0_PKbPfi,"axG",@progbits,_ZN4vllm3moe10moeSoftmaxILi256E14__hip_bfloat16EEvPKT0_PKbPfi,comdat
	.protected	_ZN4vllm3moe10moeSoftmaxILi256E14__hip_bfloat16EEvPKT0_PKbPfi ; -- Begin function _ZN4vllm3moe10moeSoftmaxILi256E14__hip_bfloat16EEvPKT0_PKbPfi
	.globl	_ZN4vllm3moe10moeSoftmaxILi256E14__hip_bfloat16EEvPKT0_PKbPfi
	.p2align	8
	.type	_ZN4vllm3moe10moeSoftmaxILi256E14__hip_bfloat16EEvPKT0_PKbPfi,@function
_ZN4vllm3moe10moeSoftmaxILi256E14__hip_bfloat16EEvPKT0_PKbPfi: ; @_ZN4vllm3moe10moeSoftmaxILi256E14__hip_bfloat16EEvPKT0_PKbPfi
; %bb.0:
	s_load_dwordx4 s[8:11], s[4:5], 0x0
	s_waitcnt lgkmcnt(0)
	s_cmp_eq_u64 s[10:11], 0
	s_cselect_b64 s[0:1], -1, 0
	s_and_b64 vcc, exec, s[0:1]
	s_cbranch_vccnz .LBB147_2
; %bb.1:
	v_mov_b32_e32 v1, s6
	global_load_ubyte v1, v1, s[10:11]
	s_waitcnt vmcnt(0)
	v_and_b32_e32 v1, 1, v1
	v_cmp_eq_u32_e32 vcc, 1, v1
	s_xor_b64 s[0:1], vcc, -1
.LBB147_2:
	s_andn2_b64 vcc, exec, s[0:1]
	s_cbranch_vccnz .LBB147_31
; %bb.3:
	s_load_dword s16, s[4:5], 0x18
	s_load_dwordx2 s[10:11], s[4:5], 0x10
	v_mov_b32_e32 v6, 0xff7fffff
	s_waitcnt lgkmcnt(0)
	s_mul_i32 s17, s6, s16
	v_add_u32_e32 v2, s17, v0
	v_cmp_gt_i32_e64 s[0:1], s16, v0
	v_ashrrev_i32_e32 v3, 31, v2
	s_and_saveexec_b64 s[2:3], s[0:1]
	s_cbranch_execz .LBB147_7
; %bb.4:
	v_lshlrev_b64 v[4:5], 1, v[2:3]
	v_mov_b32_e32 v1, s9
	v_add_co_u32_e32 v4, vcc, s8, v4
	v_addc_co_u32_e32 v5, vcc, v1, v5, vcc
	s_mov_b64 s[4:5], 0
	v_mov_b32_e32 v6, 0xff7fffff
	v_mov_b32_e32 v1, v0
.LBB147_5:                              ; =>This Inner Loop Header: Depth=1
	global_load_ushort v7, v[4:5], off
	v_add_co_u32_e32 v4, vcc, 0x200, v4
	v_add_u32_e32 v1, 0x100, v1
	v_addc_co_u32_e32 v5, vcc, 0, v5, vcc
	v_max_f32_e32 v6, v6, v6
	v_cmp_le_i32_e32 vcc, s16, v1
	s_or_b64 s[4:5], vcc, s[4:5]
	s_waitcnt vmcnt(0)
	v_lshlrev_b32_e32 v7, 16, v7
	v_max_f32_e32 v7, v7, v7
	v_max_f32_e32 v6, v7, v6
	s_andn2_b64 exec, exec, s[4:5]
	s_cbranch_execnz .LBB147_5
; %bb.6:
	s_or_b64 exec, exec, s[4:5]
.LBB147_7:
	s_or_b64 exec, exec, s[2:3]
	v_mov_b32_dpp v4, v6 quad_perm:[1,0,3,2] row_mask:0xf bank_mask:0xf
	v_cmp_gt_f32_e32 vcc, v6, v4
	v_cndmask_b32_e32 v4, v4, v6, vcc
	v_mbcnt_lo_u32_b32 v1, -1, 0
	v_mbcnt_hi_u32_b32 v1, -1, v1
	v_mov_b32_dpp v5, v4 quad_perm:[2,3,0,1] row_mask:0xf bank_mask:0xf
	v_cmp_gt_f32_e32 vcc, v4, v5
	v_cndmask_b32_e32 v4, v5, v4, vcc
	v_cmp_eq_u32_e64 s[2:3], 0, v1
	s_nop 0
	v_mov_b32_dpp v5, v4 row_ror:4 row_mask:0xf bank_mask:0xf
	v_cmp_gt_f32_e32 vcc, v4, v5
	v_cndmask_b32_e32 v4, v5, v4, vcc
	s_nop 1
	v_mov_b32_dpp v5, v4 row_ror:8 row_mask:0xf bank_mask:0xf
	v_cmp_gt_f32_e32 vcc, v4, v5
	v_cndmask_b32_e32 v4, v5, v4, vcc
	s_nop 1
	v_mov_b32_dpp v5, v4 row_bcast:15 row_mask:0xf bank_mask:0xf
	v_cmp_gt_f32_e32 vcc, v4, v5
	v_cndmask_b32_e32 v4, v5, v4, vcc
	s_nop 1
	v_mov_b32_dpp v5, v4 row_bcast:31 row_mask:0xf bank_mask:0xf
	v_cmp_gt_f32_e32 vcc, v4, v5
	v_cndmask_b32_e32 v4, v5, v4, vcc
	v_bfrev_b32_e32 v5, 0.5
	v_lshl_or_b32 v6, v1, 2, v5
	ds_bpermute_b32 v7, v6, v4
	v_lshrrev_b32_e32 v5, 4, v0
	s_and_saveexec_b64 s[4:5], s[2:3]
	s_cbranch_execz .LBB147_9
; %bb.8:
	v_and_b32_e32 v4, 12, v5
	s_waitcnt lgkmcnt(0)
	ds_write_b32 v4, v7
.LBB147_9:
	s_or_b64 exec, exec, s[4:5]
	v_cmp_gt_u32_e64 s[4:5], 64, v0
	v_and_b32_e32 v4, 3, v1
	s_waitcnt lgkmcnt(0)
	s_barrier
	s_and_saveexec_b64 s[6:7], s[4:5]
	s_cbranch_execz .LBB147_11
; %bb.10:
	v_lshlrev_b32_e32 v7, 2, v4
	ds_read_b32 v7, v7
	v_cmp_ne_u32_e32 vcc, 3, v4
	v_addc_co_u32_e32 v8, vcc, 0, v1, vcc
	v_lshlrev_b32_e32 v8, 2, v8
	s_waitcnt lgkmcnt(0)
	ds_bpermute_b32 v8, v8, v7
	v_cmp_gt_u32_e32 vcc, 2, v4
	v_cndmask_b32_e64 v9, 0, 1, vcc
	v_lshlrev_b32_e32 v9, 1, v9
	s_waitcnt lgkmcnt(0)
	v_cmp_lt_f32_e32 vcc, v7, v8
	v_cndmask_b32_e32 v7, v7, v8, vcc
	v_add_lshl_u32 v8, v9, v1, 2
	ds_bpermute_b32 v8, v8, v7
	s_waitcnt lgkmcnt(0)
	v_cmp_lt_f32_e32 vcc, v7, v8
	v_cndmask_b32_e32 v7, v7, v8, vcc
.LBB147_11:
	s_or_b64 exec, exec, s[6:7]
	v_cmp_eq_u32_e64 s[6:7], 0, v0
	s_and_saveexec_b64 s[12:13], s[6:7]
	s_cbranch_execz .LBB147_13
; %bb.12:
	v_mov_b32_e32 v8, 0
	ds_write_b32 v8, v7 offset:20
.LBB147_13:
	s_or_b64 exec, exec, s[12:13]
	v_mov_b32_e32 v7, 0
	s_waitcnt lgkmcnt(0)
	s_barrier
	s_and_saveexec_b64 s[12:13], s[0:1]
	s_cbranch_execz .LBB147_17
; %bb.14:
	v_mov_b32_e32 v7, 0
	ds_read_b32 v8, v7 offset:20
	v_lshlrev_b64 v[2:3], 1, v[2:3]
	v_mov_b32_e32 v9, s9
	v_add_co_u32_e32 v2, vcc, s8, v2
	v_addc_co_u32_e32 v3, vcc, v9, v3, vcc
	s_mov_b64 s[14:15], 0
	s_mov_b32 s18, 0x3fb8aa3b
	s_mov_b32 s19, 0xc2ce8ed0
	;; [unrolled: 1-line block ×3, first 2 shown]
	v_mov_b32_e32 v9, 0x7f800000
	v_mov_b32_e32 v10, v0
.LBB147_15:                             ; =>This Inner Loop Header: Depth=1
	global_load_ushort v11, v[2:3], off
	v_add_co_u32_e32 v2, vcc, 0x200, v2
	v_add_u32_e32 v10, 0x100, v10
	v_addc_co_u32_e32 v3, vcc, 0, v3, vcc
	v_cmp_le_i32_e32 vcc, s16, v10
	s_or_b64 s[14:15], vcc, s[14:15]
	s_waitcnt vmcnt(0)
	v_lshlrev_b32_e32 v11, 16, v11
	s_waitcnt lgkmcnt(0)
	v_sub_f32_e32 v11, v11, v8
	v_mul_f32_e32 v12, 0x3fb8aa3b, v11
	v_fma_f32 v13, v11, s18, -v12
	v_rndne_f32_e32 v14, v12
	v_fmac_f32_e32 v13, 0x32a5705f, v11
	v_sub_f32_e32 v12, v12, v14
	v_add_f32_e32 v12, v12, v13
	v_cvt_i32_f32_e32 v14, v14
	v_exp_f32_e32 v12, v12
	v_cmp_ngt_f32_e32 vcc, s19, v11
	v_ldexp_f32 v12, v12, v14
	v_cndmask_b32_e32 v12, 0, v12, vcc
	v_cmp_nlt_f32_e32 vcc, s20, v11
	v_cndmask_b32_e32 v11, v9, v12, vcc
	v_add_f32_e32 v7, v7, v11
	s_andn2_b64 exec, exec, s[14:15]
	s_cbranch_execnz .LBB147_15
; %bb.16:
	s_or_b64 exec, exec, s[14:15]
.LBB147_17:
	s_or_b64 exec, exec, s[12:13]
	v_mov_b32_dpp v2, v7 quad_perm:[1,0,3,2] row_mask:0xf bank_mask:0xf
	v_add_f32_e32 v2, v7, v2
	s_nop 1
	v_mov_b32_dpp v3, v2 quad_perm:[2,3,0,1] row_mask:0xf bank_mask:0xf
	v_add_f32_e32 v2, v2, v3
	s_nop 1
	v_mov_b32_dpp v3, v2 row_ror:4 row_mask:0xf bank_mask:0xf
	v_add_f32_e32 v2, v2, v3
	s_nop 1
	v_mov_b32_dpp v3, v2 row_ror:8 row_mask:0xf bank_mask:0xf
	v_add_f32_e32 v2, v2, v3
	s_nop 1
	v_mov_b32_dpp v3, v2 row_bcast:15 row_mask:0xf bank_mask:0xf
	v_add_f32_e32 v2, v2, v3
	s_nop 1
	v_mov_b32_dpp v3, v2 row_bcast:31 row_mask:0xf bank_mask:0xf
	v_add_f32_e32 v2, v2, v3
	ds_bpermute_b32 v2, v6, v2
	s_and_saveexec_b64 s[12:13], s[2:3]
	s_cbranch_execz .LBB147_19
; %bb.18:
	v_and_b32_e32 v3, 12, v5
	s_waitcnt lgkmcnt(0)
	ds_write_b32 v3, v2
.LBB147_19:
	s_or_b64 exec, exec, s[12:13]
	s_waitcnt lgkmcnt(0)
	s_barrier
	s_and_saveexec_b64 s[2:3], s[4:5]
	s_cbranch_execz .LBB147_21
; %bb.20:
	v_lshlrev_b32_e32 v2, 2, v4
	ds_read_b32 v2, v2
	v_cmp_ne_u32_e32 vcc, 3, v4
	v_addc_co_u32_e32 v3, vcc, 0, v1, vcc
	v_lshlrev_b32_e32 v3, 2, v3
	s_waitcnt lgkmcnt(0)
	ds_bpermute_b32 v3, v3, v2
	v_cmp_gt_u32_e32 vcc, 2, v4
	v_cndmask_b32_e64 v4, 0, 1, vcc
	v_lshlrev_b32_e32 v4, 1, v4
	v_add_lshl_u32 v1, v4, v1, 2
	s_waitcnt lgkmcnt(0)
	v_add_f32_e32 v2, v2, v3
	ds_bpermute_b32 v1, v1, v2
	s_waitcnt lgkmcnt(0)
	v_add_f32_e32 v2, v2, v1
.LBB147_21:
	s_or_b64 exec, exec, s[2:3]
	s_and_saveexec_b64 s[2:3], s[6:7]
	s_cbranch_execz .LBB147_23
; %bb.22:
	v_div_scale_f32 v1, s[4:5], v2, v2, 1.0
	v_rcp_f32_e32 v3, v1
	v_div_scale_f32 v4, vcc, 1.0, v2, 1.0
	v_fma_f32 v5, -v1, v3, 1.0
	v_fmac_f32_e32 v3, v5, v3
	v_mul_f32_e32 v5, v4, v3
	v_fma_f32 v6, -v1, v5, v4
	v_fmac_f32_e32 v5, v6, v3
	v_fma_f32 v1, -v1, v5, v4
	v_div_fmas_f32 v1, v1, v3, v5
	v_div_fixup_f32 v1, v1, v2, 1.0
	v_mov_b32_e32 v2, 0
	ds_write_b32 v2, v1 offset:16
.LBB147_23:
	s_or_b64 exec, exec, s[2:3]
	s_waitcnt lgkmcnt(0)
	s_barrier
	s_and_saveexec_b64 s[2:3], s[0:1]
	s_cbranch_execz .LBB147_31
; %bb.24:
	v_mov_b32_e32 v1, 0
	ds_read_b64 v[2:3], v1 offset:16
	v_xad_u32 v1, v0, -1, s16
	s_movk_i32 s0, 0xff
	v_cmp_lt_u32_e32 vcc, s0, v1
	s_mov_b64 s[0:1], -1
	s_and_saveexec_b64 s[2:3], vcc
	s_cbranch_execz .LBB147_28
; %bb.25:
	v_lshrrev_b32_e32 v1, 8, v1
	v_add_u32_e32 v10, 1, v1
	v_and_b32_e32 v11, 0x1fffffe, v10
	v_or_b32_e32 v1, 0x100, v0
	s_mov_b32 s6, s17
	s_waitcnt lgkmcnt(0)
	v_mov_b32_e32 v4, v3
	v_mov_b32_e32 v5, v3
	;; [unrolled: 1-line block ×4, first 2 shown]
	s_mov_b64 s[4:5], 0
	v_mov_b32_e32 v12, s9
	s_mov_b32 s7, 0x3fb8aa3b
	s_mov_b32 s12, 0xc2ce8ed0
	;; [unrolled: 1-line block ×3, first 2 shown]
	v_mov_b32_e32 v13, 0x7f800000
	v_mov_b32_e32 v14, 0x207
	;; [unrolled: 1-line block ×4, first 2 shown]
	v_pk_mov_b32 v[8:9], v[0:1], v[0:1] op_sel:[0,1]
.LBB147_26:                             ; =>This Inner Loop Header: Depth=1
	v_add_u32_e32 v18, s17, v8
	v_ashrrev_i32_e32 v19, 31, v18
	v_add_u32_e32 v20, s6, v9
	v_lshlrev_b64 v[22:23], 1, v[18:19]
	v_ashrrev_i32_e32 v21, 31, v20
	v_add_co_u32_e32 v22, vcc, s8, v22
	v_lshlrev_b64 v[24:25], 1, v[20:21]
	v_addc_co_u32_e32 v23, vcc, v12, v23, vcc
	v_add_co_u32_e32 v24, vcc, s8, v24
	v_addc_co_u32_e32 v25, vcc, v12, v25, vcc
	global_load_ushort v1, v[24:25], off
	global_load_ushort v17, v[22:23], off
	v_add_u32_e32 v16, -2, v16
	v_cmp_eq_u32_e32 vcc, 0, v16
	v_lshlrev_b64 v[18:19], 2, v[18:19]
	s_or_b64 s[4:5], vcc, s[4:5]
	v_add_co_u32_e32 v18, vcc, s10, v18
	v_lshlrev_b64 v[20:21], 2, v[20:21]
	v_addc_co_u32_e32 v19, vcc, v15, v19, vcc
	v_add_co_u32_e32 v20, vcc, s10, v20
	v_addc_co_u32_e32 v21, vcc, v15, v21, vcc
	v_add_u32_e32 v9, 0x200, v9
	v_add_u32_e32 v8, 0x200, v8
	s_waitcnt vmcnt(1)
	v_lshlrev_b32_e32 v23, 16, v1
	s_waitcnt vmcnt(0)
	v_lshlrev_b32_e32 v22, 16, v17
	v_pk_add_f32 v[22:23], v[22:23], v[4:5] neg_lo:[0,1] neg_hi:[0,1]
	v_mul_f32_e32 v1, 0x3fb8aa3b, v23
	v_mul_f32_e32 v17, 0x3fb8aa3b, v22
	v_fma_f32 v24, v23, s7, -v1
	v_rndne_f32_e32 v25, v1
	v_fma_f32 v26, v22, s7, -v17
	v_rndne_f32_e32 v27, v17
	v_fmac_f32_e32 v24, 0x32a5705f, v23
	v_sub_f32_e32 v1, v1, v25
	v_fmac_f32_e32 v26, 0x32a5705f, v22
	v_sub_f32_e32 v17, v17, v27
	v_add_f32_e32 v1, v1, v24
	v_add_f32_e32 v17, v17, v26
	v_cvt_i32_f32_e32 v25, v25
	v_cvt_i32_f32_e32 v27, v27
	v_exp_f32_e32 v1, v1
	v_exp_f32_e32 v17, v17
	v_cmp_ngt_f32_e32 vcc, s12, v22
	v_cmp_ngt_f32_e64 s[0:1], s12, v23
	v_ldexp_f32 v1, v1, v25
	v_ldexp_f32 v17, v17, v27
	v_cndmask_b32_e64 v1, 0, v1, s[0:1]
	v_cndmask_b32_e32 v17, 0, v17, vcc
	v_cmp_nlt_f32_e32 vcc, s13, v22
	v_cmp_nlt_f32_e64 s[0:1], s13, v23
	v_cndmask_b32_e64 v23, v13, v1, s[0:1]
	v_cndmask_b32_e32 v22, v13, v17, vcc
	v_pk_mul_f32 v[22:23], v[6:7], v[22:23]
	v_cmp_class_f32_e32 vcc, v23, v14
	v_cndmask_b32_e64 v1, v23, 0, vcc
	v_cmp_class_f32_e32 vcc, v22, v14
	v_cndmask_b32_e64 v17, v22, 0, vcc
	global_store_dword v[18:19], v17, off
	global_store_dword v[20:21], v1, off
	s_andn2_b64 exec, exec, s[4:5]
	s_cbranch_execnz .LBB147_26
; %bb.27:
	s_or_b64 exec, exec, s[4:5]
	v_cmp_ne_u32_e32 vcc, v10, v11
	v_lshl_or_b32 v0, v11, 8, v0
	s_orn2_b64 s[0:1], vcc, exec
.LBB147_28:
	s_or_b64 exec, exec, s[2:3]
	s_and_b64 exec, exec, s[0:1]
	s_cbranch_execz .LBB147_31
; %bb.29:
	s_ashr_i32 s0, s17, 31
	v_ashrrev_i32_e32 v1, 31, v0
	v_mov_b32_e32 v4, s0
	v_add_co_u32_e32 v6, vcc, s17, v0
	v_addc_co_u32_e32 v7, vcc, v1, v4, vcc
	v_lshlrev_b64 v[4:5], 1, v[6:7]
	v_mov_b32_e32 v1, s9
	v_add_co_u32_e32 v4, vcc, s8, v4
	v_addc_co_u32_e32 v5, vcc, v1, v5, vcc
	v_lshlrev_b64 v[6:7], 2, v[6:7]
	v_mov_b32_e32 v1, s11
	v_add_co_u32_e32 v6, vcc, s10, v6
	v_addc_co_u32_e32 v7, vcc, v1, v7, vcc
	s_mov_b64 s[0:1], 0
	s_mov_b32 s2, 0x3fb8aa3b
	s_mov_b32 s3, 0xc2ce8ed0
	;; [unrolled: 1-line block ×3, first 2 shown]
	v_mov_b32_e32 v1, 0x7f800000
	s_movk_i32 s5, 0x1f8
.LBB147_30:                             ; =>This Inner Loop Header: Depth=1
	global_load_ushort v8, v[4:5], off
	v_add_co_u32_e32 v4, vcc, 0x200, v4
	v_add_u32_e32 v0, 0x100, v0
	v_addc_co_u32_e32 v5, vcc, 0, v5, vcc
	v_cmp_le_i32_e32 vcc, s16, v0
	s_or_b64 s[0:1], vcc, s[0:1]
	s_waitcnt vmcnt(0)
	v_lshlrev_b32_e32 v8, 16, v8
	s_waitcnt lgkmcnt(0)
	v_sub_f32_e32 v8, v8, v3
	v_mul_f32_e32 v9, 0x3fb8aa3b, v8
	v_fma_f32 v10, v8, s2, -v9
	v_rndne_f32_e32 v11, v9
	v_fmac_f32_e32 v10, 0x32a5705f, v8
	v_sub_f32_e32 v9, v9, v11
	v_add_f32_e32 v9, v9, v10
	v_cvt_i32_f32_e32 v11, v11
	v_exp_f32_e32 v9, v9
	v_cmp_ngt_f32_e32 vcc, s3, v8
	v_ldexp_f32 v9, v9, v11
	v_cndmask_b32_e32 v9, 0, v9, vcc
	v_cmp_nlt_f32_e32 vcc, s4, v8
	v_cndmask_b32_e32 v8, v1, v9, vcc
	v_mul_f32_e32 v8, v2, v8
	v_cmp_class_f32_e64 vcc, v8, s5
	v_cndmask_b32_e32 v8, 0, v8, vcc
	global_store_dword v[6:7], v8, off
	v_add_co_u32_e32 v6, vcc, 0x400, v6
	v_addc_co_u32_e32 v7, vcc, 0, v7, vcc
	s_andn2_b64 exec, exec, s[0:1]
	s_cbranch_execnz .LBB147_30
.LBB147_31:
	s_endpgm
	.section	.rodata,"a",@progbits
	.p2align	6, 0x0
	.amdhsa_kernel _ZN4vllm3moe10moeSoftmaxILi256E14__hip_bfloat16EEvPKT0_PKbPfi
		.amdhsa_group_segment_fixed_size 24
		.amdhsa_private_segment_fixed_size 0
		.amdhsa_kernarg_size 28
		.amdhsa_user_sgpr_count 6
		.amdhsa_user_sgpr_private_segment_buffer 1
		.amdhsa_user_sgpr_dispatch_ptr 0
		.amdhsa_user_sgpr_queue_ptr 0
		.amdhsa_user_sgpr_kernarg_segment_ptr 1
		.amdhsa_user_sgpr_dispatch_id 0
		.amdhsa_user_sgpr_flat_scratch_init 0
		.amdhsa_user_sgpr_kernarg_preload_length 0
		.amdhsa_user_sgpr_kernarg_preload_offset 0
		.amdhsa_user_sgpr_private_segment_size 0
		.amdhsa_uses_dynamic_stack 0
		.amdhsa_system_sgpr_private_segment_wavefront_offset 0
		.amdhsa_system_sgpr_workgroup_id_x 1
		.amdhsa_system_sgpr_workgroup_id_y 0
		.amdhsa_system_sgpr_workgroup_id_z 0
		.amdhsa_system_sgpr_workgroup_info 0
		.amdhsa_system_vgpr_workitem_id 0
		.amdhsa_next_free_vgpr 28
		.amdhsa_next_free_sgpr 21
		.amdhsa_accum_offset 28
		.amdhsa_reserve_vcc 1
		.amdhsa_reserve_flat_scratch 0
		.amdhsa_float_round_mode_32 0
		.amdhsa_float_round_mode_16_64 0
		.amdhsa_float_denorm_mode_32 3
		.amdhsa_float_denorm_mode_16_64 3
		.amdhsa_dx10_clamp 1
		.amdhsa_ieee_mode 1
		.amdhsa_fp16_overflow 0
		.amdhsa_tg_split 0
		.amdhsa_exception_fp_ieee_invalid_op 0
		.amdhsa_exception_fp_denorm_src 0
		.amdhsa_exception_fp_ieee_div_zero 0
		.amdhsa_exception_fp_ieee_overflow 0
		.amdhsa_exception_fp_ieee_underflow 0
		.amdhsa_exception_fp_ieee_inexact 0
		.amdhsa_exception_int_div_zero 0
	.end_amdhsa_kernel
	.section	.text._ZN4vllm3moe10moeSoftmaxILi256E14__hip_bfloat16EEvPKT0_PKbPfi,"axG",@progbits,_ZN4vllm3moe10moeSoftmaxILi256E14__hip_bfloat16EEvPKT0_PKbPfi,comdat
.Lfunc_end147:
	.size	_ZN4vllm3moe10moeSoftmaxILi256E14__hip_bfloat16EEvPKT0_PKbPfi, .Lfunc_end147-_ZN4vllm3moe10moeSoftmaxILi256E14__hip_bfloat16EEvPKT0_PKbPfi
                                        ; -- End function
	.section	.AMDGPU.csdata,"",@progbits
; Kernel info:
; codeLenInByte = 1956
; NumSgprs: 25
; NumVgprs: 28
; NumAgprs: 0
; TotalNumVgprs: 28
; ScratchSize: 0
; MemoryBound: 0
; FloatMode: 240
; IeeeMode: 1
; LDSByteSize: 24 bytes/workgroup (compile time only)
; SGPRBlocks: 3
; VGPRBlocks: 3
; NumSGPRsForWavesPerEU: 25
; NumVGPRsForWavesPerEU: 28
; AccumOffset: 28
; Occupancy: 8
; WaveLimiterHint : 0
; COMPUTE_PGM_RSRC2:SCRATCH_EN: 0
; COMPUTE_PGM_RSRC2:USER_SGPR: 6
; COMPUTE_PGM_RSRC2:TRAP_HANDLER: 0
; COMPUTE_PGM_RSRC2:TGID_X_EN: 1
; COMPUTE_PGM_RSRC2:TGID_Y_EN: 0
; COMPUTE_PGM_RSRC2:TGID_Z_EN: 0
; COMPUTE_PGM_RSRC2:TIDIG_COMP_CNT: 0
; COMPUTE_PGM_RSRC3_GFX90A:ACCUM_OFFSET: 6
; COMPUTE_PGM_RSRC3_GFX90A:TG_SPLIT: 0
	.section	.text._ZN4vllm3moe10topkGatingILi1ELi1ELi4ELi2ELi64Ej14__hip_bfloat16LNS0_11ScoringFuncE0EEEvPKT5_PKbPfiPT4_PiiiibPKf,"axG",@progbits,_ZN4vllm3moe10topkGatingILi1ELi1ELi4ELi2ELi64Ej14__hip_bfloat16LNS0_11ScoringFuncE0EEEvPKT5_PKbPfiPT4_PiiiibPKf,comdat
	.protected	_ZN4vllm3moe10topkGatingILi1ELi1ELi4ELi2ELi64Ej14__hip_bfloat16LNS0_11ScoringFuncE0EEEvPKT5_PKbPfiPT4_PiiiibPKf ; -- Begin function _ZN4vllm3moe10topkGatingILi1ELi1ELi4ELi2ELi64Ej14__hip_bfloat16LNS0_11ScoringFuncE0EEEvPKT5_PKbPfiPT4_PiiiibPKf
	.globl	_ZN4vllm3moe10topkGatingILi1ELi1ELi4ELi2ELi64Ej14__hip_bfloat16LNS0_11ScoringFuncE0EEEvPKT5_PKbPfiPT4_PiiiibPKf
	.p2align	8
	.type	_ZN4vllm3moe10topkGatingILi1ELi1ELi4ELi2ELi64Ej14__hip_bfloat16LNS0_11ScoringFuncE0EEEvPKT5_PKbPfiPT4_PiiiibPKf,@function
_ZN4vllm3moe10topkGatingILi1ELi1ELi4ELi2ELi64Ej14__hip_bfloat16LNS0_11ScoringFuncE0EEEvPKT5_PKbPfiPT4_PiiiibPKf: ; @_ZN4vllm3moe10topkGatingILi1ELi1ELi4ELi2ELi64Ej14__hip_bfloat16LNS0_11ScoringFuncE0EEEvPKT5_PKbPfiPT4_PiiiibPKf
; %bb.0:
	s_load_dword s18, s[4:5], 0x18
	v_bfe_u32 v1, v0, 10, 10
	s_lshl_b32 s0, s6, 8
	v_lshlrev_b32_e32 v1, 6, v1
	v_and_b32_e32 v0, 0x3ff, v0
	v_add3_u32 v0, v1, v0, s0
	s_waitcnt lgkmcnt(0)
	v_cmp_gt_i32_e32 vcc, s18, v0
	s_and_saveexec_b64 s[0:1], vcc
	s_cbranch_execz .LBB148_17
; %bb.1:
	s_load_dwordx4 s[12:15], s[4:5], 0x0
	s_load_dwordx2 s[2:3], s[4:5], 0x10
	v_ashrrev_i32_e32 v1, 31, v0
	s_waitcnt lgkmcnt(0)
	s_cmp_eq_u64 s[14:15], 0
	s_cbranch_scc1 .LBB148_3
; %bb.2:
	v_mov_b32_e32 v3, s15
	v_add_co_u32_e32 v2, vcc, s14, v0
	v_addc_co_u32_e32 v3, vcc, v3, v1, vcc
	global_load_ubyte v2, v[2:3], off
	s_waitcnt vmcnt(0)
	v_and_b32_e32 v2, 1, v2
	v_cmp_eq_u32_e32 vcc, 1, v2
	s_xor_b64 s[0:1], vcc, -1
	s_orn2_b64 s[16:17], s[0:1], exec
	s_branch .LBB148_4
.LBB148_3:
	s_mov_b64 s[16:17], -1
.LBB148_4:
	s_load_dwordx4 s[8:11], s[4:5], 0x30
	s_waitcnt lgkmcnt(0)
	s_bitcmp1_b32 s11, 0
	s_cselect_b64 s[0:1], -1, 0
	s_cmp_gt_i32 s8, 0
	s_cselect_b64 s[14:15], -1, 0
	s_cmp_lt_i32 s8, 1
	s_cbranch_scc1 .LBB148_8
; %bb.5:
	v_lshlrev_b64 v[2:3], 1, v[0:1]
	v_mov_b32_e32 v1, s13
	v_add_co_u32_e32 v2, vcc, s12, v2
	v_addc_co_u32_e32 v3, vcc, v1, v3, vcc
	global_load_ushort v4, v[2:3], off
	s_mov_b32 s19, 0x3fb8aa3b
	v_mul_lo_u32 v2, v0, s8
	s_load_dwordx4 s[4:7], s[4:5], 0x20
	s_cmp_lt_i32 s9, 1
	v_ashrrev_i32_e32 v3, 31, v2
	s_cselect_b64 s[12:13], -1, 0
	s_cmp_gt_i32 s10, 0
	v_lshlrev_b64 v[6:7], 2, v[2:3]
	v_mov_b32_e32 v5, s3
	s_cselect_b64 s[10:11], -1, 0
	v_add_co_u32_e32 v2, vcc, s2, v6
	s_sub_i32 s9, 0, s9
	s_and_b64 s[10:11], s[12:13], s[10:11]
	v_addc_co_u32_e32 v3, vcc, v5, v7, vcc
	v_mov_b32_e32 v9, s9
	s_and_b64 vcc, s[16:17], s[10:11]
	v_cndmask_b32_e32 v9, 1, v9, vcc
	s_waitcnt lgkmcnt(0)
	v_mov_b32_e32 v5, s5
	s_mov_b32 s20, 0xc2ce8ed0
	s_mov_b32 s21, 0x42b17218
	v_mov_b32_e32 v10, 0x7f800000
	v_mov_b32_e32 v11, s7
	s_movk_i32 s22, 0x1f8
	v_mov_b32_e32 v1, 0
	v_mov_b32_e32 v8, v0
	s_waitcnt vmcnt(0)
	v_lshlrev_b32_e32 v4, 16, v4
	v_sub_f32_e32 v12, v4, v4
	v_mul_f32_e32 v4, 0x3fb8aa3b, v12
	v_fma_f32 v13, v12, s19, -v4
	v_rndne_f32_e32 v14, v4
	v_fmac_f32_e32 v13, 0x32a5705f, v12
	v_sub_f32_e32 v4, v4, v14
	v_add_f32_e32 v4, v4, v13
	v_cvt_i32_f32_e32 v14, v14
	v_exp_f32_e32 v13, v4
	v_add_co_u32_e32 v4, vcc, s4, v6
	v_addc_co_u32_e32 v5, vcc, v5, v7, vcc
	v_ldexp_f32 v13, v13, v14
	v_cmp_ngt_f32_e32 vcc, s20, v12
	v_cndmask_b32_e32 v13, 0, v13, vcc
	v_cmp_nlt_f32_e32 vcc, s21, v12
	v_cndmask_b32_e32 v10, v10, v13, vcc
	v_div_scale_f32 v12, s[4:5], v10, v10, 1.0
	v_rcp_f32_e32 v13, v12
	v_add_co_u32_e32 v6, vcc, s6, v6
	v_addc_co_u32_e32 v7, vcc, v11, v7, vcc
	v_fma_f32 v14, -v12, v13, 1.0
	v_div_scale_f32 v11, vcc, 1.0, v10, 1.0
	v_fmac_f32_e32 v13, v14, v13
	v_mul_f32_e32 v14, v11, v13
	v_fma_f32 v15, -v12, v14, v11
	v_fmac_f32_e32 v14, v15, v13
	v_fma_f32 v11, -v12, v14, v11
	v_div_fmas_f32 v11, v11, v13, v14
	v_div_fixup_f32 v11, v11, v10, 1.0
	v_mul_f32_e32 v10, v10, v11
	v_cmp_class_f32_e64 vcc, v10, s22
	v_cndmask_b32_e32 v10, 0, v10, vcc
	s_mov_b32 s4, s8
.LBB148_6:                              ; =>This Inner Loop Header: Depth=1
	global_store_dword v[2:3], v10, off
	global_store_dword v[4:5], v9, off
	;; [unrolled: 1-line block ×3, first 2 shown]
	v_add_co_u32_e32 v2, vcc, 4, v2
	v_addc_co_u32_e32 v3, vcc, 0, v3, vcc
	v_add_co_u32_e32 v4, vcc, 4, v4
	v_addc_co_u32_e32 v5, vcc, 0, v5, vcc
	v_add_f32_e32 v11, v1, v10
	s_add_i32 s4, s4, -1
	v_add_co_u32_e32 v6, vcc, 4, v6
	v_cndmask_b32_e64 v1, v1, v11, s[0:1]
	v_add_u32_e32 v8, s18, v8
	s_cmp_lg_u32 s4, 0
	v_addc_co_u32_e32 v7, vcc, 0, v7, vcc
	s_cbranch_scc1 .LBB148_6
; %bb.7:
	s_andn2_b64 vcc, exec, s[0:1]
	s_cbranch_vccz .LBB148_9
	s_branch .LBB148_17
.LBB148_8:
	v_mov_b32_e32 v1, 0
	s_andn2_b64 vcc, exec, s[0:1]
	s_cbranch_vccnz .LBB148_17
.LBB148_9:
	s_andn2_b64 vcc, exec, s[14:15]
	s_cbranch_vccnz .LBB148_17
; %bb.10:
	v_cmp_lt_f32_e32 vcc, 0, v1
	s_mov_b32 s4, 0
	v_cndmask_b32_e32 v2, 1.0, v1, vcc
	v_mul_lo_u32 v0, v0, s8
	s_cmp_eq_u32 s8, 1
	s_mov_b64 s[0:1], -1
	s_cbranch_scc1 .LBB148_14
; %bb.11:
	s_and_b32 s4, s8, 0x7ffffffe
	v_mov_b32_e32 v1, v2
	v_mov_b32_e32 v3, s3
	s_mov_b32 s5, s4
	v_mov_b32_e32 v4, v0
.LBB148_12:                             ; =>This Inner Loop Header: Depth=1
	v_ashrrev_i32_e32 v5, 31, v4
	v_lshlrev_b64 v[6:7], 2, v[4:5]
	v_add_co_u32_e32 v6, vcc, s2, v6
	v_addc_co_u32_e32 v7, vcc, v3, v7, vcc
	global_load_dwordx2 v[8:9], v[6:7], off
	s_add_i32 s5, s5, -2
	s_cmp_lg_u32 s5, 0
	v_add_u32_e32 v4, 2, v4
	s_waitcnt vmcnt(0)
	v_div_scale_f32 v5, s[0:1], v1, v1, v9
	v_div_scale_f32 v11, s[0:1], v2, v2, v8
	v_rcp_f32_e32 v12, v5
	v_rcp_f32_e32 v13, v11
	v_div_scale_f32 v10, vcc, v9, v1, v9
	v_fma_f32 v15, -v5, v12, 1.0
	v_fma_f32 v16, -v11, v13, 1.0
	v_fmac_f32_e32 v12, v15, v12
	v_div_scale_f32 v14, s[0:1], v8, v2, v8
	v_fmac_f32_e32 v13, v16, v13
	v_mul_f32_e32 v15, v10, v12
	v_mul_f32_e32 v16, v14, v13
	v_fma_f32 v17, -v5, v15, v10
	v_fma_f32 v18, -v11, v16, v14
	v_fmac_f32_e32 v15, v17, v12
	v_fmac_f32_e32 v16, v18, v13
	v_fma_f32 v5, -v5, v15, v10
	v_fma_f32 v10, -v11, v16, v14
	v_div_fmas_f32 v5, v5, v12, v15
	s_mov_b64 vcc, s[0:1]
	v_div_fixup_f32 v9, v5, v1, v9
	v_div_fmas_f32 v5, v10, v13, v16
	v_div_fixup_f32 v8, v5, v2, v8
	global_store_dwordx2 v[6:7], v[8:9], off
	s_cbranch_scc1 .LBB148_12
; %bb.13:
	s_cmp_lg_u32 s4, s8
	s_cselect_b64 s[0:1], -1, 0
.LBB148_14:
	s_and_b64 vcc, exec, s[0:1]
	s_cbranch_vccz .LBB148_17
; %bb.15:
	v_ashrrev_i32_e32 v1, 31, v0
	v_add_co_u32_e32 v0, vcc, s4, v0
	v_addc_co_u32_e32 v1, vcc, 0, v1, vcc
	v_lshlrev_b64 v[0:1], 2, v[0:1]
	v_mov_b32_e32 v3, s3
	v_add_co_u32_e32 v0, vcc, s2, v0
	s_sub_i32 s0, s8, s4
	v_addc_co_u32_e32 v1, vcc, v3, v1, vcc
.LBB148_16:                             ; =>This Inner Loop Header: Depth=1
	global_load_dword v3, v[0:1], off
	s_add_i32 s0, s0, -1
	s_cmp_lg_u32 s0, 0
	s_waitcnt vmcnt(0)
	v_div_scale_f32 v4, s[2:3], v2, v2, v3
	v_rcp_f32_e32 v5, v4
	v_div_scale_f32 v6, vcc, v3, v2, v3
	v_fma_f32 v7, -v4, v5, 1.0
	v_fmac_f32_e32 v5, v7, v5
	v_mul_f32_e32 v7, v6, v5
	v_fma_f32 v8, -v4, v7, v6
	v_fmac_f32_e32 v7, v8, v5
	v_fma_f32 v4, -v4, v7, v6
	v_div_fmas_f32 v4, v4, v5, v7
	v_div_fixup_f32 v3, v4, v2, v3
	global_store_dword v[0:1], v3, off
	v_add_co_u32_e32 v0, vcc, 4, v0
	v_addc_co_u32_e32 v1, vcc, 0, v1, vcc
	s_cbranch_scc1 .LBB148_16
.LBB148_17:
	s_endpgm
	.section	.rodata,"a",@progbits
	.p2align	6, 0x0
	.amdhsa_kernel _ZN4vllm3moe10topkGatingILi1ELi1ELi4ELi2ELi64Ej14__hip_bfloat16LNS0_11ScoringFuncE0EEEvPKT5_PKbPfiPT4_PiiiibPKf
		.amdhsa_group_segment_fixed_size 0
		.amdhsa_private_segment_fixed_size 0
		.amdhsa_kernarg_size 72
		.amdhsa_user_sgpr_count 6
		.amdhsa_user_sgpr_private_segment_buffer 1
		.amdhsa_user_sgpr_dispatch_ptr 0
		.amdhsa_user_sgpr_queue_ptr 0
		.amdhsa_user_sgpr_kernarg_segment_ptr 1
		.amdhsa_user_sgpr_dispatch_id 0
		.amdhsa_user_sgpr_flat_scratch_init 0
		.amdhsa_user_sgpr_kernarg_preload_length 0
		.amdhsa_user_sgpr_kernarg_preload_offset 0
		.amdhsa_user_sgpr_private_segment_size 0
		.amdhsa_uses_dynamic_stack 0
		.amdhsa_system_sgpr_private_segment_wavefront_offset 0
		.amdhsa_system_sgpr_workgroup_id_x 1
		.amdhsa_system_sgpr_workgroup_id_y 0
		.amdhsa_system_sgpr_workgroup_id_z 0
		.amdhsa_system_sgpr_workgroup_info 0
		.amdhsa_system_vgpr_workitem_id 1
		.amdhsa_next_free_vgpr 19
		.amdhsa_next_free_sgpr 23
		.amdhsa_accum_offset 20
		.amdhsa_reserve_vcc 1
		.amdhsa_reserve_flat_scratch 0
		.amdhsa_float_round_mode_32 0
		.amdhsa_float_round_mode_16_64 0
		.amdhsa_float_denorm_mode_32 3
		.amdhsa_float_denorm_mode_16_64 3
		.amdhsa_dx10_clamp 1
		.amdhsa_ieee_mode 1
		.amdhsa_fp16_overflow 0
		.amdhsa_tg_split 0
		.amdhsa_exception_fp_ieee_invalid_op 0
		.amdhsa_exception_fp_denorm_src 0
		.amdhsa_exception_fp_ieee_div_zero 0
		.amdhsa_exception_fp_ieee_overflow 0
		.amdhsa_exception_fp_ieee_underflow 0
		.amdhsa_exception_fp_ieee_inexact 0
		.amdhsa_exception_int_div_zero 0
	.end_amdhsa_kernel
	.section	.text._ZN4vllm3moe10topkGatingILi1ELi1ELi4ELi2ELi64Ej14__hip_bfloat16LNS0_11ScoringFuncE0EEEvPKT5_PKbPfiPT4_PiiiibPKf,"axG",@progbits,_ZN4vllm3moe10topkGatingILi1ELi1ELi4ELi2ELi64Ej14__hip_bfloat16LNS0_11ScoringFuncE0EEEvPKT5_PKbPfiPT4_PiiiibPKf,comdat
.Lfunc_end148:
	.size	_ZN4vllm3moe10topkGatingILi1ELi1ELi4ELi2ELi64Ej14__hip_bfloat16LNS0_11ScoringFuncE0EEEvPKT5_PKbPfiPT4_PiiiibPKf, .Lfunc_end148-_ZN4vllm3moe10topkGatingILi1ELi1ELi4ELi2ELi64Ej14__hip_bfloat16LNS0_11ScoringFuncE0EEEvPKT5_PKbPfiPT4_PiiiibPKf
                                        ; -- End function
	.section	.AMDGPU.csdata,"",@progbits
; Kernel info:
; codeLenInByte = 1056
; NumSgprs: 27
; NumVgprs: 19
; NumAgprs: 0
; TotalNumVgprs: 19
; ScratchSize: 0
; MemoryBound: 0
; FloatMode: 240
; IeeeMode: 1
; LDSByteSize: 0 bytes/workgroup (compile time only)
; SGPRBlocks: 3
; VGPRBlocks: 2
; NumSGPRsForWavesPerEU: 27
; NumVGPRsForWavesPerEU: 19
; AccumOffset: 20
; Occupancy: 8
; WaveLimiterHint : 0
; COMPUTE_PGM_RSRC2:SCRATCH_EN: 0
; COMPUTE_PGM_RSRC2:USER_SGPR: 6
; COMPUTE_PGM_RSRC2:TRAP_HANDLER: 0
; COMPUTE_PGM_RSRC2:TGID_X_EN: 1
; COMPUTE_PGM_RSRC2:TGID_Y_EN: 0
; COMPUTE_PGM_RSRC2:TGID_Z_EN: 0
; COMPUTE_PGM_RSRC2:TIDIG_COMP_CNT: 1
; COMPUTE_PGM_RSRC3_GFX90A:ACCUM_OFFSET: 4
; COMPUTE_PGM_RSRC3_GFX90A:TG_SPLIT: 0
	.section	.text._ZN4vllm3moe10topkGatingILi1ELi1ELi4ELi2ELi32Ej14__hip_bfloat16LNS0_11ScoringFuncE0EEEvPKT5_PKbPfiPT4_PiiiibPKf,"axG",@progbits,_ZN4vllm3moe10topkGatingILi1ELi1ELi4ELi2ELi32Ej14__hip_bfloat16LNS0_11ScoringFuncE0EEEvPKT5_PKbPfiPT4_PiiiibPKf,comdat
	.protected	_ZN4vllm3moe10topkGatingILi1ELi1ELi4ELi2ELi32Ej14__hip_bfloat16LNS0_11ScoringFuncE0EEEvPKT5_PKbPfiPT4_PiiiibPKf ; -- Begin function _ZN4vllm3moe10topkGatingILi1ELi1ELi4ELi2ELi32Ej14__hip_bfloat16LNS0_11ScoringFuncE0EEEvPKT5_PKbPfiPT4_PiiiibPKf
	.globl	_ZN4vllm3moe10topkGatingILi1ELi1ELi4ELi2ELi32Ej14__hip_bfloat16LNS0_11ScoringFuncE0EEEvPKT5_PKbPfiPT4_PiiiibPKf
	.p2align	8
	.type	_ZN4vllm3moe10topkGatingILi1ELi1ELi4ELi2ELi32Ej14__hip_bfloat16LNS0_11ScoringFuncE0EEEvPKT5_PKbPfiPT4_PiiiibPKf,@function
_ZN4vllm3moe10topkGatingILi1ELi1ELi4ELi2ELi32Ej14__hip_bfloat16LNS0_11ScoringFuncE0EEEvPKT5_PKbPfiPT4_PiiiibPKf: ; @_ZN4vllm3moe10topkGatingILi1ELi1ELi4ELi2ELi32Ej14__hip_bfloat16LNS0_11ScoringFuncE0EEEvPKT5_PKbPfiPT4_PiiiibPKf
; %bb.0:
	s_load_dword s18, s[4:5], 0x18
	v_bfe_u32 v1, v0, 10, 10
	s_lshl_b32 s0, s6, 7
	v_lshlrev_b32_e32 v1, 5, v1
	v_and_b32_e32 v0, 0x3ff, v0
	v_add3_u32 v0, v1, v0, s0
	s_waitcnt lgkmcnt(0)
	v_cmp_gt_i32_e32 vcc, s18, v0
	s_and_saveexec_b64 s[0:1], vcc
	s_cbranch_execz .LBB149_17
; %bb.1:
	s_load_dwordx4 s[12:15], s[4:5], 0x0
	s_load_dwordx2 s[2:3], s[4:5], 0x10
	v_ashrrev_i32_e32 v1, 31, v0
	s_waitcnt lgkmcnt(0)
	s_cmp_eq_u64 s[14:15], 0
	s_cbranch_scc1 .LBB149_3
; %bb.2:
	v_mov_b32_e32 v3, s15
	v_add_co_u32_e32 v2, vcc, s14, v0
	v_addc_co_u32_e32 v3, vcc, v3, v1, vcc
	global_load_ubyte v2, v[2:3], off
	s_waitcnt vmcnt(0)
	v_and_b32_e32 v2, 1, v2
	v_cmp_eq_u32_e32 vcc, 1, v2
	s_xor_b64 s[0:1], vcc, -1
	s_orn2_b64 s[16:17], s[0:1], exec
	s_branch .LBB149_4
.LBB149_3:
	s_mov_b64 s[16:17], -1
.LBB149_4:
	s_load_dwordx4 s[8:11], s[4:5], 0x30
	s_waitcnt lgkmcnt(0)
	s_bitcmp1_b32 s11, 0
	s_cselect_b64 s[0:1], -1, 0
	s_cmp_gt_i32 s8, 0
	s_cselect_b64 s[14:15], -1, 0
	s_cmp_lt_i32 s8, 1
	s_cbranch_scc1 .LBB149_8
; %bb.5:
	v_lshlrev_b64 v[2:3], 1, v[0:1]
	v_mov_b32_e32 v1, s13
	v_add_co_u32_e32 v2, vcc, s12, v2
	v_addc_co_u32_e32 v3, vcc, v1, v3, vcc
	global_load_ushort v4, v[2:3], off
	s_mov_b32 s19, 0x3fb8aa3b
	v_mul_lo_u32 v2, v0, s8
	s_load_dwordx4 s[4:7], s[4:5], 0x20
	s_cmp_lt_i32 s9, 1
	v_ashrrev_i32_e32 v3, 31, v2
	s_cselect_b64 s[12:13], -1, 0
	s_cmp_gt_i32 s10, 0
	v_lshlrev_b64 v[6:7], 2, v[2:3]
	v_mov_b32_e32 v5, s3
	s_cselect_b64 s[10:11], -1, 0
	v_add_co_u32_e32 v2, vcc, s2, v6
	s_sub_i32 s9, 0, s9
	s_and_b64 s[10:11], s[12:13], s[10:11]
	v_addc_co_u32_e32 v3, vcc, v5, v7, vcc
	v_mov_b32_e32 v9, s9
	s_and_b64 vcc, s[16:17], s[10:11]
	v_cndmask_b32_e32 v9, 1, v9, vcc
	s_waitcnt lgkmcnt(0)
	v_mov_b32_e32 v5, s5
	s_mov_b32 s20, 0xc2ce8ed0
	s_mov_b32 s21, 0x42b17218
	v_mov_b32_e32 v10, 0x7f800000
	v_mov_b32_e32 v11, s7
	s_movk_i32 s22, 0x1f8
	v_mov_b32_e32 v1, 0
	v_mov_b32_e32 v8, v0
	s_waitcnt vmcnt(0)
	v_lshlrev_b32_e32 v4, 16, v4
	v_sub_f32_e32 v12, v4, v4
	v_mul_f32_e32 v4, 0x3fb8aa3b, v12
	v_fma_f32 v13, v12, s19, -v4
	v_rndne_f32_e32 v14, v4
	v_fmac_f32_e32 v13, 0x32a5705f, v12
	v_sub_f32_e32 v4, v4, v14
	v_add_f32_e32 v4, v4, v13
	v_cvt_i32_f32_e32 v14, v14
	v_exp_f32_e32 v13, v4
	v_add_co_u32_e32 v4, vcc, s4, v6
	v_addc_co_u32_e32 v5, vcc, v5, v7, vcc
	v_ldexp_f32 v13, v13, v14
	v_cmp_ngt_f32_e32 vcc, s20, v12
	v_cndmask_b32_e32 v13, 0, v13, vcc
	v_cmp_nlt_f32_e32 vcc, s21, v12
	v_cndmask_b32_e32 v10, v10, v13, vcc
	v_div_scale_f32 v12, s[4:5], v10, v10, 1.0
	v_rcp_f32_e32 v13, v12
	v_add_co_u32_e32 v6, vcc, s6, v6
	v_addc_co_u32_e32 v7, vcc, v11, v7, vcc
	v_fma_f32 v14, -v12, v13, 1.0
	v_div_scale_f32 v11, vcc, 1.0, v10, 1.0
	v_fmac_f32_e32 v13, v14, v13
	v_mul_f32_e32 v14, v11, v13
	v_fma_f32 v15, -v12, v14, v11
	v_fmac_f32_e32 v14, v15, v13
	v_fma_f32 v11, -v12, v14, v11
	v_div_fmas_f32 v11, v11, v13, v14
	v_div_fixup_f32 v11, v11, v10, 1.0
	v_mul_f32_e32 v10, v10, v11
	v_cmp_class_f32_e64 vcc, v10, s22
	v_cndmask_b32_e32 v10, 0, v10, vcc
	s_mov_b32 s4, s8
.LBB149_6:                              ; =>This Inner Loop Header: Depth=1
	global_store_dword v[2:3], v10, off
	global_store_dword v[4:5], v9, off
	;; [unrolled: 1-line block ×3, first 2 shown]
	v_add_co_u32_e32 v2, vcc, 4, v2
	v_addc_co_u32_e32 v3, vcc, 0, v3, vcc
	v_add_co_u32_e32 v4, vcc, 4, v4
	v_addc_co_u32_e32 v5, vcc, 0, v5, vcc
	v_add_f32_e32 v11, v1, v10
	s_add_i32 s4, s4, -1
	v_add_co_u32_e32 v6, vcc, 4, v6
	v_cndmask_b32_e64 v1, v1, v11, s[0:1]
	v_add_u32_e32 v8, s18, v8
	s_cmp_lg_u32 s4, 0
	v_addc_co_u32_e32 v7, vcc, 0, v7, vcc
	s_cbranch_scc1 .LBB149_6
; %bb.7:
	s_andn2_b64 vcc, exec, s[0:1]
	s_cbranch_vccz .LBB149_9
	s_branch .LBB149_17
.LBB149_8:
	v_mov_b32_e32 v1, 0
	s_andn2_b64 vcc, exec, s[0:1]
	s_cbranch_vccnz .LBB149_17
.LBB149_9:
	s_andn2_b64 vcc, exec, s[14:15]
	s_cbranch_vccnz .LBB149_17
; %bb.10:
	v_cmp_lt_f32_e32 vcc, 0, v1
	s_mov_b32 s4, 0
	v_cndmask_b32_e32 v2, 1.0, v1, vcc
	v_mul_lo_u32 v0, v0, s8
	s_cmp_eq_u32 s8, 1
	s_mov_b64 s[0:1], -1
	s_cbranch_scc1 .LBB149_14
; %bb.11:
	s_and_b32 s4, s8, 0x7ffffffe
	v_mov_b32_e32 v1, v2
	v_mov_b32_e32 v3, s3
	s_mov_b32 s5, s4
	v_mov_b32_e32 v4, v0
.LBB149_12:                             ; =>This Inner Loop Header: Depth=1
	v_ashrrev_i32_e32 v5, 31, v4
	v_lshlrev_b64 v[6:7], 2, v[4:5]
	v_add_co_u32_e32 v6, vcc, s2, v6
	v_addc_co_u32_e32 v7, vcc, v3, v7, vcc
	global_load_dwordx2 v[8:9], v[6:7], off
	s_add_i32 s5, s5, -2
	s_cmp_lg_u32 s5, 0
	v_add_u32_e32 v4, 2, v4
	s_waitcnt vmcnt(0)
	v_div_scale_f32 v5, s[0:1], v1, v1, v9
	v_div_scale_f32 v11, s[0:1], v2, v2, v8
	v_rcp_f32_e32 v12, v5
	v_rcp_f32_e32 v13, v11
	v_div_scale_f32 v10, vcc, v9, v1, v9
	v_fma_f32 v15, -v5, v12, 1.0
	v_fma_f32 v16, -v11, v13, 1.0
	v_fmac_f32_e32 v12, v15, v12
	v_div_scale_f32 v14, s[0:1], v8, v2, v8
	v_fmac_f32_e32 v13, v16, v13
	v_mul_f32_e32 v15, v10, v12
	v_mul_f32_e32 v16, v14, v13
	v_fma_f32 v17, -v5, v15, v10
	v_fma_f32 v18, -v11, v16, v14
	v_fmac_f32_e32 v15, v17, v12
	v_fmac_f32_e32 v16, v18, v13
	v_fma_f32 v5, -v5, v15, v10
	v_fma_f32 v10, -v11, v16, v14
	v_div_fmas_f32 v5, v5, v12, v15
	s_mov_b64 vcc, s[0:1]
	v_div_fixup_f32 v9, v5, v1, v9
	v_div_fmas_f32 v5, v10, v13, v16
	v_div_fixup_f32 v8, v5, v2, v8
	global_store_dwordx2 v[6:7], v[8:9], off
	s_cbranch_scc1 .LBB149_12
; %bb.13:
	s_cmp_lg_u32 s4, s8
	s_cselect_b64 s[0:1], -1, 0
.LBB149_14:
	s_and_b64 vcc, exec, s[0:1]
	s_cbranch_vccz .LBB149_17
; %bb.15:
	v_ashrrev_i32_e32 v1, 31, v0
	v_add_co_u32_e32 v0, vcc, s4, v0
	v_addc_co_u32_e32 v1, vcc, 0, v1, vcc
	v_lshlrev_b64 v[0:1], 2, v[0:1]
	v_mov_b32_e32 v3, s3
	v_add_co_u32_e32 v0, vcc, s2, v0
	s_sub_i32 s0, s8, s4
	v_addc_co_u32_e32 v1, vcc, v3, v1, vcc
.LBB149_16:                             ; =>This Inner Loop Header: Depth=1
	global_load_dword v3, v[0:1], off
	s_add_i32 s0, s0, -1
	s_cmp_lg_u32 s0, 0
	s_waitcnt vmcnt(0)
	v_div_scale_f32 v4, s[2:3], v2, v2, v3
	v_rcp_f32_e32 v5, v4
	v_div_scale_f32 v6, vcc, v3, v2, v3
	v_fma_f32 v7, -v4, v5, 1.0
	v_fmac_f32_e32 v5, v7, v5
	v_mul_f32_e32 v7, v6, v5
	v_fma_f32 v8, -v4, v7, v6
	v_fmac_f32_e32 v7, v8, v5
	v_fma_f32 v4, -v4, v7, v6
	v_div_fmas_f32 v4, v4, v5, v7
	v_div_fixup_f32 v3, v4, v2, v3
	global_store_dword v[0:1], v3, off
	v_add_co_u32_e32 v0, vcc, 4, v0
	v_addc_co_u32_e32 v1, vcc, 0, v1, vcc
	s_cbranch_scc1 .LBB149_16
.LBB149_17:
	s_endpgm
	.section	.rodata,"a",@progbits
	.p2align	6, 0x0
	.amdhsa_kernel _ZN4vllm3moe10topkGatingILi1ELi1ELi4ELi2ELi32Ej14__hip_bfloat16LNS0_11ScoringFuncE0EEEvPKT5_PKbPfiPT4_PiiiibPKf
		.amdhsa_group_segment_fixed_size 0
		.amdhsa_private_segment_fixed_size 0
		.amdhsa_kernarg_size 72
		.amdhsa_user_sgpr_count 6
		.amdhsa_user_sgpr_private_segment_buffer 1
		.amdhsa_user_sgpr_dispatch_ptr 0
		.amdhsa_user_sgpr_queue_ptr 0
		.amdhsa_user_sgpr_kernarg_segment_ptr 1
		.amdhsa_user_sgpr_dispatch_id 0
		.amdhsa_user_sgpr_flat_scratch_init 0
		.amdhsa_user_sgpr_kernarg_preload_length 0
		.amdhsa_user_sgpr_kernarg_preload_offset 0
		.amdhsa_user_sgpr_private_segment_size 0
		.amdhsa_uses_dynamic_stack 0
		.amdhsa_system_sgpr_private_segment_wavefront_offset 0
		.amdhsa_system_sgpr_workgroup_id_x 1
		.amdhsa_system_sgpr_workgroup_id_y 0
		.amdhsa_system_sgpr_workgroup_id_z 0
		.amdhsa_system_sgpr_workgroup_info 0
		.amdhsa_system_vgpr_workitem_id 1
		.amdhsa_next_free_vgpr 19
		.amdhsa_next_free_sgpr 23
		.amdhsa_accum_offset 20
		.amdhsa_reserve_vcc 1
		.amdhsa_reserve_flat_scratch 0
		.amdhsa_float_round_mode_32 0
		.amdhsa_float_round_mode_16_64 0
		.amdhsa_float_denorm_mode_32 3
		.amdhsa_float_denorm_mode_16_64 3
		.amdhsa_dx10_clamp 1
		.amdhsa_ieee_mode 1
		.amdhsa_fp16_overflow 0
		.amdhsa_tg_split 0
		.amdhsa_exception_fp_ieee_invalid_op 0
		.amdhsa_exception_fp_denorm_src 0
		.amdhsa_exception_fp_ieee_div_zero 0
		.amdhsa_exception_fp_ieee_overflow 0
		.amdhsa_exception_fp_ieee_underflow 0
		.amdhsa_exception_fp_ieee_inexact 0
		.amdhsa_exception_int_div_zero 0
	.end_amdhsa_kernel
	.section	.text._ZN4vllm3moe10topkGatingILi1ELi1ELi4ELi2ELi32Ej14__hip_bfloat16LNS0_11ScoringFuncE0EEEvPKT5_PKbPfiPT4_PiiiibPKf,"axG",@progbits,_ZN4vllm3moe10topkGatingILi1ELi1ELi4ELi2ELi32Ej14__hip_bfloat16LNS0_11ScoringFuncE0EEEvPKT5_PKbPfiPT4_PiiiibPKf,comdat
.Lfunc_end149:
	.size	_ZN4vllm3moe10topkGatingILi1ELi1ELi4ELi2ELi32Ej14__hip_bfloat16LNS0_11ScoringFuncE0EEEvPKT5_PKbPfiPT4_PiiiibPKf, .Lfunc_end149-_ZN4vllm3moe10topkGatingILi1ELi1ELi4ELi2ELi32Ej14__hip_bfloat16LNS0_11ScoringFuncE0EEEvPKT5_PKbPfiPT4_PiiiibPKf
                                        ; -- End function
	.section	.AMDGPU.csdata,"",@progbits
; Kernel info:
; codeLenInByte = 1056
; NumSgprs: 27
; NumVgprs: 19
; NumAgprs: 0
; TotalNumVgprs: 19
; ScratchSize: 0
; MemoryBound: 0
; FloatMode: 240
; IeeeMode: 1
; LDSByteSize: 0 bytes/workgroup (compile time only)
; SGPRBlocks: 3
; VGPRBlocks: 2
; NumSGPRsForWavesPerEU: 27
; NumVGPRsForWavesPerEU: 19
; AccumOffset: 20
; Occupancy: 8
; WaveLimiterHint : 0
; COMPUTE_PGM_RSRC2:SCRATCH_EN: 0
; COMPUTE_PGM_RSRC2:USER_SGPR: 6
; COMPUTE_PGM_RSRC2:TRAP_HANDLER: 0
; COMPUTE_PGM_RSRC2:TGID_X_EN: 1
; COMPUTE_PGM_RSRC2:TGID_Y_EN: 0
; COMPUTE_PGM_RSRC2:TGID_Z_EN: 0
; COMPUTE_PGM_RSRC2:TIDIG_COMP_CNT: 1
; COMPUTE_PGM_RSRC3_GFX90A:ACCUM_OFFSET: 4
; COMPUTE_PGM_RSRC3_GFX90A:TG_SPLIT: 0
	.section	.text._ZN4vllm3moe10topkGatingILi2ELi2ELi4ELi4ELi64Ej14__hip_bfloat16LNS0_11ScoringFuncE0EEEvPKT5_PKbPfiPT4_PiiiibPKf,"axG",@progbits,_ZN4vllm3moe10topkGatingILi2ELi2ELi4ELi4ELi64Ej14__hip_bfloat16LNS0_11ScoringFuncE0EEEvPKT5_PKbPfiPT4_PiiiibPKf,comdat
	.protected	_ZN4vllm3moe10topkGatingILi2ELi2ELi4ELi4ELi64Ej14__hip_bfloat16LNS0_11ScoringFuncE0EEEvPKT5_PKbPfiPT4_PiiiibPKf ; -- Begin function _ZN4vllm3moe10topkGatingILi2ELi2ELi4ELi4ELi64Ej14__hip_bfloat16LNS0_11ScoringFuncE0EEEvPKT5_PKbPfiPT4_PiiiibPKf
	.globl	_ZN4vllm3moe10topkGatingILi2ELi2ELi4ELi4ELi64Ej14__hip_bfloat16LNS0_11ScoringFuncE0EEEvPKT5_PKbPfiPT4_PiiiibPKf
	.p2align	8
	.type	_ZN4vllm3moe10topkGatingILi2ELi2ELi4ELi4ELi64Ej14__hip_bfloat16LNS0_11ScoringFuncE0EEEvPKT5_PKbPfiPT4_PiiiibPKf,@function
_ZN4vllm3moe10topkGatingILi2ELi2ELi4ELi4ELi64Ej14__hip_bfloat16LNS0_11ScoringFuncE0EEEvPKT5_PKbPfiPT4_PiiiibPKf: ; @_ZN4vllm3moe10topkGatingILi2ELi2ELi4ELi4ELi64Ej14__hip_bfloat16LNS0_11ScoringFuncE0EEEvPKT5_PKbPfiPT4_PiiiibPKf
; %bb.0:
	s_load_dword s16, s[4:5], 0x18
	v_bfe_u32 v1, v0, 10, 10
	s_lshl_b32 s0, s6, 8
	v_lshlrev_b32_e32 v1, 6, v1
	v_and_b32_e32 v0, 0x3ff, v0
	v_add3_u32 v10, v1, v0, s0
	s_waitcnt lgkmcnt(0)
	v_cmp_gt_i32_e32 vcc, s16, v10
	s_and_saveexec_b64 s[0:1], vcc
	s_cbranch_execz .LBB150_19
; %bb.1:
	s_load_dwordx4 s[0:3], s[4:5], 0x0
	s_load_dwordx2 s[6:7], s[4:5], 0x10
	s_waitcnt lgkmcnt(0)
	s_cmp_eq_u64 s[2:3], 0
	s_cbranch_scc1 .LBB150_3
; %bb.2:
	v_ashrrev_i32_e32 v1, 31, v10
	v_mov_b32_e32 v2, s3
	v_add_co_u32_e32 v0, vcc, s2, v10
	v_addc_co_u32_e32 v1, vcc, v2, v1, vcc
	global_load_ubyte v0, v[0:1], off
	s_waitcnt vmcnt(0)
	v_and_b32_e32 v0, 1, v0
	v_cmp_eq_u32_e32 vcc, 1, v0
	s_xor_b64 s[2:3], vcc, -1
	s_orn2_b64 s[12:13], s[2:3], exec
	s_branch .LBB150_4
.LBB150_3:
	s_mov_b64 s[12:13], -1
.LBB150_4:
	v_lshlrev_b32_e32 v0, 1, v10
	v_ashrrev_i32_e32 v1, 31, v0
	v_lshlrev_b64 v[0:1], 1, v[0:1]
	v_mov_b32_e32 v2, s1
	v_add_co_u32_e32 v0, vcc, s0, v0
	v_addc_co_u32_e32 v1, vcc, v2, v1, vcc
	global_load_dword v0, v[0:1], off
	s_mov_b32 s2, 0x3fb8aa3b
	s_mov_b32 s3, 0xc2ce8ed0
	;; [unrolled: 1-line block ×3, first 2 shown]
	s_load_dwordx2 s[0:1], s[4:5], 0x40
	s_mov_b32 s9, 0x7f800000
	s_waitcnt lgkmcnt(0)
	s_cmp_eq_u64 s[0:1], 0
	s_waitcnt vmcnt(0)
	v_and_b32_e32 v1, 0xffff0000, v0
	v_lshlrev_b32_e32 v0, 16, v0
	v_max_f32_e32 v2, v1, v1
	v_max_f32_e32 v3, v0, v0
	;; [unrolled: 1-line block ×3, first 2 shown]
	v_pk_add_f32 v[0:1], v[0:1], v[2:3] op_sel_hi:[1,0] neg_lo:[0,1] neg_hi:[0,1]
	v_mul_f32_e32 v2, 0x3fb8aa3b, v1
	v_mul_f32_e32 v3, 0x3fb8aa3b, v0
	v_fma_f32 v4, v1, s2, -v2
	v_rndne_f32_e32 v5, v2
	v_fma_f32 v6, v0, s2, -v3
	v_rndne_f32_e32 v7, v3
	v_fmac_f32_e32 v4, 0x32a5705f, v1
	v_sub_f32_e32 v2, v2, v5
	v_fmac_f32_e32 v6, 0x32a5705f, v0
	v_sub_f32_e32 v3, v3, v7
	v_add_f32_e32 v2, v2, v4
	v_cvt_i32_f32_e32 v5, v5
	v_add_f32_e32 v3, v3, v6
	v_exp_f32_e32 v2, v2
	v_cvt_i32_f32_e32 v7, v7
	v_exp_f32_e32 v3, v3
	v_cmp_ngt_f32_e32 vcc, s3, v1
	v_ldexp_f32 v2, v2, v5
	v_cndmask_b32_e32 v2, 0, v2, vcc
	v_ldexp_f32 v3, v3, v7
	v_cmp_ngt_f32_e32 vcc, s3, v0
	v_mov_b32_e32 v4, 0x7f800000
	v_cndmask_b32_e32 v3, 0, v3, vcc
	v_cmp_nlt_f32_e32 vcc, s8, v1
	v_cndmask_b32_e32 v1, v4, v2, vcc
	v_cmp_nlt_f32_e32 vcc, s8, v0
	v_cndmask_b32_e32 v0, v4, v3, vcc
	v_add_f32_e32 v2, v0, v1
	v_div_scale_f32 v3, s[2:3], v2, v2, 1.0
	v_rcp_f32_e32 v4, v3
	v_div_scale_f32 v5, vcc, 1.0, v2, 1.0
	s_movk_i32 s2, 0x1f8
	v_fma_f32 v6, -v3, v4, 1.0
	v_fmac_f32_e32 v4, v6, v4
	v_mul_f32_e32 v6, v5, v4
	v_fma_f32 v7, -v3, v6, v5
	v_fmac_f32_e32 v6, v7, v4
	v_fma_f32 v3, -v3, v6, v5
	v_div_fmas_f32 v3, v3, v4, v6
	v_div_fixup_f32 v2, v3, v2, 1.0
	v_pk_mul_f32 v[0:1], v[2:3], v[0:1] op_sel_hi:[0,1]
	v_cmp_nlg_f32_e64 vcc, |v0|, s9
	v_cndmask_b32_e32 v1, v1, v1, vcc
	v_cndmask_b32_e64 v0, v0, 0, vcc
	v_cmp_class_f32_e64 vcc, v1, s2
	v_cndmask_b32_e32 v1, 0, v1, vcc
	v_pk_mov_b32 v[2:3], v[0:1], v[0:1] op_sel:[0,1]
	s_cbranch_scc1 .LBB150_6
; %bb.5:
	s_load_dwordx2 s[0:1], s[0:1], 0x0
	s_waitcnt lgkmcnt(0)
	v_pk_add_f32 v[2:3], v[0:1], s[0:1]
.LBB150_6:
	s_load_dwordx4 s[8:11], s[4:5], 0x30
	s_waitcnt lgkmcnt(0)
	s_bitcmp1_b32 s11, 0
	s_cselect_b64 vcc, -1, 0
	s_cmp_gt_i32 s8, 0
	s_cselect_b64 s[14:15], -1, 0
	s_cmp_lt_i32 s8, 1
	s_cbranch_scc1 .LBB150_10
; %bb.7:
	s_load_dwordx4 s[20:23], s[4:5], 0x20
	v_mul_lo_u32 v4, v10, s8
	v_ashrrev_i32_e32 v5, 31, v4
	v_lshlrev_b64 v[8:9], 2, v[4:5]
	v_mov_b32_e32 v5, s7
	v_add_co_u32_e64 v4, s[0:1], s6, v8
	v_addc_co_u32_e64 v5, s[0:1], v5, v9, s[0:1]
	s_waitcnt lgkmcnt(0)
	v_mov_b32_e32 v7, s21
	v_add_co_u32_e64 v6, s[0:1], s20, v8
	v_addc_co_u32_e64 v7, s[0:1], v7, v9, s[0:1]
	v_mov_b32_e32 v11, s23
	v_add_co_u32_e64 v8, s[0:1], s22, v8
	v_addc_co_u32_e64 v9, s[0:1], v11, v9, s[0:1]
	s_mov_b32 s11, 0
	v_mov_b32_e32 v11, 0
	v_mov_b32_e32 v12, 0xc61c4000
	;; [unrolled: 1-line block ×3, first 2 shown]
.LBB150_8:                              ; =>This Inner Loop Header: Depth=1
	v_cmp_gt_f32_e64 s[0:1], v3, v2
	v_cndmask_b32_e64 v15, 0, 1, s[0:1]
	v_cmp_le_i32_e64 s[2:3], s9, v15
	v_cmp_gt_i32_e64 s[4:5], s10, v15
	s_and_b64 s[2:3], s[2:3], s[4:5]
	v_cndmask_b32_e64 v14, v0, v1, s[0:1]
	v_subrev_u32_e32 v15, s9, v15
	s_and_b64 s[2:3], s[12:13], s[2:3]
	s_add_i32 s11, s11, 1
	global_store_dword v[4:5], v14, off
	v_cndmask_b32_e64 v15, 2, v15, s[2:3]
	v_add_f32_e32 v14, v11, v14
	s_cmp_lt_i32 s11, s8
	global_store_dword v[6:7], v15, off
	global_store_dword v[8:9], v13, off
	v_cndmask_b32_e32 v11, v11, v14, vcc
	v_cndmask_b32_e64 v14, v12, v2, s[0:1]
	v_cndmask_b32_e64 v15, v3, v12, s[0:1]
	s_cselect_b64 s[0:1], -1, 0
	v_cndmask_b32_e64 v3, v3, v15, s[0:1]
	v_cndmask_b32_e64 v2, v2, v14, s[0:1]
	v_add_co_u32_e64 v4, s[0:1], 4, v4
	v_addc_co_u32_e64 v5, s[0:1], 0, v5, s[0:1]
	v_add_co_u32_e64 v6, s[0:1], 4, v6
	v_addc_co_u32_e64 v7, s[0:1], 0, v7, s[0:1]
	v_add_co_u32_e64 v8, s[0:1], 4, v8
	v_add_u32_e32 v13, s16, v13
	s_cmp_eq_u32 s8, s11
	v_addc_co_u32_e64 v9, s[0:1], 0, v9, s[0:1]
	s_cbranch_scc0 .LBB150_8
; %bb.9:
	s_and_b64 vcc, exec, vcc
	s_cbranch_vccnz .LBB150_11
	s_branch .LBB150_19
.LBB150_10:
	v_mov_b32_e32 v11, 0
	s_and_b64 vcc, exec, vcc
	s_cbranch_vccz .LBB150_19
.LBB150_11:
	s_andn2_b64 vcc, exec, s[14:15]
	s_cbranch_vccnz .LBB150_19
; %bb.12:
	v_cmp_lt_f32_e32 vcc, 0, v11
	s_mov_b32 s2, 0
	v_cndmask_b32_e32 v0, 1.0, v11, vcc
	v_mul_lo_u32 v4, v10, s8
	s_cmp_eq_u32 s8, 1
	s_mov_b64 s[0:1], -1
	s_cbranch_scc1 .LBB150_16
; %bb.13:
	s_and_b32 s2, s8, 0x7ffffffe
	v_mov_b32_e32 v1, v0
	v_mov_b32_e32 v5, s7
	s_mov_b32 s3, s2
	v_mov_b32_e32 v2, v4
.LBB150_14:                             ; =>This Inner Loop Header: Depth=1
	v_ashrrev_i32_e32 v3, 31, v2
	v_lshlrev_b64 v[6:7], 2, v[2:3]
	v_add_co_u32_e32 v6, vcc, s6, v6
	v_addc_co_u32_e32 v7, vcc, v5, v7, vcc
	global_load_dwordx2 v[8:9], v[6:7], off
	s_add_i32 s3, s3, -2
	s_cmp_lg_u32 s3, 0
	v_add_u32_e32 v2, 2, v2
	s_waitcnt vmcnt(0)
	v_div_scale_f32 v3, s[0:1], v1, v1, v9
	v_div_scale_f32 v11, s[0:1], v0, v0, v8
	v_rcp_f32_e32 v12, v3
	v_rcp_f32_e32 v13, v11
	v_div_scale_f32 v10, vcc, v9, v1, v9
	v_fma_f32 v15, -v3, v12, 1.0
	v_fma_f32 v16, -v11, v13, 1.0
	v_fmac_f32_e32 v12, v15, v12
	v_div_scale_f32 v14, s[0:1], v8, v0, v8
	v_fmac_f32_e32 v13, v16, v13
	v_mul_f32_e32 v15, v10, v12
	v_mul_f32_e32 v16, v14, v13
	v_fma_f32 v17, -v3, v15, v10
	v_fma_f32 v18, -v11, v16, v14
	v_fmac_f32_e32 v15, v17, v12
	v_fmac_f32_e32 v16, v18, v13
	v_fma_f32 v3, -v3, v15, v10
	v_fma_f32 v10, -v11, v16, v14
	v_div_fmas_f32 v3, v3, v12, v15
	s_mov_b64 vcc, s[0:1]
	v_div_fixup_f32 v9, v3, v1, v9
	v_div_fmas_f32 v3, v10, v13, v16
	v_div_fixup_f32 v8, v3, v0, v8
	global_store_dwordx2 v[6:7], v[8:9], off
	s_cbranch_scc1 .LBB150_14
; %bb.15:
	s_cmp_lg_u32 s2, s8
	s_cselect_b64 s[0:1], -1, 0
.LBB150_16:
	s_and_b64 vcc, exec, s[0:1]
	s_cbranch_vccz .LBB150_19
; %bb.17:
	v_ashrrev_i32_e32 v1, 31, v4
	v_add_co_u32_e32 v2, vcc, s2, v4
	v_addc_co_u32_e32 v3, vcc, 0, v1, vcc
	v_lshlrev_b64 v[2:3], 2, v[2:3]
	v_mov_b32_e32 v1, s7
	v_add_co_u32_e32 v2, vcc, s6, v2
	s_sub_i32 s0, s8, s2
	v_addc_co_u32_e32 v3, vcc, v1, v3, vcc
.LBB150_18:                             ; =>This Inner Loop Header: Depth=1
	global_load_dword v1, v[2:3], off
	s_add_i32 s0, s0, -1
	s_cmp_lg_u32 s0, 0
	s_waitcnt vmcnt(0)
	v_div_scale_f32 v4, s[2:3], v0, v0, v1
	v_rcp_f32_e32 v5, v4
	v_div_scale_f32 v6, vcc, v1, v0, v1
	v_fma_f32 v7, -v4, v5, 1.0
	v_fmac_f32_e32 v5, v7, v5
	v_mul_f32_e32 v7, v6, v5
	v_fma_f32 v8, -v4, v7, v6
	v_fmac_f32_e32 v7, v8, v5
	v_fma_f32 v4, -v4, v7, v6
	v_div_fmas_f32 v4, v4, v5, v7
	v_div_fixup_f32 v1, v4, v0, v1
	global_store_dword v[2:3], v1, off
	v_add_co_u32_e32 v2, vcc, 4, v2
	v_addc_co_u32_e32 v3, vcc, 0, v3, vcc
	s_cbranch_scc1 .LBB150_18
.LBB150_19:
	s_endpgm
	.section	.rodata,"a",@progbits
	.p2align	6, 0x0
	.amdhsa_kernel _ZN4vllm3moe10topkGatingILi2ELi2ELi4ELi4ELi64Ej14__hip_bfloat16LNS0_11ScoringFuncE0EEEvPKT5_PKbPfiPT4_PiiiibPKf
		.amdhsa_group_segment_fixed_size 0
		.amdhsa_private_segment_fixed_size 0
		.amdhsa_kernarg_size 72
		.amdhsa_user_sgpr_count 6
		.amdhsa_user_sgpr_private_segment_buffer 1
		.amdhsa_user_sgpr_dispatch_ptr 0
		.amdhsa_user_sgpr_queue_ptr 0
		.amdhsa_user_sgpr_kernarg_segment_ptr 1
		.amdhsa_user_sgpr_dispatch_id 0
		.amdhsa_user_sgpr_flat_scratch_init 0
		.amdhsa_user_sgpr_kernarg_preload_length 0
		.amdhsa_user_sgpr_kernarg_preload_offset 0
		.amdhsa_user_sgpr_private_segment_size 0
		.amdhsa_uses_dynamic_stack 0
		.amdhsa_system_sgpr_private_segment_wavefront_offset 0
		.amdhsa_system_sgpr_workgroup_id_x 1
		.amdhsa_system_sgpr_workgroup_id_y 0
		.amdhsa_system_sgpr_workgroup_id_z 0
		.amdhsa_system_sgpr_workgroup_info 0
		.amdhsa_system_vgpr_workitem_id 1
		.amdhsa_next_free_vgpr 19
		.amdhsa_next_free_sgpr 24
		.amdhsa_accum_offset 20
		.amdhsa_reserve_vcc 1
		.amdhsa_reserve_flat_scratch 0
		.amdhsa_float_round_mode_32 0
		.amdhsa_float_round_mode_16_64 0
		.amdhsa_float_denorm_mode_32 3
		.amdhsa_float_denorm_mode_16_64 3
		.amdhsa_dx10_clamp 1
		.amdhsa_ieee_mode 1
		.amdhsa_fp16_overflow 0
		.amdhsa_tg_split 0
		.amdhsa_exception_fp_ieee_invalid_op 0
		.amdhsa_exception_fp_denorm_src 0
		.amdhsa_exception_fp_ieee_div_zero 0
		.amdhsa_exception_fp_ieee_overflow 0
		.amdhsa_exception_fp_ieee_underflow 0
		.amdhsa_exception_fp_ieee_inexact 0
		.amdhsa_exception_int_div_zero 0
	.end_amdhsa_kernel
	.section	.text._ZN4vllm3moe10topkGatingILi2ELi2ELi4ELi4ELi64Ej14__hip_bfloat16LNS0_11ScoringFuncE0EEEvPKT5_PKbPfiPT4_PiiiibPKf,"axG",@progbits,_ZN4vllm3moe10topkGatingILi2ELi2ELi4ELi4ELi64Ej14__hip_bfloat16LNS0_11ScoringFuncE0EEEvPKT5_PKbPfiPT4_PiiiibPKf,comdat
.Lfunc_end150:
	.size	_ZN4vllm3moe10topkGatingILi2ELi2ELi4ELi4ELi64Ej14__hip_bfloat16LNS0_11ScoringFuncE0EEEvPKT5_PKbPfiPT4_PiiiibPKf, .Lfunc_end150-_ZN4vllm3moe10topkGatingILi2ELi2ELi4ELi4ELi64Ej14__hip_bfloat16LNS0_11ScoringFuncE0EEEvPKT5_PKbPfiPT4_PiiiibPKf
                                        ; -- End function
	.section	.AMDGPU.csdata,"",@progbits
; Kernel info:
; codeLenInByte = 1356
; NumSgprs: 28
; NumVgprs: 19
; NumAgprs: 0
; TotalNumVgprs: 19
; ScratchSize: 0
; MemoryBound: 1
; FloatMode: 240
; IeeeMode: 1
; LDSByteSize: 0 bytes/workgroup (compile time only)
; SGPRBlocks: 3
; VGPRBlocks: 2
; NumSGPRsForWavesPerEU: 28
; NumVGPRsForWavesPerEU: 19
; AccumOffset: 20
; Occupancy: 8
; WaveLimiterHint : 0
; COMPUTE_PGM_RSRC2:SCRATCH_EN: 0
; COMPUTE_PGM_RSRC2:USER_SGPR: 6
; COMPUTE_PGM_RSRC2:TRAP_HANDLER: 0
; COMPUTE_PGM_RSRC2:TGID_X_EN: 1
; COMPUTE_PGM_RSRC2:TGID_Y_EN: 0
; COMPUTE_PGM_RSRC2:TGID_Z_EN: 0
; COMPUTE_PGM_RSRC2:TIDIG_COMP_CNT: 1
; COMPUTE_PGM_RSRC3_GFX90A:ACCUM_OFFSET: 4
; COMPUTE_PGM_RSRC3_GFX90A:TG_SPLIT: 0
	.section	.text._ZN4vllm3moe10topkGatingILi2ELi2ELi4ELi4ELi32Ej14__hip_bfloat16LNS0_11ScoringFuncE0EEEvPKT5_PKbPfiPT4_PiiiibPKf,"axG",@progbits,_ZN4vllm3moe10topkGatingILi2ELi2ELi4ELi4ELi32Ej14__hip_bfloat16LNS0_11ScoringFuncE0EEEvPKT5_PKbPfiPT4_PiiiibPKf,comdat
	.protected	_ZN4vllm3moe10topkGatingILi2ELi2ELi4ELi4ELi32Ej14__hip_bfloat16LNS0_11ScoringFuncE0EEEvPKT5_PKbPfiPT4_PiiiibPKf ; -- Begin function _ZN4vllm3moe10topkGatingILi2ELi2ELi4ELi4ELi32Ej14__hip_bfloat16LNS0_11ScoringFuncE0EEEvPKT5_PKbPfiPT4_PiiiibPKf
	.globl	_ZN4vllm3moe10topkGatingILi2ELi2ELi4ELi4ELi32Ej14__hip_bfloat16LNS0_11ScoringFuncE0EEEvPKT5_PKbPfiPT4_PiiiibPKf
	.p2align	8
	.type	_ZN4vllm3moe10topkGatingILi2ELi2ELi4ELi4ELi32Ej14__hip_bfloat16LNS0_11ScoringFuncE0EEEvPKT5_PKbPfiPT4_PiiiibPKf,@function
_ZN4vllm3moe10topkGatingILi2ELi2ELi4ELi4ELi32Ej14__hip_bfloat16LNS0_11ScoringFuncE0EEEvPKT5_PKbPfiPT4_PiiiibPKf: ; @_ZN4vllm3moe10topkGatingILi2ELi2ELi4ELi4ELi32Ej14__hip_bfloat16LNS0_11ScoringFuncE0EEEvPKT5_PKbPfiPT4_PiiiibPKf
; %bb.0:
	s_load_dword s16, s[4:5], 0x18
	v_bfe_u32 v1, v0, 10, 10
	s_lshl_b32 s0, s6, 7
	v_lshlrev_b32_e32 v1, 5, v1
	v_and_b32_e32 v0, 0x3ff, v0
	v_add3_u32 v10, v1, v0, s0
	s_waitcnt lgkmcnt(0)
	v_cmp_gt_i32_e32 vcc, s16, v10
	s_and_saveexec_b64 s[0:1], vcc
	s_cbranch_execz .LBB151_19
; %bb.1:
	s_load_dwordx4 s[0:3], s[4:5], 0x0
	s_load_dwordx2 s[6:7], s[4:5], 0x10
	s_waitcnt lgkmcnt(0)
	s_cmp_eq_u64 s[2:3], 0
	s_cbranch_scc1 .LBB151_3
; %bb.2:
	v_ashrrev_i32_e32 v1, 31, v10
	v_mov_b32_e32 v2, s3
	v_add_co_u32_e32 v0, vcc, s2, v10
	v_addc_co_u32_e32 v1, vcc, v2, v1, vcc
	global_load_ubyte v0, v[0:1], off
	s_waitcnt vmcnt(0)
	v_and_b32_e32 v0, 1, v0
	v_cmp_eq_u32_e32 vcc, 1, v0
	s_xor_b64 s[2:3], vcc, -1
	s_orn2_b64 s[12:13], s[2:3], exec
	s_branch .LBB151_4
.LBB151_3:
	s_mov_b64 s[12:13], -1
.LBB151_4:
	v_lshlrev_b32_e32 v0, 1, v10
	v_ashrrev_i32_e32 v1, 31, v0
	v_lshlrev_b64 v[0:1], 1, v[0:1]
	v_mov_b32_e32 v2, s1
	v_add_co_u32_e32 v0, vcc, s0, v0
	v_addc_co_u32_e32 v1, vcc, v2, v1, vcc
	global_load_dword v0, v[0:1], off
	s_mov_b32 s2, 0x3fb8aa3b
	s_mov_b32 s3, 0xc2ce8ed0
	;; [unrolled: 1-line block ×3, first 2 shown]
	s_load_dwordx2 s[0:1], s[4:5], 0x40
	s_mov_b32 s9, 0x7f800000
	s_waitcnt lgkmcnt(0)
	s_cmp_eq_u64 s[0:1], 0
	s_waitcnt vmcnt(0)
	v_and_b32_e32 v1, 0xffff0000, v0
	v_lshlrev_b32_e32 v0, 16, v0
	v_max_f32_e32 v2, v1, v1
	v_max_f32_e32 v3, v0, v0
	;; [unrolled: 1-line block ×3, first 2 shown]
	v_pk_add_f32 v[0:1], v[0:1], v[2:3] op_sel_hi:[1,0] neg_lo:[0,1] neg_hi:[0,1]
	v_mul_f32_e32 v2, 0x3fb8aa3b, v1
	v_mul_f32_e32 v3, 0x3fb8aa3b, v0
	v_fma_f32 v4, v1, s2, -v2
	v_rndne_f32_e32 v5, v2
	v_fma_f32 v6, v0, s2, -v3
	v_rndne_f32_e32 v7, v3
	v_fmac_f32_e32 v4, 0x32a5705f, v1
	v_sub_f32_e32 v2, v2, v5
	v_fmac_f32_e32 v6, 0x32a5705f, v0
	v_sub_f32_e32 v3, v3, v7
	v_add_f32_e32 v2, v2, v4
	v_cvt_i32_f32_e32 v5, v5
	v_add_f32_e32 v3, v3, v6
	v_exp_f32_e32 v2, v2
	v_cvt_i32_f32_e32 v7, v7
	v_exp_f32_e32 v3, v3
	v_cmp_ngt_f32_e32 vcc, s3, v1
	v_ldexp_f32 v2, v2, v5
	v_cndmask_b32_e32 v2, 0, v2, vcc
	v_ldexp_f32 v3, v3, v7
	v_cmp_ngt_f32_e32 vcc, s3, v0
	v_mov_b32_e32 v4, 0x7f800000
	v_cndmask_b32_e32 v3, 0, v3, vcc
	v_cmp_nlt_f32_e32 vcc, s8, v1
	v_cndmask_b32_e32 v1, v4, v2, vcc
	v_cmp_nlt_f32_e32 vcc, s8, v0
	v_cndmask_b32_e32 v0, v4, v3, vcc
	v_add_f32_e32 v2, v0, v1
	v_div_scale_f32 v3, s[2:3], v2, v2, 1.0
	v_rcp_f32_e32 v4, v3
	v_div_scale_f32 v5, vcc, 1.0, v2, 1.0
	s_movk_i32 s2, 0x1f8
	v_fma_f32 v6, -v3, v4, 1.0
	v_fmac_f32_e32 v4, v6, v4
	v_mul_f32_e32 v6, v5, v4
	v_fma_f32 v7, -v3, v6, v5
	v_fmac_f32_e32 v6, v7, v4
	v_fma_f32 v3, -v3, v6, v5
	v_div_fmas_f32 v3, v3, v4, v6
	v_div_fixup_f32 v2, v3, v2, 1.0
	v_pk_mul_f32 v[0:1], v[2:3], v[0:1] op_sel_hi:[0,1]
	v_cmp_nlg_f32_e64 vcc, |v0|, s9
	v_cndmask_b32_e32 v1, v1, v1, vcc
	v_cndmask_b32_e64 v0, v0, 0, vcc
	v_cmp_class_f32_e64 vcc, v1, s2
	v_cndmask_b32_e32 v1, 0, v1, vcc
	v_pk_mov_b32 v[2:3], v[0:1], v[0:1] op_sel:[0,1]
	s_cbranch_scc1 .LBB151_6
; %bb.5:
	s_load_dwordx2 s[0:1], s[0:1], 0x0
	s_waitcnt lgkmcnt(0)
	v_pk_add_f32 v[2:3], v[0:1], s[0:1]
.LBB151_6:
	s_load_dwordx4 s[8:11], s[4:5], 0x30
	s_waitcnt lgkmcnt(0)
	s_bitcmp1_b32 s11, 0
	s_cselect_b64 vcc, -1, 0
	s_cmp_gt_i32 s8, 0
	s_cselect_b64 s[14:15], -1, 0
	s_cmp_lt_i32 s8, 1
	s_cbranch_scc1 .LBB151_10
; %bb.7:
	s_load_dwordx4 s[20:23], s[4:5], 0x20
	v_mul_lo_u32 v4, v10, s8
	v_ashrrev_i32_e32 v5, 31, v4
	v_lshlrev_b64 v[8:9], 2, v[4:5]
	v_mov_b32_e32 v5, s7
	v_add_co_u32_e64 v4, s[0:1], s6, v8
	v_addc_co_u32_e64 v5, s[0:1], v5, v9, s[0:1]
	s_waitcnt lgkmcnt(0)
	v_mov_b32_e32 v7, s21
	v_add_co_u32_e64 v6, s[0:1], s20, v8
	v_addc_co_u32_e64 v7, s[0:1], v7, v9, s[0:1]
	v_mov_b32_e32 v11, s23
	v_add_co_u32_e64 v8, s[0:1], s22, v8
	v_addc_co_u32_e64 v9, s[0:1], v11, v9, s[0:1]
	s_mov_b32 s11, 0
	v_mov_b32_e32 v11, 0
	v_mov_b32_e32 v12, 0xc61c4000
	;; [unrolled: 1-line block ×3, first 2 shown]
.LBB151_8:                              ; =>This Inner Loop Header: Depth=1
	v_cmp_gt_f32_e64 s[0:1], v3, v2
	v_cndmask_b32_e64 v15, 0, 1, s[0:1]
	v_cmp_le_i32_e64 s[2:3], s9, v15
	v_cmp_gt_i32_e64 s[4:5], s10, v15
	s_and_b64 s[2:3], s[2:3], s[4:5]
	v_cndmask_b32_e64 v14, v0, v1, s[0:1]
	v_subrev_u32_e32 v15, s9, v15
	s_and_b64 s[2:3], s[12:13], s[2:3]
	s_add_i32 s11, s11, 1
	global_store_dword v[4:5], v14, off
	v_cndmask_b32_e64 v15, 2, v15, s[2:3]
	v_add_f32_e32 v14, v11, v14
	s_cmp_lt_i32 s11, s8
	global_store_dword v[6:7], v15, off
	global_store_dword v[8:9], v13, off
	v_cndmask_b32_e32 v11, v11, v14, vcc
	v_cndmask_b32_e64 v14, v12, v2, s[0:1]
	v_cndmask_b32_e64 v15, v3, v12, s[0:1]
	s_cselect_b64 s[0:1], -1, 0
	v_cndmask_b32_e64 v3, v3, v15, s[0:1]
	v_cndmask_b32_e64 v2, v2, v14, s[0:1]
	v_add_co_u32_e64 v4, s[0:1], 4, v4
	v_addc_co_u32_e64 v5, s[0:1], 0, v5, s[0:1]
	v_add_co_u32_e64 v6, s[0:1], 4, v6
	v_addc_co_u32_e64 v7, s[0:1], 0, v7, s[0:1]
	v_add_co_u32_e64 v8, s[0:1], 4, v8
	v_add_u32_e32 v13, s16, v13
	s_cmp_eq_u32 s8, s11
	v_addc_co_u32_e64 v9, s[0:1], 0, v9, s[0:1]
	s_cbranch_scc0 .LBB151_8
; %bb.9:
	s_and_b64 vcc, exec, vcc
	s_cbranch_vccnz .LBB151_11
	s_branch .LBB151_19
.LBB151_10:
	v_mov_b32_e32 v11, 0
	s_and_b64 vcc, exec, vcc
	s_cbranch_vccz .LBB151_19
.LBB151_11:
	s_andn2_b64 vcc, exec, s[14:15]
	s_cbranch_vccnz .LBB151_19
; %bb.12:
	v_cmp_lt_f32_e32 vcc, 0, v11
	s_mov_b32 s2, 0
	v_cndmask_b32_e32 v0, 1.0, v11, vcc
	v_mul_lo_u32 v4, v10, s8
	s_cmp_eq_u32 s8, 1
	s_mov_b64 s[0:1], -1
	s_cbranch_scc1 .LBB151_16
; %bb.13:
	s_and_b32 s2, s8, 0x7ffffffe
	v_mov_b32_e32 v1, v0
	v_mov_b32_e32 v5, s7
	s_mov_b32 s3, s2
	v_mov_b32_e32 v2, v4
.LBB151_14:                             ; =>This Inner Loop Header: Depth=1
	v_ashrrev_i32_e32 v3, 31, v2
	v_lshlrev_b64 v[6:7], 2, v[2:3]
	v_add_co_u32_e32 v6, vcc, s6, v6
	v_addc_co_u32_e32 v7, vcc, v5, v7, vcc
	global_load_dwordx2 v[8:9], v[6:7], off
	s_add_i32 s3, s3, -2
	s_cmp_lg_u32 s3, 0
	v_add_u32_e32 v2, 2, v2
	s_waitcnt vmcnt(0)
	v_div_scale_f32 v3, s[0:1], v1, v1, v9
	v_div_scale_f32 v11, s[0:1], v0, v0, v8
	v_rcp_f32_e32 v12, v3
	v_rcp_f32_e32 v13, v11
	v_div_scale_f32 v10, vcc, v9, v1, v9
	v_fma_f32 v15, -v3, v12, 1.0
	v_fma_f32 v16, -v11, v13, 1.0
	v_fmac_f32_e32 v12, v15, v12
	v_div_scale_f32 v14, s[0:1], v8, v0, v8
	v_fmac_f32_e32 v13, v16, v13
	v_mul_f32_e32 v15, v10, v12
	v_mul_f32_e32 v16, v14, v13
	v_fma_f32 v17, -v3, v15, v10
	v_fma_f32 v18, -v11, v16, v14
	v_fmac_f32_e32 v15, v17, v12
	v_fmac_f32_e32 v16, v18, v13
	v_fma_f32 v3, -v3, v15, v10
	v_fma_f32 v10, -v11, v16, v14
	v_div_fmas_f32 v3, v3, v12, v15
	s_mov_b64 vcc, s[0:1]
	v_div_fixup_f32 v9, v3, v1, v9
	v_div_fmas_f32 v3, v10, v13, v16
	v_div_fixup_f32 v8, v3, v0, v8
	global_store_dwordx2 v[6:7], v[8:9], off
	s_cbranch_scc1 .LBB151_14
; %bb.15:
	s_cmp_lg_u32 s2, s8
	s_cselect_b64 s[0:1], -1, 0
.LBB151_16:
	s_and_b64 vcc, exec, s[0:1]
	s_cbranch_vccz .LBB151_19
; %bb.17:
	v_ashrrev_i32_e32 v1, 31, v4
	v_add_co_u32_e32 v2, vcc, s2, v4
	v_addc_co_u32_e32 v3, vcc, 0, v1, vcc
	v_lshlrev_b64 v[2:3], 2, v[2:3]
	v_mov_b32_e32 v1, s7
	v_add_co_u32_e32 v2, vcc, s6, v2
	s_sub_i32 s0, s8, s2
	v_addc_co_u32_e32 v3, vcc, v1, v3, vcc
.LBB151_18:                             ; =>This Inner Loop Header: Depth=1
	global_load_dword v1, v[2:3], off
	s_add_i32 s0, s0, -1
	s_cmp_lg_u32 s0, 0
	s_waitcnt vmcnt(0)
	v_div_scale_f32 v4, s[2:3], v0, v0, v1
	v_rcp_f32_e32 v5, v4
	v_div_scale_f32 v6, vcc, v1, v0, v1
	v_fma_f32 v7, -v4, v5, 1.0
	v_fmac_f32_e32 v5, v7, v5
	v_mul_f32_e32 v7, v6, v5
	v_fma_f32 v8, -v4, v7, v6
	v_fmac_f32_e32 v7, v8, v5
	v_fma_f32 v4, -v4, v7, v6
	v_div_fmas_f32 v4, v4, v5, v7
	v_div_fixup_f32 v1, v4, v0, v1
	global_store_dword v[2:3], v1, off
	v_add_co_u32_e32 v2, vcc, 4, v2
	v_addc_co_u32_e32 v3, vcc, 0, v3, vcc
	s_cbranch_scc1 .LBB151_18
.LBB151_19:
	s_endpgm
	.section	.rodata,"a",@progbits
	.p2align	6, 0x0
	.amdhsa_kernel _ZN4vllm3moe10topkGatingILi2ELi2ELi4ELi4ELi32Ej14__hip_bfloat16LNS0_11ScoringFuncE0EEEvPKT5_PKbPfiPT4_PiiiibPKf
		.amdhsa_group_segment_fixed_size 0
		.amdhsa_private_segment_fixed_size 0
		.amdhsa_kernarg_size 72
		.amdhsa_user_sgpr_count 6
		.amdhsa_user_sgpr_private_segment_buffer 1
		.amdhsa_user_sgpr_dispatch_ptr 0
		.amdhsa_user_sgpr_queue_ptr 0
		.amdhsa_user_sgpr_kernarg_segment_ptr 1
		.amdhsa_user_sgpr_dispatch_id 0
		.amdhsa_user_sgpr_flat_scratch_init 0
		.amdhsa_user_sgpr_kernarg_preload_length 0
		.amdhsa_user_sgpr_kernarg_preload_offset 0
		.amdhsa_user_sgpr_private_segment_size 0
		.amdhsa_uses_dynamic_stack 0
		.amdhsa_system_sgpr_private_segment_wavefront_offset 0
		.amdhsa_system_sgpr_workgroup_id_x 1
		.amdhsa_system_sgpr_workgroup_id_y 0
		.amdhsa_system_sgpr_workgroup_id_z 0
		.amdhsa_system_sgpr_workgroup_info 0
		.amdhsa_system_vgpr_workitem_id 1
		.amdhsa_next_free_vgpr 19
		.amdhsa_next_free_sgpr 24
		.amdhsa_accum_offset 20
		.amdhsa_reserve_vcc 1
		.amdhsa_reserve_flat_scratch 0
		.amdhsa_float_round_mode_32 0
		.amdhsa_float_round_mode_16_64 0
		.amdhsa_float_denorm_mode_32 3
		.amdhsa_float_denorm_mode_16_64 3
		.amdhsa_dx10_clamp 1
		.amdhsa_ieee_mode 1
		.amdhsa_fp16_overflow 0
		.amdhsa_tg_split 0
		.amdhsa_exception_fp_ieee_invalid_op 0
		.amdhsa_exception_fp_denorm_src 0
		.amdhsa_exception_fp_ieee_div_zero 0
		.amdhsa_exception_fp_ieee_overflow 0
		.amdhsa_exception_fp_ieee_underflow 0
		.amdhsa_exception_fp_ieee_inexact 0
		.amdhsa_exception_int_div_zero 0
	.end_amdhsa_kernel
	.section	.text._ZN4vllm3moe10topkGatingILi2ELi2ELi4ELi4ELi32Ej14__hip_bfloat16LNS0_11ScoringFuncE0EEEvPKT5_PKbPfiPT4_PiiiibPKf,"axG",@progbits,_ZN4vllm3moe10topkGatingILi2ELi2ELi4ELi4ELi32Ej14__hip_bfloat16LNS0_11ScoringFuncE0EEEvPKT5_PKbPfiPT4_PiiiibPKf,comdat
.Lfunc_end151:
	.size	_ZN4vllm3moe10topkGatingILi2ELi2ELi4ELi4ELi32Ej14__hip_bfloat16LNS0_11ScoringFuncE0EEEvPKT5_PKbPfiPT4_PiiiibPKf, .Lfunc_end151-_ZN4vllm3moe10topkGatingILi2ELi2ELi4ELi4ELi32Ej14__hip_bfloat16LNS0_11ScoringFuncE0EEEvPKT5_PKbPfiPT4_PiiiibPKf
                                        ; -- End function
	.section	.AMDGPU.csdata,"",@progbits
; Kernel info:
; codeLenInByte = 1356
; NumSgprs: 28
; NumVgprs: 19
; NumAgprs: 0
; TotalNumVgprs: 19
; ScratchSize: 0
; MemoryBound: 1
; FloatMode: 240
; IeeeMode: 1
; LDSByteSize: 0 bytes/workgroup (compile time only)
; SGPRBlocks: 3
; VGPRBlocks: 2
; NumSGPRsForWavesPerEU: 28
; NumVGPRsForWavesPerEU: 19
; AccumOffset: 20
; Occupancy: 8
; WaveLimiterHint : 0
; COMPUTE_PGM_RSRC2:SCRATCH_EN: 0
; COMPUTE_PGM_RSRC2:USER_SGPR: 6
; COMPUTE_PGM_RSRC2:TRAP_HANDLER: 0
; COMPUTE_PGM_RSRC2:TGID_X_EN: 1
; COMPUTE_PGM_RSRC2:TGID_Y_EN: 0
; COMPUTE_PGM_RSRC2:TGID_Z_EN: 0
; COMPUTE_PGM_RSRC2:TIDIG_COMP_CNT: 1
; COMPUTE_PGM_RSRC3_GFX90A:ACCUM_OFFSET: 4
; COMPUTE_PGM_RSRC3_GFX90A:TG_SPLIT: 0
	.section	.text._ZN4vllm3moe10topkGatingILi4ELi4ELi4ELi8ELi64Ej14__hip_bfloat16LNS0_11ScoringFuncE0EEEvPKT5_PKbPfiPT4_PiiiibPKf,"axG",@progbits,_ZN4vllm3moe10topkGatingILi4ELi4ELi4ELi8ELi64Ej14__hip_bfloat16LNS0_11ScoringFuncE0EEEvPKT5_PKbPfiPT4_PiiiibPKf,comdat
	.protected	_ZN4vllm3moe10topkGatingILi4ELi4ELi4ELi8ELi64Ej14__hip_bfloat16LNS0_11ScoringFuncE0EEEvPKT5_PKbPfiPT4_PiiiibPKf ; -- Begin function _ZN4vllm3moe10topkGatingILi4ELi4ELi4ELi8ELi64Ej14__hip_bfloat16LNS0_11ScoringFuncE0EEEvPKT5_PKbPfiPT4_PiiiibPKf
	.globl	_ZN4vllm3moe10topkGatingILi4ELi4ELi4ELi8ELi64Ej14__hip_bfloat16LNS0_11ScoringFuncE0EEEvPKT5_PKbPfiPT4_PiiiibPKf
	.p2align	8
	.type	_ZN4vllm3moe10topkGatingILi4ELi4ELi4ELi8ELi64Ej14__hip_bfloat16LNS0_11ScoringFuncE0EEEvPKT5_PKbPfiPT4_PiiiibPKf,@function
_ZN4vllm3moe10topkGatingILi4ELi4ELi4ELi8ELi64Ej14__hip_bfloat16LNS0_11ScoringFuncE0EEEvPKT5_PKbPfiPT4_PiiiibPKf: ; @_ZN4vllm3moe10topkGatingILi4ELi4ELi4ELi8ELi64Ej14__hip_bfloat16LNS0_11ScoringFuncE0EEEvPKT5_PKbPfiPT4_PiiiibPKf
; %bb.0:
	s_load_dword s16, s[4:5], 0x18
	v_bfe_u32 v1, v0, 10, 10
	s_lshl_b32 s0, s6, 8
	v_lshlrev_b32_e32 v1, 6, v1
	v_and_b32_e32 v0, 0x3ff, v0
	v_add3_u32 v14, v1, v0, s0
	s_waitcnt lgkmcnt(0)
	v_cmp_gt_i32_e32 vcc, s16, v14
	s_and_saveexec_b64 s[0:1], vcc
	s_cbranch_execz .LBB152_20
; %bb.1:
	s_load_dwordx4 s[0:3], s[4:5], 0x0
	s_load_dwordx2 s[6:7], s[4:5], 0x10
	s_mov_b64 s[8:9], -1
	s_mov_b64 s[12:13], -1
	s_waitcnt lgkmcnt(0)
	s_cmp_eq_u64 s[2:3], 0
	s_cbranch_scc1 .LBB152_3
; %bb.2:
	v_ashrrev_i32_e32 v1, 31, v14
	v_mov_b32_e32 v2, s3
	v_add_co_u32_e32 v0, vcc, s2, v14
	v_addc_co_u32_e32 v1, vcc, v2, v1, vcc
	global_load_ubyte v0, v[0:1], off
	s_waitcnt vmcnt(0)
	v_and_b32_e32 v0, 1, v0
	v_cmp_eq_u32_e32 vcc, 1, v0
	s_xor_b64 s[2:3], vcc, -1
	s_orn2_b64 s[12:13], s[2:3], exec
.LBB152_3:
	v_lshlrev_b32_e32 v0, 2, v14
	v_ashrrev_i32_e32 v1, 31, v0
	v_lshlrev_b64 v[0:1], 1, v[0:1]
	v_mov_b32_e32 v2, s1
	v_add_co_u32_e32 v0, vcc, s0, v0
	v_addc_co_u32_e32 v1, vcc, v2, v1, vcc
	global_load_dwordx2 v[0:1], v[0:1], off
	v_mov_b32_e32 v5, 0x7f800000
	s_mov_b32 s2, 0x3fb8aa3b
	s_mov_b32 s3, 0xc2ce8ed0
	;; [unrolled: 1-line block ×3, first 2 shown]
	s_load_dwordx2 s[0:1], s[4:5], 0x40
	v_mov_b32_e32 v6, 0x207
	s_waitcnt lgkmcnt(0)
	s_cmp_eq_u64 s[0:1], 0
	s_waitcnt vmcnt(0)
	v_lshlrev_b32_e32 v2, 16, v0
	v_and_b32_e32 v3, 0xffff0000, v0
	v_alignbit_b32 v0, v1, v0, 16
	v_max_f32_e32 v4, v3, v3
	v_max_f32_e32 v7, v2, v2
	v_and_b32_e32 v1, 0xffff0000, v1
	v_and_b32_e32 v0, 0xffff0000, v0
	v_max_f32_e32 v4, v7, v4
	v_max3_f32 v4, v4, v0, v1
	v_pk_add_f32 v[2:3], v[2:3], v[4:5] op_sel_hi:[1,0] neg_lo:[0,1] neg_hi:[0,1]
	v_pk_add_f32 v[0:1], v[0:1], v[4:5] op_sel_hi:[1,0] neg_lo:[0,1] neg_hi:[0,1]
	v_mul_f32_e32 v4, 0x3fb8aa3b, v3
	v_mul_f32_e32 v7, 0x3fb8aa3b, v2
	v_fma_f32 v10, v3, s2, -v4
	v_rndne_f32_e32 v11, v4
	v_mul_f32_e32 v8, 0x3fb8aa3b, v1
	v_fma_f32 v12, v2, s2, -v7
	v_rndne_f32_e32 v13, v7
	v_fmac_f32_e32 v10, 0x32a5705f, v3
	v_sub_f32_e32 v4, v4, v11
	v_mul_f32_e32 v9, 0x3fb8aa3b, v0
	v_fma_f32 v15, v1, s2, -v8
	v_rndne_f32_e32 v16, v8
	v_fmac_f32_e32 v12, 0x32a5705f, v2
	v_sub_f32_e32 v7, v7, v13
	v_add_f32_e32 v4, v4, v10
	v_fma_f32 v17, v0, s2, -v9
	v_rndne_f32_e32 v18, v9
	v_cvt_i32_f32_e32 v11, v11
	v_fmac_f32_e32 v15, 0x32a5705f, v1
	v_sub_f32_e32 v8, v8, v16
	v_add_f32_e32 v7, v7, v12
	v_exp_f32_e32 v4, v4
	v_cvt_i32_f32_e32 v13, v13
	v_fmac_f32_e32 v17, 0x32a5705f, v0
	v_sub_f32_e32 v9, v9, v18
	v_add_f32_e32 v8, v8, v15
	v_exp_f32_e32 v7, v7
	v_cvt_i32_f32_e32 v16, v16
	v_add_f32_e32 v9, v9, v17
	v_exp_f32_e32 v8, v8
	v_cvt_i32_f32_e32 v18, v18
	v_exp_f32_e32 v9, v9
	v_ldexp_f32 v4, v4, v11
	v_cmp_ngt_f32_e32 vcc, s3, v3
	v_ldexp_f32 v7, v7, v13
	v_cndmask_b32_e32 v4, 0, v4, vcc
	v_cmp_ngt_f32_e32 vcc, s3, v2
	v_ldexp_f32 v8, v8, v16
	v_cndmask_b32_e32 v7, 0, v7, vcc
	;; [unrolled: 3-line block ×3, first 2 shown]
	v_cmp_ngt_f32_e32 vcc, s3, v0
	v_cndmask_b32_e32 v9, 0, v9, vcc
	v_cmp_nlt_f32_e32 vcc, s10, v3
	v_cndmask_b32_e32 v3, v5, v4, vcc
	v_cmp_nlt_f32_e32 vcc, s10, v2
	;; [unrolled: 2-line block ×4, first 2 shown]
	v_cndmask_b32_e32 v0, v5, v9, vcc
	v_add_f32_e32 v4, v2, v3
	v_add_f32_e32 v4, v4, v0
	;; [unrolled: 1-line block ×3, first 2 shown]
	v_div_scale_f32 v5, s[2:3], v4, v4, 1.0
	v_rcp_f32_e32 v7, v5
	v_div_scale_f32 v8, vcc, 1.0, v4, 1.0
	v_fma_f32 v9, -v5, v7, 1.0
	v_fmac_f32_e32 v7, v9, v7
	v_mul_f32_e32 v9, v8, v7
	v_fma_f32 v10, -v5, v9, v8
	v_fmac_f32_e32 v9, v10, v7
	v_fma_f32 v5, -v5, v9, v8
	v_div_fmas_f32 v5, v5, v7, v9
	v_div_fixup_f32 v4, v5, v4, 1.0
	v_pk_mul_f32 v[2:3], v[4:5], v[2:3] op_sel_hi:[0,1]
	v_cmp_class_f32_e32 vcc, v3, v6
	v_pk_mul_f32 v[4:5], v[4:5], v[0:1] op_sel_hi:[0,1]
	v_cndmask_b32_e64 v1, v3, 0, vcc
	v_cmp_class_f32_e32 vcc, v2, v6
	v_cndmask_b32_e64 v0, v2, 0, vcc
	v_cmp_class_f32_e32 vcc, v5, v6
	;; [unrolled: 2-line block ×3, first 2 shown]
	v_cndmask_b32_e64 v2, v4, 0, vcc
	s_cbranch_scc1 .LBB152_10
; %bb.4:
	s_load_dwordx4 s[0:3], s[0:1], 0x0
	s_waitcnt lgkmcnt(0)
	v_pk_add_f32 v[4:5], s[0:1], v[0:1]
	v_pk_add_f32 v[6:7], s[2:3], v[2:3]
	s_cbranch_execnz .LBB152_6
.LBB152_5:
	v_pk_mov_b32 v[6:7], v[2:3], v[2:3] op_sel:[0,1]
	v_pk_mov_b32 v[4:5], v[0:1], v[0:1] op_sel:[0,1]
.LBB152_6:
	s_load_dwordx4 s[8:11], s[4:5], 0x30
	s_waitcnt lgkmcnt(0)
	s_bitcmp1_b32 s11, 0
	s_cselect_b64 vcc, -1, 0
	s_cmp_gt_i32 s8, 0
	s_cselect_b64 s[14:15], -1, 0
	s_cmp_lt_i32 s8, 1
	s_mov_b32 s11, 0
	s_cbranch_scc1 .LBB152_11
; %bb.7:
	s_load_dwordx4 s[20:23], s[4:5], 0x20
	v_mul_lo_u32 v8, v14, s8
	v_ashrrev_i32_e32 v9, 31, v8
	v_lshlrev_b64 v[12:13], 2, v[8:9]
	v_mov_b32_e32 v9, s7
	v_add_co_u32_e64 v8, s[0:1], s6, v12
	v_addc_co_u32_e64 v9, s[0:1], v9, v13, s[0:1]
	s_waitcnt lgkmcnt(0)
	v_mov_b32_e32 v11, s21
	v_add_co_u32_e64 v10, s[0:1], s20, v12
	v_addc_co_u32_e64 v11, s[0:1], v11, v13, s[0:1]
	v_mov_b32_e32 v15, s23
	v_add_co_u32_e64 v12, s[0:1], s22, v12
	v_addc_co_u32_e64 v13, s[0:1], v15, v13, s[0:1]
	v_mov_b32_e32 v15, 0
	v_mov_b32_e32 v16, 0xc61c4000
	;; [unrolled: 1-line block ×3, first 2 shown]
.LBB152_8:                              ; =>This Inner Loop Header: Depth=1
	v_cmp_gt_f32_e64 s[0:1], v5, v4
	v_cndmask_b32_e64 v18, v4, v5, s[0:1]
	v_cndmask_b32_e64 v19, v0, v1, s[0:1]
	;; [unrolled: 1-line block ×3, first 2 shown]
	v_cmp_gt_f32_e64 s[0:1], v6, v18
	v_cndmask_b32_e64 v18, v18, v6, s[0:1]
	v_cndmask_b32_e64 v19, v19, v2, s[0:1]
	;; [unrolled: 1-line block ×3, first 2 shown]
	v_cmp_gt_f32_e64 s[0:1], v7, v18
	v_cndmask_b32_e64 v18, v19, v3, s[0:1]
	v_cndmask_b32_e64 v19, v20, 3, s[0:1]
	v_cmp_le_i32_e64 s[0:1], s9, v19
	v_cmp_gt_i32_e64 s[2:3], s10, v19
	s_and_b64 s[0:1], s[0:1], s[2:3]
	v_subrev_u32_e32 v20, s9, v19
	s_and_b64 s[0:1], s[12:13], s[0:1]
	global_store_dword v[8:9], v18, off
	v_cndmask_b32_e64 v20, 4, v20, s[0:1]
	v_add_f32_e32 v18, v15, v18
	v_cmp_ne_u32_e64 s[0:1], 0, v19
	v_cndmask_b32_e32 v15, v15, v18, vcc
	v_cndmask_b32_e64 v18, v16, v4, s[0:1]
	v_cmp_ne_u32_e64 s[0:1], 1, v19
	global_store_dword v[10:11], v20, off
	global_store_dword v[12:13], v17, off
	s_add_i32 s11, s11, 1
	v_cndmask_b32_e64 v20, v16, v5, s[0:1]
	v_cmp_ne_u32_e64 s[0:1], 2, v19
	s_cmp_lt_i32 s11, s8
	v_cndmask_b32_e64 v21, v16, v6, s[0:1]
	v_cmp_ne_u32_e64 s[0:1], 3, v19
	v_cndmask_b32_e64 v19, v16, v7, s[0:1]
	s_cselect_b64 s[0:1], -1, 0
	v_cndmask_b32_e64 v7, v7, v19, s[0:1]
	v_cndmask_b32_e64 v6, v6, v21, s[0:1]
	;; [unrolled: 1-line block ×4, first 2 shown]
	v_add_co_u32_e64 v8, s[0:1], 4, v8
	v_addc_co_u32_e64 v9, s[0:1], 0, v9, s[0:1]
	v_add_co_u32_e64 v10, s[0:1], 4, v10
	v_addc_co_u32_e64 v11, s[0:1], 0, v11, s[0:1]
	v_add_co_u32_e64 v12, s[0:1], 4, v12
	v_add_u32_e32 v17, s16, v17
	s_cmp_eq_u32 s8, s11
	v_addc_co_u32_e64 v13, s[0:1], 0, v13, s[0:1]
	s_cbranch_scc0 .LBB152_8
; %bb.9:
	s_and_b64 vcc, exec, vcc
	s_cbranch_vccnz .LBB152_12
	s_branch .LBB152_20
.LBB152_10:
                                        ; implicit-def: $vgpr4_vgpr5_vgpr6_vgpr7
	s_andn2_b64 vcc, exec, s[8:9]
	s_cbranch_vccz .LBB152_5
	s_branch .LBB152_6
.LBB152_11:
	v_mov_b32_e32 v15, 0
	s_and_b64 vcc, exec, vcc
	s_cbranch_vccz .LBB152_20
.LBB152_12:
	s_andn2_b64 vcc, exec, s[14:15]
	s_cbranch_vccnz .LBB152_20
; %bb.13:
	v_cmp_lt_f32_e32 vcc, 0, v15
	s_mov_b32 s2, 0
	v_cndmask_b32_e32 v0, 1.0, v15, vcc
	v_mul_lo_u32 v4, v14, s8
	s_cmp_eq_u32 s8, 1
	s_mov_b64 s[0:1], -1
	s_cbranch_scc1 .LBB152_17
; %bb.14:
	s_and_b32 s2, s8, 0x7ffffffe
	v_mov_b32_e32 v1, v0
	v_mov_b32_e32 v5, s7
	s_mov_b32 s3, s2
	v_mov_b32_e32 v2, v4
.LBB152_15:                             ; =>This Inner Loop Header: Depth=1
	v_ashrrev_i32_e32 v3, 31, v2
	v_lshlrev_b64 v[6:7], 2, v[2:3]
	v_add_co_u32_e32 v6, vcc, s6, v6
	v_addc_co_u32_e32 v7, vcc, v5, v7, vcc
	global_load_dwordx2 v[8:9], v[6:7], off
	s_add_i32 s3, s3, -2
	s_cmp_lg_u32 s3, 0
	v_add_u32_e32 v2, 2, v2
	s_waitcnt vmcnt(0)
	v_div_scale_f32 v3, s[0:1], v1, v1, v9
	v_div_scale_f32 v11, s[0:1], v0, v0, v8
	v_rcp_f32_e32 v12, v3
	v_rcp_f32_e32 v13, v11
	v_div_scale_f32 v10, vcc, v9, v1, v9
	v_fma_f32 v15, -v3, v12, 1.0
	v_fma_f32 v16, -v11, v13, 1.0
	v_fmac_f32_e32 v12, v15, v12
	v_div_scale_f32 v14, s[0:1], v8, v0, v8
	v_fmac_f32_e32 v13, v16, v13
	v_mul_f32_e32 v15, v10, v12
	v_mul_f32_e32 v16, v14, v13
	v_fma_f32 v17, -v3, v15, v10
	v_fma_f32 v18, -v11, v16, v14
	v_fmac_f32_e32 v15, v17, v12
	v_fmac_f32_e32 v16, v18, v13
	v_fma_f32 v3, -v3, v15, v10
	v_fma_f32 v10, -v11, v16, v14
	v_div_fmas_f32 v3, v3, v12, v15
	s_mov_b64 vcc, s[0:1]
	v_div_fixup_f32 v9, v3, v1, v9
	v_div_fmas_f32 v3, v10, v13, v16
	v_div_fixup_f32 v8, v3, v0, v8
	global_store_dwordx2 v[6:7], v[8:9], off
	s_cbranch_scc1 .LBB152_15
; %bb.16:
	s_cmp_lg_u32 s2, s8
	s_cselect_b64 s[0:1], -1, 0
.LBB152_17:
	s_and_b64 vcc, exec, s[0:1]
	s_cbranch_vccz .LBB152_20
; %bb.18:
	v_ashrrev_i32_e32 v1, 31, v4
	v_add_co_u32_e32 v2, vcc, s2, v4
	v_addc_co_u32_e32 v3, vcc, 0, v1, vcc
	v_lshlrev_b64 v[2:3], 2, v[2:3]
	v_mov_b32_e32 v1, s7
	v_add_co_u32_e32 v2, vcc, s6, v2
	s_sub_i32 s0, s8, s2
	v_addc_co_u32_e32 v3, vcc, v1, v3, vcc
.LBB152_19:                             ; =>This Inner Loop Header: Depth=1
	global_load_dword v1, v[2:3], off
	s_add_i32 s0, s0, -1
	s_cmp_lg_u32 s0, 0
	s_waitcnt vmcnt(0)
	v_div_scale_f32 v4, s[2:3], v0, v0, v1
	v_rcp_f32_e32 v5, v4
	v_div_scale_f32 v6, vcc, v1, v0, v1
	v_fma_f32 v7, -v4, v5, 1.0
	v_fmac_f32_e32 v5, v7, v5
	v_mul_f32_e32 v7, v6, v5
	v_fma_f32 v8, -v4, v7, v6
	v_fmac_f32_e32 v7, v8, v5
	v_fma_f32 v4, -v4, v7, v6
	v_div_fmas_f32 v4, v4, v5, v7
	v_div_fixup_f32 v1, v4, v0, v1
	global_store_dword v[2:3], v1, off
	v_add_co_u32_e32 v2, vcc, 4, v2
	v_addc_co_u32_e32 v3, vcc, 0, v3, vcc
	s_cbranch_scc1 .LBB152_19
.LBB152_20:
	s_endpgm
	.section	.rodata,"a",@progbits
	.p2align	6, 0x0
	.amdhsa_kernel _ZN4vllm3moe10topkGatingILi4ELi4ELi4ELi8ELi64Ej14__hip_bfloat16LNS0_11ScoringFuncE0EEEvPKT5_PKbPfiPT4_PiiiibPKf
		.amdhsa_group_segment_fixed_size 0
		.amdhsa_private_segment_fixed_size 0
		.amdhsa_kernarg_size 72
		.amdhsa_user_sgpr_count 6
		.amdhsa_user_sgpr_private_segment_buffer 1
		.amdhsa_user_sgpr_dispatch_ptr 0
		.amdhsa_user_sgpr_queue_ptr 0
		.amdhsa_user_sgpr_kernarg_segment_ptr 1
		.amdhsa_user_sgpr_dispatch_id 0
		.amdhsa_user_sgpr_flat_scratch_init 0
		.amdhsa_user_sgpr_kernarg_preload_length 0
		.amdhsa_user_sgpr_kernarg_preload_offset 0
		.amdhsa_user_sgpr_private_segment_size 0
		.amdhsa_uses_dynamic_stack 0
		.amdhsa_system_sgpr_private_segment_wavefront_offset 0
		.amdhsa_system_sgpr_workgroup_id_x 1
		.amdhsa_system_sgpr_workgroup_id_y 0
		.amdhsa_system_sgpr_workgroup_id_z 0
		.amdhsa_system_sgpr_workgroup_info 0
		.amdhsa_system_vgpr_workitem_id 1
		.amdhsa_next_free_vgpr 22
		.amdhsa_next_free_sgpr 24
		.amdhsa_accum_offset 24
		.amdhsa_reserve_vcc 1
		.amdhsa_reserve_flat_scratch 0
		.amdhsa_float_round_mode_32 0
		.amdhsa_float_round_mode_16_64 0
		.amdhsa_float_denorm_mode_32 3
		.amdhsa_float_denorm_mode_16_64 3
		.amdhsa_dx10_clamp 1
		.amdhsa_ieee_mode 1
		.amdhsa_fp16_overflow 0
		.amdhsa_tg_split 0
		.amdhsa_exception_fp_ieee_invalid_op 0
		.amdhsa_exception_fp_denorm_src 0
		.amdhsa_exception_fp_ieee_div_zero 0
		.amdhsa_exception_fp_ieee_overflow 0
		.amdhsa_exception_fp_ieee_underflow 0
		.amdhsa_exception_fp_ieee_inexact 0
		.amdhsa_exception_int_div_zero 0
	.end_amdhsa_kernel
	.section	.text._ZN4vllm3moe10topkGatingILi4ELi4ELi4ELi8ELi64Ej14__hip_bfloat16LNS0_11ScoringFuncE0EEEvPKT5_PKbPfiPT4_PiiiibPKf,"axG",@progbits,_ZN4vllm3moe10topkGatingILi4ELi4ELi4ELi8ELi64Ej14__hip_bfloat16LNS0_11ScoringFuncE0EEEvPKT5_PKbPfiPT4_PiiiibPKf,comdat
.Lfunc_end152:
	.size	_ZN4vllm3moe10topkGatingILi4ELi4ELi4ELi8ELi64Ej14__hip_bfloat16LNS0_11ScoringFuncE0EEEvPKT5_PKbPfiPT4_PiiiibPKf, .Lfunc_end152-_ZN4vllm3moe10topkGatingILi4ELi4ELi4ELi8ELi64Ej14__hip_bfloat16LNS0_11ScoringFuncE0EEEvPKT5_PKbPfiPT4_PiiiibPKf
                                        ; -- End function
	.section	.AMDGPU.csdata,"",@progbits
; Kernel info:
; codeLenInByte = 1720
; NumSgprs: 28
; NumVgprs: 22
; NumAgprs: 0
; TotalNumVgprs: 22
; ScratchSize: 0
; MemoryBound: 1
; FloatMode: 240
; IeeeMode: 1
; LDSByteSize: 0 bytes/workgroup (compile time only)
; SGPRBlocks: 3
; VGPRBlocks: 2
; NumSGPRsForWavesPerEU: 28
; NumVGPRsForWavesPerEU: 22
; AccumOffset: 24
; Occupancy: 8
; WaveLimiterHint : 0
; COMPUTE_PGM_RSRC2:SCRATCH_EN: 0
; COMPUTE_PGM_RSRC2:USER_SGPR: 6
; COMPUTE_PGM_RSRC2:TRAP_HANDLER: 0
; COMPUTE_PGM_RSRC2:TGID_X_EN: 1
; COMPUTE_PGM_RSRC2:TGID_Y_EN: 0
; COMPUTE_PGM_RSRC2:TGID_Z_EN: 0
; COMPUTE_PGM_RSRC2:TIDIG_COMP_CNT: 1
; COMPUTE_PGM_RSRC3_GFX90A:ACCUM_OFFSET: 5
; COMPUTE_PGM_RSRC3_GFX90A:TG_SPLIT: 0
	.section	.text._ZN4vllm3moe10topkGatingILi4ELi4ELi4ELi8ELi32Ej14__hip_bfloat16LNS0_11ScoringFuncE0EEEvPKT5_PKbPfiPT4_PiiiibPKf,"axG",@progbits,_ZN4vllm3moe10topkGatingILi4ELi4ELi4ELi8ELi32Ej14__hip_bfloat16LNS0_11ScoringFuncE0EEEvPKT5_PKbPfiPT4_PiiiibPKf,comdat
	.protected	_ZN4vllm3moe10topkGatingILi4ELi4ELi4ELi8ELi32Ej14__hip_bfloat16LNS0_11ScoringFuncE0EEEvPKT5_PKbPfiPT4_PiiiibPKf ; -- Begin function _ZN4vllm3moe10topkGatingILi4ELi4ELi4ELi8ELi32Ej14__hip_bfloat16LNS0_11ScoringFuncE0EEEvPKT5_PKbPfiPT4_PiiiibPKf
	.globl	_ZN4vllm3moe10topkGatingILi4ELi4ELi4ELi8ELi32Ej14__hip_bfloat16LNS0_11ScoringFuncE0EEEvPKT5_PKbPfiPT4_PiiiibPKf
	.p2align	8
	.type	_ZN4vllm3moe10topkGatingILi4ELi4ELi4ELi8ELi32Ej14__hip_bfloat16LNS0_11ScoringFuncE0EEEvPKT5_PKbPfiPT4_PiiiibPKf,@function
_ZN4vllm3moe10topkGatingILi4ELi4ELi4ELi8ELi32Ej14__hip_bfloat16LNS0_11ScoringFuncE0EEEvPKT5_PKbPfiPT4_PiiiibPKf: ; @_ZN4vllm3moe10topkGatingILi4ELi4ELi4ELi8ELi32Ej14__hip_bfloat16LNS0_11ScoringFuncE0EEEvPKT5_PKbPfiPT4_PiiiibPKf
; %bb.0:
	s_load_dword s16, s[4:5], 0x18
	v_bfe_u32 v1, v0, 10, 10
	s_lshl_b32 s0, s6, 7
	v_lshlrev_b32_e32 v1, 5, v1
	v_and_b32_e32 v0, 0x3ff, v0
	v_add3_u32 v14, v1, v0, s0
	s_waitcnt lgkmcnt(0)
	v_cmp_gt_i32_e32 vcc, s16, v14
	s_and_saveexec_b64 s[0:1], vcc
	s_cbranch_execz .LBB153_20
; %bb.1:
	s_load_dwordx4 s[0:3], s[4:5], 0x0
	s_load_dwordx2 s[6:7], s[4:5], 0x10
	s_mov_b64 s[8:9], -1
	s_mov_b64 s[12:13], -1
	s_waitcnt lgkmcnt(0)
	s_cmp_eq_u64 s[2:3], 0
	s_cbranch_scc1 .LBB153_3
; %bb.2:
	v_ashrrev_i32_e32 v1, 31, v14
	v_mov_b32_e32 v2, s3
	v_add_co_u32_e32 v0, vcc, s2, v14
	v_addc_co_u32_e32 v1, vcc, v2, v1, vcc
	global_load_ubyte v0, v[0:1], off
	s_waitcnt vmcnt(0)
	v_and_b32_e32 v0, 1, v0
	v_cmp_eq_u32_e32 vcc, 1, v0
	s_xor_b64 s[2:3], vcc, -1
	s_orn2_b64 s[12:13], s[2:3], exec
.LBB153_3:
	v_lshlrev_b32_e32 v0, 2, v14
	v_ashrrev_i32_e32 v1, 31, v0
	v_lshlrev_b64 v[0:1], 1, v[0:1]
	v_mov_b32_e32 v2, s1
	v_add_co_u32_e32 v0, vcc, s0, v0
	v_addc_co_u32_e32 v1, vcc, v2, v1, vcc
	global_load_dwordx2 v[0:1], v[0:1], off
	v_mov_b32_e32 v5, 0x7f800000
	s_mov_b32 s2, 0x3fb8aa3b
	s_mov_b32 s3, 0xc2ce8ed0
	;; [unrolled: 1-line block ×3, first 2 shown]
	s_load_dwordx2 s[0:1], s[4:5], 0x40
	v_mov_b32_e32 v6, 0x207
	s_waitcnt lgkmcnt(0)
	s_cmp_eq_u64 s[0:1], 0
	s_waitcnt vmcnt(0)
	v_lshlrev_b32_e32 v2, 16, v0
	v_and_b32_e32 v3, 0xffff0000, v0
	v_alignbit_b32 v0, v1, v0, 16
	v_max_f32_e32 v4, v3, v3
	v_max_f32_e32 v7, v2, v2
	v_and_b32_e32 v1, 0xffff0000, v1
	v_and_b32_e32 v0, 0xffff0000, v0
	v_max_f32_e32 v4, v7, v4
	v_max3_f32 v4, v4, v0, v1
	v_pk_add_f32 v[2:3], v[2:3], v[4:5] op_sel_hi:[1,0] neg_lo:[0,1] neg_hi:[0,1]
	v_pk_add_f32 v[0:1], v[0:1], v[4:5] op_sel_hi:[1,0] neg_lo:[0,1] neg_hi:[0,1]
	v_mul_f32_e32 v4, 0x3fb8aa3b, v3
	v_mul_f32_e32 v7, 0x3fb8aa3b, v2
	v_fma_f32 v10, v3, s2, -v4
	v_rndne_f32_e32 v11, v4
	v_mul_f32_e32 v8, 0x3fb8aa3b, v1
	v_fma_f32 v12, v2, s2, -v7
	v_rndne_f32_e32 v13, v7
	v_fmac_f32_e32 v10, 0x32a5705f, v3
	v_sub_f32_e32 v4, v4, v11
	v_mul_f32_e32 v9, 0x3fb8aa3b, v0
	v_fma_f32 v15, v1, s2, -v8
	v_rndne_f32_e32 v16, v8
	v_fmac_f32_e32 v12, 0x32a5705f, v2
	v_sub_f32_e32 v7, v7, v13
	v_add_f32_e32 v4, v4, v10
	v_fma_f32 v17, v0, s2, -v9
	v_rndne_f32_e32 v18, v9
	v_cvt_i32_f32_e32 v11, v11
	v_fmac_f32_e32 v15, 0x32a5705f, v1
	v_sub_f32_e32 v8, v8, v16
	v_add_f32_e32 v7, v7, v12
	v_exp_f32_e32 v4, v4
	v_cvt_i32_f32_e32 v13, v13
	v_fmac_f32_e32 v17, 0x32a5705f, v0
	v_sub_f32_e32 v9, v9, v18
	v_add_f32_e32 v8, v8, v15
	v_exp_f32_e32 v7, v7
	v_cvt_i32_f32_e32 v16, v16
	v_add_f32_e32 v9, v9, v17
	v_exp_f32_e32 v8, v8
	v_cvt_i32_f32_e32 v18, v18
	v_exp_f32_e32 v9, v9
	v_ldexp_f32 v4, v4, v11
	v_cmp_ngt_f32_e32 vcc, s3, v3
	v_ldexp_f32 v7, v7, v13
	v_cndmask_b32_e32 v4, 0, v4, vcc
	v_cmp_ngt_f32_e32 vcc, s3, v2
	v_ldexp_f32 v8, v8, v16
	v_cndmask_b32_e32 v7, 0, v7, vcc
	;; [unrolled: 3-line block ×3, first 2 shown]
	v_cmp_ngt_f32_e32 vcc, s3, v0
	v_cndmask_b32_e32 v9, 0, v9, vcc
	v_cmp_nlt_f32_e32 vcc, s10, v3
	v_cndmask_b32_e32 v3, v5, v4, vcc
	v_cmp_nlt_f32_e32 vcc, s10, v2
	v_cndmask_b32_e32 v2, v5, v7, vcc
	v_cmp_nlt_f32_e32 vcc, s10, v1
	v_cndmask_b32_e32 v1, v5, v8, vcc
	v_cmp_nlt_f32_e32 vcc, s10, v0
	v_cndmask_b32_e32 v0, v5, v9, vcc
	v_add_f32_e32 v4, v2, v3
	v_add_f32_e32 v4, v4, v0
	v_add_f32_e32 v4, v4, v1
	v_div_scale_f32 v5, s[2:3], v4, v4, 1.0
	v_rcp_f32_e32 v7, v5
	v_div_scale_f32 v8, vcc, 1.0, v4, 1.0
	v_fma_f32 v9, -v5, v7, 1.0
	v_fmac_f32_e32 v7, v9, v7
	v_mul_f32_e32 v9, v8, v7
	v_fma_f32 v10, -v5, v9, v8
	v_fmac_f32_e32 v9, v10, v7
	v_fma_f32 v5, -v5, v9, v8
	v_div_fmas_f32 v5, v5, v7, v9
	v_div_fixup_f32 v4, v5, v4, 1.0
	v_pk_mul_f32 v[2:3], v[4:5], v[2:3] op_sel_hi:[0,1]
	v_cmp_class_f32_e32 vcc, v3, v6
	v_pk_mul_f32 v[4:5], v[4:5], v[0:1] op_sel_hi:[0,1]
	v_cndmask_b32_e64 v1, v3, 0, vcc
	v_cmp_class_f32_e32 vcc, v2, v6
	v_cndmask_b32_e64 v0, v2, 0, vcc
	v_cmp_class_f32_e32 vcc, v5, v6
	;; [unrolled: 2-line block ×3, first 2 shown]
	v_cndmask_b32_e64 v2, v4, 0, vcc
	s_cbranch_scc1 .LBB153_10
; %bb.4:
	s_load_dwordx4 s[0:3], s[0:1], 0x0
	s_waitcnt lgkmcnt(0)
	v_pk_add_f32 v[4:5], s[0:1], v[0:1]
	v_pk_add_f32 v[6:7], s[2:3], v[2:3]
	s_cbranch_execnz .LBB153_6
.LBB153_5:
	v_pk_mov_b32 v[6:7], v[2:3], v[2:3] op_sel:[0,1]
	v_pk_mov_b32 v[4:5], v[0:1], v[0:1] op_sel:[0,1]
.LBB153_6:
	s_load_dwordx4 s[8:11], s[4:5], 0x30
	s_waitcnt lgkmcnt(0)
	s_bitcmp1_b32 s11, 0
	s_cselect_b64 vcc, -1, 0
	s_cmp_gt_i32 s8, 0
	s_cselect_b64 s[14:15], -1, 0
	s_cmp_lt_i32 s8, 1
	s_mov_b32 s11, 0
	s_cbranch_scc1 .LBB153_11
; %bb.7:
	s_load_dwordx4 s[20:23], s[4:5], 0x20
	v_mul_lo_u32 v8, v14, s8
	v_ashrrev_i32_e32 v9, 31, v8
	v_lshlrev_b64 v[12:13], 2, v[8:9]
	v_mov_b32_e32 v9, s7
	v_add_co_u32_e64 v8, s[0:1], s6, v12
	v_addc_co_u32_e64 v9, s[0:1], v9, v13, s[0:1]
	s_waitcnt lgkmcnt(0)
	v_mov_b32_e32 v11, s21
	v_add_co_u32_e64 v10, s[0:1], s20, v12
	v_addc_co_u32_e64 v11, s[0:1], v11, v13, s[0:1]
	v_mov_b32_e32 v15, s23
	v_add_co_u32_e64 v12, s[0:1], s22, v12
	v_addc_co_u32_e64 v13, s[0:1], v15, v13, s[0:1]
	v_mov_b32_e32 v15, 0
	v_mov_b32_e32 v16, 0xc61c4000
	;; [unrolled: 1-line block ×3, first 2 shown]
.LBB153_8:                              ; =>This Inner Loop Header: Depth=1
	v_cmp_gt_f32_e64 s[0:1], v5, v4
	v_cndmask_b32_e64 v18, v4, v5, s[0:1]
	v_cndmask_b32_e64 v19, v0, v1, s[0:1]
	;; [unrolled: 1-line block ×3, first 2 shown]
	v_cmp_gt_f32_e64 s[0:1], v6, v18
	v_cndmask_b32_e64 v18, v18, v6, s[0:1]
	v_cndmask_b32_e64 v19, v19, v2, s[0:1]
	v_cndmask_b32_e64 v20, v20, 2, s[0:1]
	v_cmp_gt_f32_e64 s[0:1], v7, v18
	v_cndmask_b32_e64 v18, v19, v3, s[0:1]
	v_cndmask_b32_e64 v19, v20, 3, s[0:1]
	v_cmp_le_i32_e64 s[0:1], s9, v19
	v_cmp_gt_i32_e64 s[2:3], s10, v19
	s_and_b64 s[0:1], s[0:1], s[2:3]
	v_subrev_u32_e32 v20, s9, v19
	s_and_b64 s[0:1], s[12:13], s[0:1]
	global_store_dword v[8:9], v18, off
	v_cndmask_b32_e64 v20, 4, v20, s[0:1]
	v_add_f32_e32 v18, v15, v18
	v_cmp_ne_u32_e64 s[0:1], 0, v19
	v_cndmask_b32_e32 v15, v15, v18, vcc
	v_cndmask_b32_e64 v18, v16, v4, s[0:1]
	v_cmp_ne_u32_e64 s[0:1], 1, v19
	global_store_dword v[10:11], v20, off
	global_store_dword v[12:13], v17, off
	s_add_i32 s11, s11, 1
	v_cndmask_b32_e64 v20, v16, v5, s[0:1]
	v_cmp_ne_u32_e64 s[0:1], 2, v19
	s_cmp_lt_i32 s11, s8
	v_cndmask_b32_e64 v21, v16, v6, s[0:1]
	v_cmp_ne_u32_e64 s[0:1], 3, v19
	v_cndmask_b32_e64 v19, v16, v7, s[0:1]
	s_cselect_b64 s[0:1], -1, 0
	v_cndmask_b32_e64 v7, v7, v19, s[0:1]
	v_cndmask_b32_e64 v6, v6, v21, s[0:1]
	v_cndmask_b32_e64 v5, v5, v20, s[0:1]
	v_cndmask_b32_e64 v4, v4, v18, s[0:1]
	v_add_co_u32_e64 v8, s[0:1], 4, v8
	v_addc_co_u32_e64 v9, s[0:1], 0, v9, s[0:1]
	v_add_co_u32_e64 v10, s[0:1], 4, v10
	v_addc_co_u32_e64 v11, s[0:1], 0, v11, s[0:1]
	v_add_co_u32_e64 v12, s[0:1], 4, v12
	v_add_u32_e32 v17, s16, v17
	s_cmp_eq_u32 s8, s11
	v_addc_co_u32_e64 v13, s[0:1], 0, v13, s[0:1]
	s_cbranch_scc0 .LBB153_8
; %bb.9:
	s_and_b64 vcc, exec, vcc
	s_cbranch_vccnz .LBB153_12
	s_branch .LBB153_20
.LBB153_10:
                                        ; implicit-def: $vgpr4_vgpr5_vgpr6_vgpr7
	s_andn2_b64 vcc, exec, s[8:9]
	s_cbranch_vccz .LBB153_5
	s_branch .LBB153_6
.LBB153_11:
	v_mov_b32_e32 v15, 0
	s_and_b64 vcc, exec, vcc
	s_cbranch_vccz .LBB153_20
.LBB153_12:
	s_andn2_b64 vcc, exec, s[14:15]
	s_cbranch_vccnz .LBB153_20
; %bb.13:
	v_cmp_lt_f32_e32 vcc, 0, v15
	s_mov_b32 s2, 0
	v_cndmask_b32_e32 v0, 1.0, v15, vcc
	v_mul_lo_u32 v4, v14, s8
	s_cmp_eq_u32 s8, 1
	s_mov_b64 s[0:1], -1
	s_cbranch_scc1 .LBB153_17
; %bb.14:
	s_and_b32 s2, s8, 0x7ffffffe
	v_mov_b32_e32 v1, v0
	v_mov_b32_e32 v5, s7
	s_mov_b32 s3, s2
	v_mov_b32_e32 v2, v4
.LBB153_15:                             ; =>This Inner Loop Header: Depth=1
	v_ashrrev_i32_e32 v3, 31, v2
	v_lshlrev_b64 v[6:7], 2, v[2:3]
	v_add_co_u32_e32 v6, vcc, s6, v6
	v_addc_co_u32_e32 v7, vcc, v5, v7, vcc
	global_load_dwordx2 v[8:9], v[6:7], off
	s_add_i32 s3, s3, -2
	s_cmp_lg_u32 s3, 0
	v_add_u32_e32 v2, 2, v2
	s_waitcnt vmcnt(0)
	v_div_scale_f32 v3, s[0:1], v1, v1, v9
	v_div_scale_f32 v11, s[0:1], v0, v0, v8
	v_rcp_f32_e32 v12, v3
	v_rcp_f32_e32 v13, v11
	v_div_scale_f32 v10, vcc, v9, v1, v9
	v_fma_f32 v15, -v3, v12, 1.0
	v_fma_f32 v16, -v11, v13, 1.0
	v_fmac_f32_e32 v12, v15, v12
	v_div_scale_f32 v14, s[0:1], v8, v0, v8
	v_fmac_f32_e32 v13, v16, v13
	v_mul_f32_e32 v15, v10, v12
	v_mul_f32_e32 v16, v14, v13
	v_fma_f32 v17, -v3, v15, v10
	v_fma_f32 v18, -v11, v16, v14
	v_fmac_f32_e32 v15, v17, v12
	v_fmac_f32_e32 v16, v18, v13
	v_fma_f32 v3, -v3, v15, v10
	v_fma_f32 v10, -v11, v16, v14
	v_div_fmas_f32 v3, v3, v12, v15
	s_mov_b64 vcc, s[0:1]
	v_div_fixup_f32 v9, v3, v1, v9
	v_div_fmas_f32 v3, v10, v13, v16
	v_div_fixup_f32 v8, v3, v0, v8
	global_store_dwordx2 v[6:7], v[8:9], off
	s_cbranch_scc1 .LBB153_15
; %bb.16:
	s_cmp_lg_u32 s2, s8
	s_cselect_b64 s[0:1], -1, 0
.LBB153_17:
	s_and_b64 vcc, exec, s[0:1]
	s_cbranch_vccz .LBB153_20
; %bb.18:
	v_ashrrev_i32_e32 v1, 31, v4
	v_add_co_u32_e32 v2, vcc, s2, v4
	v_addc_co_u32_e32 v3, vcc, 0, v1, vcc
	v_lshlrev_b64 v[2:3], 2, v[2:3]
	v_mov_b32_e32 v1, s7
	v_add_co_u32_e32 v2, vcc, s6, v2
	s_sub_i32 s0, s8, s2
	v_addc_co_u32_e32 v3, vcc, v1, v3, vcc
.LBB153_19:                             ; =>This Inner Loop Header: Depth=1
	global_load_dword v1, v[2:3], off
	s_add_i32 s0, s0, -1
	s_cmp_lg_u32 s0, 0
	s_waitcnt vmcnt(0)
	v_div_scale_f32 v4, s[2:3], v0, v0, v1
	v_rcp_f32_e32 v5, v4
	v_div_scale_f32 v6, vcc, v1, v0, v1
	v_fma_f32 v7, -v4, v5, 1.0
	v_fmac_f32_e32 v5, v7, v5
	v_mul_f32_e32 v7, v6, v5
	v_fma_f32 v8, -v4, v7, v6
	v_fmac_f32_e32 v7, v8, v5
	v_fma_f32 v4, -v4, v7, v6
	v_div_fmas_f32 v4, v4, v5, v7
	v_div_fixup_f32 v1, v4, v0, v1
	global_store_dword v[2:3], v1, off
	v_add_co_u32_e32 v2, vcc, 4, v2
	v_addc_co_u32_e32 v3, vcc, 0, v3, vcc
	s_cbranch_scc1 .LBB153_19
.LBB153_20:
	s_endpgm
	.section	.rodata,"a",@progbits
	.p2align	6, 0x0
	.amdhsa_kernel _ZN4vllm3moe10topkGatingILi4ELi4ELi4ELi8ELi32Ej14__hip_bfloat16LNS0_11ScoringFuncE0EEEvPKT5_PKbPfiPT4_PiiiibPKf
		.amdhsa_group_segment_fixed_size 0
		.amdhsa_private_segment_fixed_size 0
		.amdhsa_kernarg_size 72
		.amdhsa_user_sgpr_count 6
		.amdhsa_user_sgpr_private_segment_buffer 1
		.amdhsa_user_sgpr_dispatch_ptr 0
		.amdhsa_user_sgpr_queue_ptr 0
		.amdhsa_user_sgpr_kernarg_segment_ptr 1
		.amdhsa_user_sgpr_dispatch_id 0
		.amdhsa_user_sgpr_flat_scratch_init 0
		.amdhsa_user_sgpr_kernarg_preload_length 0
		.amdhsa_user_sgpr_kernarg_preload_offset 0
		.amdhsa_user_sgpr_private_segment_size 0
		.amdhsa_uses_dynamic_stack 0
		.amdhsa_system_sgpr_private_segment_wavefront_offset 0
		.amdhsa_system_sgpr_workgroup_id_x 1
		.amdhsa_system_sgpr_workgroup_id_y 0
		.amdhsa_system_sgpr_workgroup_id_z 0
		.amdhsa_system_sgpr_workgroup_info 0
		.amdhsa_system_vgpr_workitem_id 1
		.amdhsa_next_free_vgpr 22
		.amdhsa_next_free_sgpr 24
		.amdhsa_accum_offset 24
		.amdhsa_reserve_vcc 1
		.amdhsa_reserve_flat_scratch 0
		.amdhsa_float_round_mode_32 0
		.amdhsa_float_round_mode_16_64 0
		.amdhsa_float_denorm_mode_32 3
		.amdhsa_float_denorm_mode_16_64 3
		.amdhsa_dx10_clamp 1
		.amdhsa_ieee_mode 1
		.amdhsa_fp16_overflow 0
		.amdhsa_tg_split 0
		.amdhsa_exception_fp_ieee_invalid_op 0
		.amdhsa_exception_fp_denorm_src 0
		.amdhsa_exception_fp_ieee_div_zero 0
		.amdhsa_exception_fp_ieee_overflow 0
		.amdhsa_exception_fp_ieee_underflow 0
		.amdhsa_exception_fp_ieee_inexact 0
		.amdhsa_exception_int_div_zero 0
	.end_amdhsa_kernel
	.section	.text._ZN4vllm3moe10topkGatingILi4ELi4ELi4ELi8ELi32Ej14__hip_bfloat16LNS0_11ScoringFuncE0EEEvPKT5_PKbPfiPT4_PiiiibPKf,"axG",@progbits,_ZN4vllm3moe10topkGatingILi4ELi4ELi4ELi8ELi32Ej14__hip_bfloat16LNS0_11ScoringFuncE0EEEvPKT5_PKbPfiPT4_PiiiibPKf,comdat
.Lfunc_end153:
	.size	_ZN4vllm3moe10topkGatingILi4ELi4ELi4ELi8ELi32Ej14__hip_bfloat16LNS0_11ScoringFuncE0EEEvPKT5_PKbPfiPT4_PiiiibPKf, .Lfunc_end153-_ZN4vllm3moe10topkGatingILi4ELi4ELi4ELi8ELi32Ej14__hip_bfloat16LNS0_11ScoringFuncE0EEEvPKT5_PKbPfiPT4_PiiiibPKf
                                        ; -- End function
	.section	.AMDGPU.csdata,"",@progbits
; Kernel info:
; codeLenInByte = 1720
; NumSgprs: 28
; NumVgprs: 22
; NumAgprs: 0
; TotalNumVgprs: 22
; ScratchSize: 0
; MemoryBound: 1
; FloatMode: 240
; IeeeMode: 1
; LDSByteSize: 0 bytes/workgroup (compile time only)
; SGPRBlocks: 3
; VGPRBlocks: 2
; NumSGPRsForWavesPerEU: 28
; NumVGPRsForWavesPerEU: 22
; AccumOffset: 24
; Occupancy: 8
; WaveLimiterHint : 0
; COMPUTE_PGM_RSRC2:SCRATCH_EN: 0
; COMPUTE_PGM_RSRC2:USER_SGPR: 6
; COMPUTE_PGM_RSRC2:TRAP_HANDLER: 0
; COMPUTE_PGM_RSRC2:TGID_X_EN: 1
; COMPUTE_PGM_RSRC2:TGID_Y_EN: 0
; COMPUTE_PGM_RSRC2:TGID_Z_EN: 0
; COMPUTE_PGM_RSRC2:TIDIG_COMP_CNT: 1
; COMPUTE_PGM_RSRC3_GFX90A:ACCUM_OFFSET: 5
; COMPUTE_PGM_RSRC3_GFX90A:TG_SPLIT: 0
	.section	.text._ZN4vllm3moe10topkGatingILi8ELi8ELi4ELi16ELi64Ej14__hip_bfloat16LNS0_11ScoringFuncE0EEEvPKT5_PKbPfiPT4_PiiiibPKf,"axG",@progbits,_ZN4vllm3moe10topkGatingILi8ELi8ELi4ELi16ELi64Ej14__hip_bfloat16LNS0_11ScoringFuncE0EEEvPKT5_PKbPfiPT4_PiiiibPKf,comdat
	.protected	_ZN4vllm3moe10topkGatingILi8ELi8ELi4ELi16ELi64Ej14__hip_bfloat16LNS0_11ScoringFuncE0EEEvPKT5_PKbPfiPT4_PiiiibPKf ; -- Begin function _ZN4vllm3moe10topkGatingILi8ELi8ELi4ELi16ELi64Ej14__hip_bfloat16LNS0_11ScoringFuncE0EEEvPKT5_PKbPfiPT4_PiiiibPKf
	.globl	_ZN4vllm3moe10topkGatingILi8ELi8ELi4ELi16ELi64Ej14__hip_bfloat16LNS0_11ScoringFuncE0EEEvPKT5_PKbPfiPT4_PiiiibPKf
	.p2align	8
	.type	_ZN4vllm3moe10topkGatingILi8ELi8ELi4ELi16ELi64Ej14__hip_bfloat16LNS0_11ScoringFuncE0EEEvPKT5_PKbPfiPT4_PiiiibPKf,@function
_ZN4vllm3moe10topkGatingILi8ELi8ELi4ELi16ELi64Ej14__hip_bfloat16LNS0_11ScoringFuncE0EEEvPKT5_PKbPfiPT4_PiiiibPKf: ; @_ZN4vllm3moe10topkGatingILi8ELi8ELi4ELi16ELi64Ej14__hip_bfloat16LNS0_11ScoringFuncE0EEEvPKT5_PKbPfiPT4_PiiiibPKf
; %bb.0:
	s_load_dword s18, s[4:5], 0x18
	v_bfe_u32 v1, v0, 10, 10
	s_lshl_b32 s0, s6, 8
	v_lshlrev_b32_e32 v1, 6, v1
	v_and_b32_e32 v0, 0x3ff, v0
	v_add3_u32 v16, v1, v0, s0
	s_waitcnt lgkmcnt(0)
	v_cmp_gt_i32_e32 vcc, s18, v16
	s_and_saveexec_b64 s[0:1], vcc
	s_cbranch_execz .LBB154_20
; %bb.1:
	s_load_dwordx4 s[0:3], s[4:5], 0x0
	s_load_dwordx2 s[12:13], s[4:5], 0x10
	s_mov_b64 s[6:7], -1
	s_mov_b64 s[14:15], -1
	s_waitcnt lgkmcnt(0)
	s_cmp_eq_u64 s[2:3], 0
	s_cbranch_scc1 .LBB154_3
; %bb.2:
	v_ashrrev_i32_e32 v1, 31, v16
	v_mov_b32_e32 v2, s3
	v_add_co_u32_e32 v0, vcc, s2, v16
	v_addc_co_u32_e32 v1, vcc, v2, v1, vcc
	global_load_ubyte v0, v[0:1], off
	s_waitcnt vmcnt(0)
	v_and_b32_e32 v0, 1, v0
	v_cmp_eq_u32_e32 vcc, 1, v0
	s_xor_b64 s[2:3], vcc, -1
	s_orn2_b64 s[14:15], s[2:3], exec
.LBB154_3:
	v_lshlrev_b32_e32 v0, 3, v16
	v_ashrrev_i32_e32 v1, 31, v0
	v_lshlrev_b64 v[0:1], 1, v[0:1]
	v_mov_b32_e32 v2, s1
	v_add_co_u32_e32 v0, vcc, s0, v0
	v_addc_co_u32_e32 v1, vcc, v2, v1, vcc
	global_load_dwordx4 v[0:3], v[0:1], off
	s_mov_b32 s2, 0x3fb8aa3b
	s_mov_b32 s0, 0xc2ce8ed0
	;; [unrolled: 1-line block ×3, first 2 shown]
	v_mov_b32_e32 v10, 0x7f800000
	s_waitcnt vmcnt(0)
	v_and_b32_e32 v5, 0xffff0000, v0
	v_lshlrev_b32_e32 v4, 16, v0
	v_and_b32_e32 v7, 0xffff0000, v1
	v_lshlrev_b32_e32 v6, 16, v1
	;; [unrolled: 2-line block ×4, first 2 shown]
	v_max_f32_e32 v2, v5, v5
	v_max_f32_e32 v3, v4, v4
	;; [unrolled: 1-line block ×3, first 2 shown]
	v_max3_f32 v2, v2, v6, v7
	v_max3_f32 v2, v2, v0, v1
	;; [unrolled: 1-line block ×3, first 2 shown]
	v_pk_add_f32 v[4:5], v[4:5], v[2:3] op_sel_hi:[1,0] neg_lo:[0,1] neg_hi:[0,1]
	v_pk_add_f32 v[6:7], v[6:7], v[2:3] op_sel_hi:[1,0] neg_lo:[0,1] neg_hi:[0,1]
	;; [unrolled: 1-line block ×3, first 2 shown]
	v_mul_f32_e32 v3, 0x3fb8aa3b, v5
	v_mul_f32_e32 v11, 0x3fb8aa3b, v4
	v_fma_f32 v17, v5, s2, -v3
	v_rndne_f32_e32 v18, v3
	v_mul_f32_e32 v12, 0x3fb8aa3b, v7
	v_fma_f32 v19, v4, s2, -v11
	v_rndne_f32_e32 v20, v11
	v_fmac_f32_e32 v17, 0x32a5705f, v5
	v_sub_f32_e32 v3, v3, v18
	v_mul_f32_e32 v13, 0x3fb8aa3b, v6
	v_fma_f32 v21, v7, s2, -v12
	v_rndne_f32_e32 v22, v12
	v_fmac_f32_e32 v19, 0x32a5705f, v4
	v_sub_f32_e32 v11, v11, v20
	v_add_f32_e32 v3, v3, v17
	v_mul_f32_e32 v14, 0x3fb8aa3b, v1
	v_fma_f32 v23, v6, s2, -v13
	v_rndne_f32_e32 v24, v13
	v_cvt_i32_f32_e32 v18, v18
	v_fmac_f32_e32 v21, 0x32a5705f, v7
	v_sub_f32_e32 v12, v12, v22
	v_add_f32_e32 v11, v11, v19
	v_exp_f32_e32 v3, v3
	v_fma_f32 v25, v1, s2, -v14
	v_rndne_f32_e32 v26, v14
	v_cvt_i32_f32_e32 v20, v20
	v_fmac_f32_e32 v23, 0x32a5705f, v6
	v_sub_f32_e32 v13, v13, v24
	v_add_f32_e32 v12, v12, v21
	v_exp_f32_e32 v11, v11
	v_cvt_i32_f32_e32 v22, v22
	v_fmac_f32_e32 v25, 0x32a5705f, v1
	v_sub_f32_e32 v14, v14, v26
	v_add_f32_e32 v13, v13, v23
	v_exp_f32_e32 v12, v12
	v_cvt_i32_f32_e32 v24, v24
	v_add_f32_e32 v14, v14, v25
	v_exp_f32_e32 v13, v13
	v_cvt_i32_f32_e32 v26, v26
	v_exp_f32_e32 v14, v14
	v_ldexp_f32 v3, v3, v18
	v_cmp_ngt_f32_e32 vcc, s0, v5
	v_ldexp_f32 v11, v11, v20
	v_cndmask_b32_e32 v3, 0, v3, vcc
	v_cmp_ngt_f32_e32 vcc, s0, v4
	v_ldexp_f32 v12, v12, v22
	v_cndmask_b32_e32 v11, 0, v11, vcc
	;; [unrolled: 3-line block ×4, first 2 shown]
	v_cmp_ngt_f32_e32 vcc, s0, v1
	v_cndmask_b32_e32 v14, 0, v14, vcc
	v_cmp_nlt_f32_e32 vcc, s1, v5
	v_mul_f32_e32 v15, 0x3fb8aa3b, v0
	v_cndmask_b32_e32 v5, v10, v3, vcc
	v_cmp_nlt_f32_e32 vcc, s1, v4
	v_pk_add_f32 v[2:3], v[8:9], v[2:3] op_sel_hi:[1,0] neg_lo:[0,1] neg_hi:[0,1]
	v_fma_f32 v27, v0, s2, -v15
	v_rndne_f32_e32 v28, v15
	v_cndmask_b32_e32 v4, v10, v11, vcc
	v_cmp_nlt_f32_e32 vcc, s1, v7
	v_mul_f32_e32 v8, 0x3fb8aa3b, v3
	v_fmac_f32_e32 v27, 0x32a5705f, v0
	v_sub_f32_e32 v15, v15, v28
	v_cndmask_b32_e32 v7, v10, v12, vcc
	v_fma_f32 v9, v3, s2, -v8
	v_rndne_f32_e32 v12, v8
	v_add_f32_e32 v15, v15, v27
	v_fmac_f32_e32 v9, 0x32a5705f, v3
	v_sub_f32_e32 v8, v8, v12
	v_cvt_i32_f32_e32 v28, v28
	v_exp_f32_e32 v15, v15
	v_add_f32_e32 v8, v8, v9
	v_exp_f32_e32 v8, v8
	v_cvt_i32_f32_e32 v9, v12
	v_cmp_nlt_f32_e32 vcc, s1, v6
	v_cndmask_b32_e32 v6, v10, v13, vcc
	v_cmp_nlt_f32_e32 vcc, s1, v1
	v_cndmask_b32_e32 v1, v10, v14, vcc
	v_ldexp_f32 v11, v15, v28
	v_cmp_ngt_f32_e32 vcc, s0, v0
	v_cndmask_b32_e32 v11, 0, v11, vcc
	v_cmp_nlt_f32_e32 vcc, s1, v0
	v_ldexp_f32 v8, v8, v9
	v_mul_f32_e32 v9, 0x3fb8aa3b, v2
	v_cndmask_b32_e32 v0, v10, v11, vcc
	v_fma_f32 v11, v2, s2, -v9
	v_rndne_f32_e32 v12, v9
	v_fmac_f32_e32 v11, 0x32a5705f, v2
	v_sub_f32_e32 v9, v9, v12
	v_add_f32_e32 v9, v9, v11
	v_exp_f32_e32 v9, v9
	v_cvt_i32_f32_e32 v11, v12
	v_cmp_ngt_f32_e32 vcc, s0, v3
	v_cndmask_b32_e32 v8, 0, v8, vcc
	v_cmp_nlt_f32_e32 vcc, s1, v3
	v_cndmask_b32_e32 v3, v10, v8, vcc
	v_ldexp_f32 v8, v9, v11
	v_cmp_ngt_f32_e32 vcc, s0, v2
	v_cndmask_b32_e32 v8, 0, v8, vcc
	v_cmp_nlt_f32_e32 vcc, s1, v2
	v_cndmask_b32_e32 v2, v10, v8, vcc
	v_add_f32_e32 v8, v4, v5
	v_add_f32_e32 v8, v8, v6
	v_add_f32_e32 v8, v8, v7
	v_add_f32_e32 v8, v8, v0
	v_add_f32_e32 v8, v8, v1
	v_add_f32_e32 v8, v8, v2
	v_add_f32_e32 v8, v8, v3
	v_div_scale_f32 v9, s[0:1], v8, v8, 1.0
	v_rcp_f32_e32 v10, v9
	s_load_dwordx2 s[0:1], s[4:5], 0x40
	v_fma_f32 v11, -v9, v10, 1.0
	v_fmac_f32_e32 v10, v11, v10
	v_div_scale_f32 v11, vcc, 1.0, v8, 1.0
	v_mul_f32_e32 v12, v11, v10
	v_fma_f32 v13, -v9, v12, v11
	v_fmac_f32_e32 v12, v13, v10
	v_fma_f32 v9, -v9, v12, v11
	v_div_fmas_f32 v9, v9, v10, v12
	v_div_fixup_f32 v8, v9, v8, 1.0
	v_pk_mul_f32 v[4:5], v[8:9], v[4:5] op_sel_hi:[0,1]
	v_mov_b32_e32 v12, 0x207
	v_cmp_class_f32_e32 vcc, v5, v12
	v_pk_mul_f32 v[6:7], v[8:9], v[6:7] op_sel_hi:[0,1]
	v_pk_mul_f32 v[10:11], v[8:9], v[0:1] op_sel_hi:[0,1]
	v_cndmask_b32_e64 v1, v5, 0, vcc
	v_cmp_class_f32_e32 vcc, v4, v12
	v_cndmask_b32_e64 v0, v4, 0, vcc
	v_cmp_class_f32_e32 vcc, v7, v12
	v_pk_mul_f32 v[8:9], v[8:9], v[2:3] op_sel_hi:[0,1]
	v_cndmask_b32_e64 v3, v7, 0, vcc
	v_cmp_class_f32_e32 vcc, v6, v12
	v_cndmask_b32_e64 v2, v6, 0, vcc
	v_cmp_class_f32_e32 vcc, v11, v12
	;; [unrolled: 2-line block ×5, first 2 shown]
	s_waitcnt lgkmcnt(0)
	s_cmp_eq_u64 s[0:1], 0
	v_cndmask_b32_e64 v6, v8, 0, vcc
	s_cbranch_scc1 .LBB154_10
; %bb.4:
	s_load_dwordx8 s[20:27], s[0:1], 0x0
	s_waitcnt lgkmcnt(0)
	v_pk_add_f32 v[8:9], s[20:21], v[0:1]
	v_pk_add_f32 v[10:11], s[22:23], v[2:3]
	;; [unrolled: 1-line block ×4, first 2 shown]
	s_cbranch_execnz .LBB154_6
.LBB154_5:
	v_pk_mov_b32 v[14:15], v[6:7], v[6:7] op_sel:[0,1]
	v_pk_mov_b32 v[12:13], v[4:5], v[4:5] op_sel:[0,1]
	v_pk_mov_b32 v[10:11], v[2:3], v[2:3] op_sel:[0,1]
	v_pk_mov_b32 v[8:9], v[0:1], v[0:1] op_sel:[0,1]
.LBB154_6:
	s_load_dwordx4 s[8:11], s[4:5], 0x30
	s_waitcnt lgkmcnt(0)
	s_bitcmp1_b32 s11, 0
	s_cselect_b64 vcc, -1, 0
	s_cmp_gt_i32 s8, 0
	s_cselect_b64 s[16:17], -1, 0
	s_cmp_lt_i32 s8, 1
	s_mov_b32 s11, 0
	s_cbranch_scc1 .LBB154_11
; %bb.7:
	s_load_dwordx4 s[4:7], s[4:5], 0x20
	v_mul_lo_u32 v18, v16, s8
	v_mov_b32_e32 v17, 0
	v_mov_b32_e32 v19, s13
	;; [unrolled: 1-line block ×3, first 2 shown]
	s_waitcnt lgkmcnt(0)
	v_mov_b32_e32 v20, s5
	v_mov_b32_e32 v21, s7
	;; [unrolled: 1-line block ×3, first 2 shown]
.LBB154_8:                              ; =>This Inner Loop Header: Depth=1
	v_cmp_gt_f32_e64 s[0:1], v9, v8
	v_cndmask_b32_e64 v24, v8, v9, s[0:1]
	v_cndmask_b32_e64 v25, v0, v1, s[0:1]
	v_cndmask_b32_e64 v26, 0, 1, s[0:1]
	v_cmp_gt_f32_e64 s[0:1], v10, v24
	v_cndmask_b32_e64 v24, v24, v10, s[0:1]
	v_cndmask_b32_e64 v25, v25, v2, s[0:1]
	v_cndmask_b32_e64 v26, v26, 2, s[0:1]
	;; [unrolled: 4-line block ×6, first 2 shown]
	v_cmp_gt_f32_e64 s[0:1], v15, v24
	v_add_u32_e32 v24, s11, v18
	v_cndmask_b32_e64 v28, v25, v7, s[0:1]
	v_cndmask_b32_e64 v29, v26, 7, s[0:1]
	v_ashrrev_i32_e32 v25, 31, v24
	v_cmp_le_i32_e64 s[0:1], s9, v29
	v_cmp_gt_i32_e64 s[2:3], s10, v29
	v_lshlrev_b64 v[24:25], 2, v[24:25]
	s_and_b64 s[2:3], s[0:1], s[2:3]
	v_add_co_u32_e64 v26, s[0:1], s12, v24
	v_addc_co_u32_e64 v27, s[0:1], v19, v25, s[0:1]
	global_store_dword v[26:27], v28, off
	v_subrev_u32_e32 v26, s9, v29
	s_and_b64 s[0:1], s[14:15], s[2:3]
	v_cndmask_b32_e64 v30, 8, v26, s[0:1]
	v_add_co_u32_e64 v26, s[0:1], s4, v24
	v_addc_co_u32_e64 v27, s[0:1], v20, v25, s[0:1]
	v_add_co_u32_e64 v24, s[0:1], s6, v24
	v_addc_co_u32_e64 v25, s[0:1], v21, v25, s[0:1]
	global_store_dword v[26:27], v30, off
	global_store_dword v[24:25], v23, off
	v_add_f32_e32 v24, v17, v28
	v_cmp_ne_u32_e64 s[0:1], 0, v29
	v_cndmask_b32_e32 v17, v17, v24, vcc
	v_cndmask_b32_e64 v24, v22, v8, s[0:1]
	v_cmp_ne_u32_e64 s[0:1], 1, v29
	v_cndmask_b32_e64 v25, v22, v9, s[0:1]
	v_cmp_ne_u32_e64 s[0:1], 2, v29
	;; [unrolled: 2-line block ×5, first 2 shown]
	s_add_i32 s11, s11, 1
	v_cndmask_b32_e64 v30, v22, v13, s[0:1]
	v_cmp_ne_u32_e64 s[0:1], 6, v29
	s_cmp_lt_i32 s11, s8
	v_cndmask_b32_e64 v31, v22, v14, s[0:1]
	v_cmp_ne_u32_e64 s[0:1], 7, v29
	v_cndmask_b32_e64 v29, v22, v15, s[0:1]
	s_cselect_b64 s[0:1], -1, 0
	v_cndmask_b32_e64 v15, v15, v29, s[0:1]
	v_cndmask_b32_e64 v14, v14, v31, s[0:1]
	;; [unrolled: 1-line block ×8, first 2 shown]
	s_cmp_eq_u32 s8, s11
	v_add_u32_e32 v23, s18, v23
	s_cbranch_scc0 .LBB154_8
; %bb.9:
	s_and_b64 vcc, exec, vcc
	s_cbranch_vccnz .LBB154_12
	s_branch .LBB154_20
.LBB154_10:
                                        ; implicit-def: $vgpr8_vgpr9_vgpr10_vgpr11_vgpr12_vgpr13_vgpr14_vgpr15
	s_andn2_b64 vcc, exec, s[6:7]
	s_cbranch_vccz .LBB154_5
	s_branch .LBB154_6
.LBB154_11:
	v_mov_b32_e32 v17, 0
	s_and_b64 vcc, exec, vcc
	s_cbranch_vccz .LBB154_20
.LBB154_12:
	s_andn2_b64 vcc, exec, s[16:17]
	s_cbranch_vccnz .LBB154_20
; %bb.13:
	v_cmp_lt_f32_e32 vcc, 0, v17
	s_mov_b32 s2, 0
	v_cndmask_b32_e32 v0, 1.0, v17, vcc
	v_mul_lo_u32 v4, v16, s8
	s_cmp_eq_u32 s8, 1
	s_mov_b64 s[0:1], -1
	s_cbranch_scc1 .LBB154_17
; %bb.14:
	s_and_b32 s2, s8, 0x7ffffffe
	v_mov_b32_e32 v1, v0
	v_mov_b32_e32 v5, s13
	s_mov_b32 s3, s2
	v_mov_b32_e32 v2, v4
.LBB154_15:                             ; =>This Inner Loop Header: Depth=1
	v_ashrrev_i32_e32 v3, 31, v2
	v_lshlrev_b64 v[6:7], 2, v[2:3]
	v_add_co_u32_e32 v6, vcc, s12, v6
	v_addc_co_u32_e32 v7, vcc, v5, v7, vcc
	global_load_dwordx2 v[8:9], v[6:7], off
	s_add_i32 s3, s3, -2
	s_cmp_lg_u32 s3, 0
	v_add_u32_e32 v2, 2, v2
	s_waitcnt vmcnt(0)
	v_div_scale_f32 v3, s[0:1], v1, v1, v9
	v_div_scale_f32 v11, s[0:1], v0, v0, v8
	v_rcp_f32_e32 v12, v3
	v_rcp_f32_e32 v13, v11
	v_div_scale_f32 v10, vcc, v9, v1, v9
	v_fma_f32 v15, -v3, v12, 1.0
	v_fma_f32 v16, -v11, v13, 1.0
	v_fmac_f32_e32 v12, v15, v12
	v_div_scale_f32 v14, s[0:1], v8, v0, v8
	v_fmac_f32_e32 v13, v16, v13
	v_mul_f32_e32 v15, v10, v12
	v_mul_f32_e32 v16, v14, v13
	v_fma_f32 v17, -v3, v15, v10
	v_fma_f32 v18, -v11, v16, v14
	v_fmac_f32_e32 v15, v17, v12
	v_fmac_f32_e32 v16, v18, v13
	v_fma_f32 v3, -v3, v15, v10
	v_fma_f32 v10, -v11, v16, v14
	v_div_fmas_f32 v3, v3, v12, v15
	s_mov_b64 vcc, s[0:1]
	v_div_fixup_f32 v9, v3, v1, v9
	v_div_fmas_f32 v3, v10, v13, v16
	v_div_fixup_f32 v8, v3, v0, v8
	global_store_dwordx2 v[6:7], v[8:9], off
	s_cbranch_scc1 .LBB154_15
; %bb.16:
	s_cmp_lg_u32 s2, s8
	s_cselect_b64 s[0:1], -1, 0
.LBB154_17:
	s_and_b64 vcc, exec, s[0:1]
	s_cbranch_vccz .LBB154_20
; %bb.18:
	v_ashrrev_i32_e32 v1, 31, v4
	v_add_co_u32_e32 v2, vcc, s2, v4
	v_addc_co_u32_e32 v3, vcc, 0, v1, vcc
	v_lshlrev_b64 v[2:3], 2, v[2:3]
	v_mov_b32_e32 v1, s13
	v_add_co_u32_e32 v2, vcc, s12, v2
	s_sub_i32 s0, s8, s2
	v_addc_co_u32_e32 v3, vcc, v1, v3, vcc
.LBB154_19:                             ; =>This Inner Loop Header: Depth=1
	global_load_dword v1, v[2:3], off
	s_add_i32 s0, s0, -1
	s_cmp_lg_u32 s0, 0
	s_waitcnt vmcnt(0)
	v_div_scale_f32 v4, s[2:3], v0, v0, v1
	v_rcp_f32_e32 v5, v4
	v_div_scale_f32 v6, vcc, v1, v0, v1
	v_fma_f32 v7, -v4, v5, 1.0
	v_fmac_f32_e32 v5, v7, v5
	v_mul_f32_e32 v7, v6, v5
	v_fma_f32 v8, -v4, v7, v6
	v_fmac_f32_e32 v7, v8, v5
	v_fma_f32 v4, -v4, v7, v6
	v_div_fmas_f32 v4, v4, v5, v7
	v_div_fixup_f32 v1, v4, v0, v1
	global_store_dword v[2:3], v1, off
	v_add_co_u32_e32 v2, vcc, 4, v2
	v_addc_co_u32_e32 v3, vcc, 0, v3, vcc
	s_cbranch_scc1 .LBB154_19
.LBB154_20:
	s_endpgm
	.section	.rodata,"a",@progbits
	.p2align	6, 0x0
	.amdhsa_kernel _ZN4vllm3moe10topkGatingILi8ELi8ELi4ELi16ELi64Ej14__hip_bfloat16LNS0_11ScoringFuncE0EEEvPKT5_PKbPfiPT4_PiiiibPKf
		.amdhsa_group_segment_fixed_size 0
		.amdhsa_private_segment_fixed_size 0
		.amdhsa_kernarg_size 72
		.amdhsa_user_sgpr_count 6
		.amdhsa_user_sgpr_private_segment_buffer 1
		.amdhsa_user_sgpr_dispatch_ptr 0
		.amdhsa_user_sgpr_queue_ptr 0
		.amdhsa_user_sgpr_kernarg_segment_ptr 1
		.amdhsa_user_sgpr_dispatch_id 0
		.amdhsa_user_sgpr_flat_scratch_init 0
		.amdhsa_user_sgpr_kernarg_preload_length 0
		.amdhsa_user_sgpr_kernarg_preload_offset 0
		.amdhsa_user_sgpr_private_segment_size 0
		.amdhsa_uses_dynamic_stack 0
		.amdhsa_system_sgpr_private_segment_wavefront_offset 0
		.amdhsa_system_sgpr_workgroup_id_x 1
		.amdhsa_system_sgpr_workgroup_id_y 0
		.amdhsa_system_sgpr_workgroup_id_z 0
		.amdhsa_system_sgpr_workgroup_info 0
		.amdhsa_system_vgpr_workitem_id 1
		.amdhsa_next_free_vgpr 32
		.amdhsa_next_free_sgpr 28
		.amdhsa_accum_offset 32
		.amdhsa_reserve_vcc 1
		.amdhsa_reserve_flat_scratch 0
		.amdhsa_float_round_mode_32 0
		.amdhsa_float_round_mode_16_64 0
		.amdhsa_float_denorm_mode_32 3
		.amdhsa_float_denorm_mode_16_64 3
		.amdhsa_dx10_clamp 1
		.amdhsa_ieee_mode 1
		.amdhsa_fp16_overflow 0
		.amdhsa_tg_split 0
		.amdhsa_exception_fp_ieee_invalid_op 0
		.amdhsa_exception_fp_denorm_src 0
		.amdhsa_exception_fp_ieee_div_zero 0
		.amdhsa_exception_fp_ieee_overflow 0
		.amdhsa_exception_fp_ieee_underflow 0
		.amdhsa_exception_fp_ieee_inexact 0
		.amdhsa_exception_int_div_zero 0
	.end_amdhsa_kernel
	.section	.text._ZN4vllm3moe10topkGatingILi8ELi8ELi4ELi16ELi64Ej14__hip_bfloat16LNS0_11ScoringFuncE0EEEvPKT5_PKbPfiPT4_PiiiibPKf,"axG",@progbits,_ZN4vllm3moe10topkGatingILi8ELi8ELi4ELi16ELi64Ej14__hip_bfloat16LNS0_11ScoringFuncE0EEEvPKT5_PKbPfiPT4_PiiiibPKf,comdat
.Lfunc_end154:
	.size	_ZN4vllm3moe10topkGatingILi8ELi8ELi4ELi16ELi64Ej14__hip_bfloat16LNS0_11ScoringFuncE0EEEvPKT5_PKbPfiPT4_PiiiibPKf, .Lfunc_end154-_ZN4vllm3moe10topkGatingILi8ELi8ELi4ELi16ELi64Ej14__hip_bfloat16LNS0_11ScoringFuncE0EEEvPKT5_PKbPfiPT4_PiiiibPKf
                                        ; -- End function
	.section	.AMDGPU.csdata,"",@progbits
; Kernel info:
; codeLenInByte = 2328
; NumSgprs: 32
; NumVgprs: 32
; NumAgprs: 0
; TotalNumVgprs: 32
; ScratchSize: 0
; MemoryBound: 1
; FloatMode: 240
; IeeeMode: 1
; LDSByteSize: 0 bytes/workgroup (compile time only)
; SGPRBlocks: 3
; VGPRBlocks: 3
; NumSGPRsForWavesPerEU: 32
; NumVGPRsForWavesPerEU: 32
; AccumOffset: 32
; Occupancy: 8
; WaveLimiterHint : 0
; COMPUTE_PGM_RSRC2:SCRATCH_EN: 0
; COMPUTE_PGM_RSRC2:USER_SGPR: 6
; COMPUTE_PGM_RSRC2:TRAP_HANDLER: 0
; COMPUTE_PGM_RSRC2:TGID_X_EN: 1
; COMPUTE_PGM_RSRC2:TGID_Y_EN: 0
; COMPUTE_PGM_RSRC2:TGID_Z_EN: 0
; COMPUTE_PGM_RSRC2:TIDIG_COMP_CNT: 1
; COMPUTE_PGM_RSRC3_GFX90A:ACCUM_OFFSET: 7
; COMPUTE_PGM_RSRC3_GFX90A:TG_SPLIT: 0
	.section	.text._ZN4vllm3moe10topkGatingILi8ELi8ELi4ELi16ELi32Ej14__hip_bfloat16LNS0_11ScoringFuncE0EEEvPKT5_PKbPfiPT4_PiiiibPKf,"axG",@progbits,_ZN4vllm3moe10topkGatingILi8ELi8ELi4ELi16ELi32Ej14__hip_bfloat16LNS0_11ScoringFuncE0EEEvPKT5_PKbPfiPT4_PiiiibPKf,comdat
	.protected	_ZN4vllm3moe10topkGatingILi8ELi8ELi4ELi16ELi32Ej14__hip_bfloat16LNS0_11ScoringFuncE0EEEvPKT5_PKbPfiPT4_PiiiibPKf ; -- Begin function _ZN4vllm3moe10topkGatingILi8ELi8ELi4ELi16ELi32Ej14__hip_bfloat16LNS0_11ScoringFuncE0EEEvPKT5_PKbPfiPT4_PiiiibPKf
	.globl	_ZN4vllm3moe10topkGatingILi8ELi8ELi4ELi16ELi32Ej14__hip_bfloat16LNS0_11ScoringFuncE0EEEvPKT5_PKbPfiPT4_PiiiibPKf
	.p2align	8
	.type	_ZN4vllm3moe10topkGatingILi8ELi8ELi4ELi16ELi32Ej14__hip_bfloat16LNS0_11ScoringFuncE0EEEvPKT5_PKbPfiPT4_PiiiibPKf,@function
_ZN4vllm3moe10topkGatingILi8ELi8ELi4ELi16ELi32Ej14__hip_bfloat16LNS0_11ScoringFuncE0EEEvPKT5_PKbPfiPT4_PiiiibPKf: ; @_ZN4vllm3moe10topkGatingILi8ELi8ELi4ELi16ELi32Ej14__hip_bfloat16LNS0_11ScoringFuncE0EEEvPKT5_PKbPfiPT4_PiiiibPKf
; %bb.0:
	s_load_dword s18, s[4:5], 0x18
	v_bfe_u32 v1, v0, 10, 10
	s_lshl_b32 s0, s6, 7
	v_lshlrev_b32_e32 v1, 5, v1
	v_and_b32_e32 v0, 0x3ff, v0
	v_add3_u32 v16, v1, v0, s0
	s_waitcnt lgkmcnt(0)
	v_cmp_gt_i32_e32 vcc, s18, v16
	s_and_saveexec_b64 s[0:1], vcc
	s_cbranch_execz .LBB155_20
; %bb.1:
	s_load_dwordx4 s[0:3], s[4:5], 0x0
	s_load_dwordx2 s[12:13], s[4:5], 0x10
	s_mov_b64 s[6:7], -1
	s_mov_b64 s[14:15], -1
	s_waitcnt lgkmcnt(0)
	s_cmp_eq_u64 s[2:3], 0
	s_cbranch_scc1 .LBB155_3
; %bb.2:
	v_ashrrev_i32_e32 v1, 31, v16
	v_mov_b32_e32 v2, s3
	v_add_co_u32_e32 v0, vcc, s2, v16
	v_addc_co_u32_e32 v1, vcc, v2, v1, vcc
	global_load_ubyte v0, v[0:1], off
	s_waitcnt vmcnt(0)
	v_and_b32_e32 v0, 1, v0
	v_cmp_eq_u32_e32 vcc, 1, v0
	s_xor_b64 s[2:3], vcc, -1
	s_orn2_b64 s[14:15], s[2:3], exec
.LBB155_3:
	v_lshlrev_b32_e32 v0, 3, v16
	v_ashrrev_i32_e32 v1, 31, v0
	v_lshlrev_b64 v[0:1], 1, v[0:1]
	v_mov_b32_e32 v2, s1
	v_add_co_u32_e32 v0, vcc, s0, v0
	v_addc_co_u32_e32 v1, vcc, v2, v1, vcc
	global_load_dwordx4 v[0:3], v[0:1], off
	s_mov_b32 s2, 0x3fb8aa3b
	s_mov_b32 s0, 0xc2ce8ed0
	;; [unrolled: 1-line block ×3, first 2 shown]
	v_mov_b32_e32 v10, 0x7f800000
	s_waitcnt vmcnt(0)
	v_and_b32_e32 v5, 0xffff0000, v0
	v_lshlrev_b32_e32 v4, 16, v0
	v_and_b32_e32 v7, 0xffff0000, v1
	v_lshlrev_b32_e32 v6, 16, v1
	;; [unrolled: 2-line block ×4, first 2 shown]
	v_max_f32_e32 v2, v5, v5
	v_max_f32_e32 v3, v4, v4
	;; [unrolled: 1-line block ×3, first 2 shown]
	v_max3_f32 v2, v2, v6, v7
	v_max3_f32 v2, v2, v0, v1
	;; [unrolled: 1-line block ×3, first 2 shown]
	v_pk_add_f32 v[4:5], v[4:5], v[2:3] op_sel_hi:[1,0] neg_lo:[0,1] neg_hi:[0,1]
	v_pk_add_f32 v[6:7], v[6:7], v[2:3] op_sel_hi:[1,0] neg_lo:[0,1] neg_hi:[0,1]
	;; [unrolled: 1-line block ×3, first 2 shown]
	v_mul_f32_e32 v3, 0x3fb8aa3b, v5
	v_mul_f32_e32 v11, 0x3fb8aa3b, v4
	v_fma_f32 v17, v5, s2, -v3
	v_rndne_f32_e32 v18, v3
	v_mul_f32_e32 v12, 0x3fb8aa3b, v7
	v_fma_f32 v19, v4, s2, -v11
	v_rndne_f32_e32 v20, v11
	v_fmac_f32_e32 v17, 0x32a5705f, v5
	v_sub_f32_e32 v3, v3, v18
	v_mul_f32_e32 v13, 0x3fb8aa3b, v6
	v_fma_f32 v21, v7, s2, -v12
	v_rndne_f32_e32 v22, v12
	v_fmac_f32_e32 v19, 0x32a5705f, v4
	v_sub_f32_e32 v11, v11, v20
	v_add_f32_e32 v3, v3, v17
	v_mul_f32_e32 v14, 0x3fb8aa3b, v1
	v_fma_f32 v23, v6, s2, -v13
	v_rndne_f32_e32 v24, v13
	v_cvt_i32_f32_e32 v18, v18
	v_fmac_f32_e32 v21, 0x32a5705f, v7
	v_sub_f32_e32 v12, v12, v22
	v_add_f32_e32 v11, v11, v19
	v_exp_f32_e32 v3, v3
	v_fma_f32 v25, v1, s2, -v14
	v_rndne_f32_e32 v26, v14
	v_cvt_i32_f32_e32 v20, v20
	v_fmac_f32_e32 v23, 0x32a5705f, v6
	v_sub_f32_e32 v13, v13, v24
	v_add_f32_e32 v12, v12, v21
	v_exp_f32_e32 v11, v11
	v_cvt_i32_f32_e32 v22, v22
	v_fmac_f32_e32 v25, 0x32a5705f, v1
	v_sub_f32_e32 v14, v14, v26
	v_add_f32_e32 v13, v13, v23
	v_exp_f32_e32 v12, v12
	v_cvt_i32_f32_e32 v24, v24
	v_add_f32_e32 v14, v14, v25
	v_exp_f32_e32 v13, v13
	v_cvt_i32_f32_e32 v26, v26
	v_exp_f32_e32 v14, v14
	v_ldexp_f32 v3, v3, v18
	v_cmp_ngt_f32_e32 vcc, s0, v5
	v_ldexp_f32 v11, v11, v20
	v_cndmask_b32_e32 v3, 0, v3, vcc
	v_cmp_ngt_f32_e32 vcc, s0, v4
	v_ldexp_f32 v12, v12, v22
	v_cndmask_b32_e32 v11, 0, v11, vcc
	;; [unrolled: 3-line block ×4, first 2 shown]
	v_cmp_ngt_f32_e32 vcc, s0, v1
	v_cndmask_b32_e32 v14, 0, v14, vcc
	v_cmp_nlt_f32_e32 vcc, s1, v5
	v_mul_f32_e32 v15, 0x3fb8aa3b, v0
	v_cndmask_b32_e32 v5, v10, v3, vcc
	v_cmp_nlt_f32_e32 vcc, s1, v4
	v_pk_add_f32 v[2:3], v[8:9], v[2:3] op_sel_hi:[1,0] neg_lo:[0,1] neg_hi:[0,1]
	v_fma_f32 v27, v0, s2, -v15
	v_rndne_f32_e32 v28, v15
	v_cndmask_b32_e32 v4, v10, v11, vcc
	v_cmp_nlt_f32_e32 vcc, s1, v7
	v_mul_f32_e32 v8, 0x3fb8aa3b, v3
	v_fmac_f32_e32 v27, 0x32a5705f, v0
	v_sub_f32_e32 v15, v15, v28
	v_cndmask_b32_e32 v7, v10, v12, vcc
	v_fma_f32 v9, v3, s2, -v8
	v_rndne_f32_e32 v12, v8
	v_add_f32_e32 v15, v15, v27
	v_fmac_f32_e32 v9, 0x32a5705f, v3
	v_sub_f32_e32 v8, v8, v12
	v_cvt_i32_f32_e32 v28, v28
	v_exp_f32_e32 v15, v15
	v_add_f32_e32 v8, v8, v9
	v_exp_f32_e32 v8, v8
	v_cvt_i32_f32_e32 v9, v12
	v_cmp_nlt_f32_e32 vcc, s1, v6
	v_cndmask_b32_e32 v6, v10, v13, vcc
	v_cmp_nlt_f32_e32 vcc, s1, v1
	v_cndmask_b32_e32 v1, v10, v14, vcc
	v_ldexp_f32 v11, v15, v28
	v_cmp_ngt_f32_e32 vcc, s0, v0
	v_cndmask_b32_e32 v11, 0, v11, vcc
	v_cmp_nlt_f32_e32 vcc, s1, v0
	v_ldexp_f32 v8, v8, v9
	v_mul_f32_e32 v9, 0x3fb8aa3b, v2
	v_cndmask_b32_e32 v0, v10, v11, vcc
	v_fma_f32 v11, v2, s2, -v9
	v_rndne_f32_e32 v12, v9
	v_fmac_f32_e32 v11, 0x32a5705f, v2
	v_sub_f32_e32 v9, v9, v12
	v_add_f32_e32 v9, v9, v11
	v_exp_f32_e32 v9, v9
	v_cvt_i32_f32_e32 v11, v12
	v_cmp_ngt_f32_e32 vcc, s0, v3
	v_cndmask_b32_e32 v8, 0, v8, vcc
	v_cmp_nlt_f32_e32 vcc, s1, v3
	v_cndmask_b32_e32 v3, v10, v8, vcc
	v_ldexp_f32 v8, v9, v11
	v_cmp_ngt_f32_e32 vcc, s0, v2
	v_cndmask_b32_e32 v8, 0, v8, vcc
	v_cmp_nlt_f32_e32 vcc, s1, v2
	v_cndmask_b32_e32 v2, v10, v8, vcc
	v_add_f32_e32 v8, v4, v5
	v_add_f32_e32 v8, v8, v6
	;; [unrolled: 1-line block ×7, first 2 shown]
	v_div_scale_f32 v9, s[0:1], v8, v8, 1.0
	v_rcp_f32_e32 v10, v9
	s_load_dwordx2 s[0:1], s[4:5], 0x40
	v_fma_f32 v11, -v9, v10, 1.0
	v_fmac_f32_e32 v10, v11, v10
	v_div_scale_f32 v11, vcc, 1.0, v8, 1.0
	v_mul_f32_e32 v12, v11, v10
	v_fma_f32 v13, -v9, v12, v11
	v_fmac_f32_e32 v12, v13, v10
	v_fma_f32 v9, -v9, v12, v11
	v_div_fmas_f32 v9, v9, v10, v12
	v_div_fixup_f32 v8, v9, v8, 1.0
	v_pk_mul_f32 v[4:5], v[8:9], v[4:5] op_sel_hi:[0,1]
	v_mov_b32_e32 v12, 0x207
	v_cmp_class_f32_e32 vcc, v5, v12
	v_pk_mul_f32 v[6:7], v[8:9], v[6:7] op_sel_hi:[0,1]
	v_pk_mul_f32 v[10:11], v[8:9], v[0:1] op_sel_hi:[0,1]
	v_cndmask_b32_e64 v1, v5, 0, vcc
	v_cmp_class_f32_e32 vcc, v4, v12
	v_cndmask_b32_e64 v0, v4, 0, vcc
	v_cmp_class_f32_e32 vcc, v7, v12
	v_pk_mul_f32 v[8:9], v[8:9], v[2:3] op_sel_hi:[0,1]
	v_cndmask_b32_e64 v3, v7, 0, vcc
	v_cmp_class_f32_e32 vcc, v6, v12
	v_cndmask_b32_e64 v2, v6, 0, vcc
	v_cmp_class_f32_e32 vcc, v11, v12
	;; [unrolled: 2-line block ×5, first 2 shown]
	s_waitcnt lgkmcnt(0)
	s_cmp_eq_u64 s[0:1], 0
	v_cndmask_b32_e64 v6, v8, 0, vcc
	s_cbranch_scc1 .LBB155_10
; %bb.4:
	s_load_dwordx8 s[20:27], s[0:1], 0x0
	s_waitcnt lgkmcnt(0)
	v_pk_add_f32 v[8:9], s[20:21], v[0:1]
	v_pk_add_f32 v[10:11], s[22:23], v[2:3]
	v_pk_add_f32 v[12:13], s[24:25], v[4:5]
	v_pk_add_f32 v[14:15], s[26:27], v[6:7]
	s_cbranch_execnz .LBB155_6
.LBB155_5:
	v_pk_mov_b32 v[14:15], v[6:7], v[6:7] op_sel:[0,1]
	v_pk_mov_b32 v[12:13], v[4:5], v[4:5] op_sel:[0,1]
	;; [unrolled: 1-line block ×4, first 2 shown]
.LBB155_6:
	s_load_dwordx4 s[8:11], s[4:5], 0x30
	s_waitcnt lgkmcnt(0)
	s_bitcmp1_b32 s11, 0
	s_cselect_b64 vcc, -1, 0
	s_cmp_gt_i32 s8, 0
	s_cselect_b64 s[16:17], -1, 0
	s_cmp_lt_i32 s8, 1
	s_mov_b32 s11, 0
	s_cbranch_scc1 .LBB155_11
; %bb.7:
	s_load_dwordx4 s[4:7], s[4:5], 0x20
	v_mul_lo_u32 v18, v16, s8
	v_mov_b32_e32 v17, 0
	v_mov_b32_e32 v19, s13
	;; [unrolled: 1-line block ×3, first 2 shown]
	s_waitcnt lgkmcnt(0)
	v_mov_b32_e32 v20, s5
	v_mov_b32_e32 v21, s7
	;; [unrolled: 1-line block ×3, first 2 shown]
.LBB155_8:                              ; =>This Inner Loop Header: Depth=1
	v_cmp_gt_f32_e64 s[0:1], v9, v8
	v_cndmask_b32_e64 v24, v8, v9, s[0:1]
	v_cndmask_b32_e64 v25, v0, v1, s[0:1]
	v_cndmask_b32_e64 v26, 0, 1, s[0:1]
	v_cmp_gt_f32_e64 s[0:1], v10, v24
	v_cndmask_b32_e64 v24, v24, v10, s[0:1]
	v_cndmask_b32_e64 v25, v25, v2, s[0:1]
	v_cndmask_b32_e64 v26, v26, 2, s[0:1]
	;; [unrolled: 4-line block ×6, first 2 shown]
	v_cmp_gt_f32_e64 s[0:1], v15, v24
	v_add_u32_e32 v24, s11, v18
	v_cndmask_b32_e64 v28, v25, v7, s[0:1]
	v_cndmask_b32_e64 v29, v26, 7, s[0:1]
	v_ashrrev_i32_e32 v25, 31, v24
	v_cmp_le_i32_e64 s[0:1], s9, v29
	v_cmp_gt_i32_e64 s[2:3], s10, v29
	v_lshlrev_b64 v[24:25], 2, v[24:25]
	s_and_b64 s[2:3], s[0:1], s[2:3]
	v_add_co_u32_e64 v26, s[0:1], s12, v24
	v_addc_co_u32_e64 v27, s[0:1], v19, v25, s[0:1]
	global_store_dword v[26:27], v28, off
	v_subrev_u32_e32 v26, s9, v29
	s_and_b64 s[0:1], s[14:15], s[2:3]
	v_cndmask_b32_e64 v30, 8, v26, s[0:1]
	v_add_co_u32_e64 v26, s[0:1], s4, v24
	v_addc_co_u32_e64 v27, s[0:1], v20, v25, s[0:1]
	v_add_co_u32_e64 v24, s[0:1], s6, v24
	v_addc_co_u32_e64 v25, s[0:1], v21, v25, s[0:1]
	global_store_dword v[26:27], v30, off
	global_store_dword v[24:25], v23, off
	v_add_f32_e32 v24, v17, v28
	v_cmp_ne_u32_e64 s[0:1], 0, v29
	v_cndmask_b32_e32 v17, v17, v24, vcc
	v_cndmask_b32_e64 v24, v22, v8, s[0:1]
	v_cmp_ne_u32_e64 s[0:1], 1, v29
	v_cndmask_b32_e64 v25, v22, v9, s[0:1]
	v_cmp_ne_u32_e64 s[0:1], 2, v29
	;; [unrolled: 2-line block ×5, first 2 shown]
	s_add_i32 s11, s11, 1
	v_cndmask_b32_e64 v30, v22, v13, s[0:1]
	v_cmp_ne_u32_e64 s[0:1], 6, v29
	s_cmp_lt_i32 s11, s8
	v_cndmask_b32_e64 v31, v22, v14, s[0:1]
	v_cmp_ne_u32_e64 s[0:1], 7, v29
	v_cndmask_b32_e64 v29, v22, v15, s[0:1]
	s_cselect_b64 s[0:1], -1, 0
	v_cndmask_b32_e64 v15, v15, v29, s[0:1]
	v_cndmask_b32_e64 v14, v14, v31, s[0:1]
	;; [unrolled: 1-line block ×8, first 2 shown]
	s_cmp_eq_u32 s8, s11
	v_add_u32_e32 v23, s18, v23
	s_cbranch_scc0 .LBB155_8
; %bb.9:
	s_and_b64 vcc, exec, vcc
	s_cbranch_vccnz .LBB155_12
	s_branch .LBB155_20
.LBB155_10:
                                        ; implicit-def: $vgpr8_vgpr9_vgpr10_vgpr11_vgpr12_vgpr13_vgpr14_vgpr15
	s_andn2_b64 vcc, exec, s[6:7]
	s_cbranch_vccz .LBB155_5
	s_branch .LBB155_6
.LBB155_11:
	v_mov_b32_e32 v17, 0
	s_and_b64 vcc, exec, vcc
	s_cbranch_vccz .LBB155_20
.LBB155_12:
	s_andn2_b64 vcc, exec, s[16:17]
	s_cbranch_vccnz .LBB155_20
; %bb.13:
	v_cmp_lt_f32_e32 vcc, 0, v17
	s_mov_b32 s2, 0
	v_cndmask_b32_e32 v0, 1.0, v17, vcc
	v_mul_lo_u32 v4, v16, s8
	s_cmp_eq_u32 s8, 1
	s_mov_b64 s[0:1], -1
	s_cbranch_scc1 .LBB155_17
; %bb.14:
	s_and_b32 s2, s8, 0x7ffffffe
	v_mov_b32_e32 v1, v0
	v_mov_b32_e32 v5, s13
	s_mov_b32 s3, s2
	v_mov_b32_e32 v2, v4
.LBB155_15:                             ; =>This Inner Loop Header: Depth=1
	v_ashrrev_i32_e32 v3, 31, v2
	v_lshlrev_b64 v[6:7], 2, v[2:3]
	v_add_co_u32_e32 v6, vcc, s12, v6
	v_addc_co_u32_e32 v7, vcc, v5, v7, vcc
	global_load_dwordx2 v[8:9], v[6:7], off
	s_add_i32 s3, s3, -2
	s_cmp_lg_u32 s3, 0
	v_add_u32_e32 v2, 2, v2
	s_waitcnt vmcnt(0)
	v_div_scale_f32 v3, s[0:1], v1, v1, v9
	v_div_scale_f32 v11, s[0:1], v0, v0, v8
	v_rcp_f32_e32 v12, v3
	v_rcp_f32_e32 v13, v11
	v_div_scale_f32 v10, vcc, v9, v1, v9
	v_fma_f32 v15, -v3, v12, 1.0
	v_fma_f32 v16, -v11, v13, 1.0
	v_fmac_f32_e32 v12, v15, v12
	v_div_scale_f32 v14, s[0:1], v8, v0, v8
	v_fmac_f32_e32 v13, v16, v13
	v_mul_f32_e32 v15, v10, v12
	v_mul_f32_e32 v16, v14, v13
	v_fma_f32 v17, -v3, v15, v10
	v_fma_f32 v18, -v11, v16, v14
	v_fmac_f32_e32 v15, v17, v12
	v_fmac_f32_e32 v16, v18, v13
	v_fma_f32 v3, -v3, v15, v10
	v_fma_f32 v10, -v11, v16, v14
	v_div_fmas_f32 v3, v3, v12, v15
	s_mov_b64 vcc, s[0:1]
	v_div_fixup_f32 v9, v3, v1, v9
	v_div_fmas_f32 v3, v10, v13, v16
	v_div_fixup_f32 v8, v3, v0, v8
	global_store_dwordx2 v[6:7], v[8:9], off
	s_cbranch_scc1 .LBB155_15
; %bb.16:
	s_cmp_lg_u32 s2, s8
	s_cselect_b64 s[0:1], -1, 0
.LBB155_17:
	s_and_b64 vcc, exec, s[0:1]
	s_cbranch_vccz .LBB155_20
; %bb.18:
	v_ashrrev_i32_e32 v1, 31, v4
	v_add_co_u32_e32 v2, vcc, s2, v4
	v_addc_co_u32_e32 v3, vcc, 0, v1, vcc
	v_lshlrev_b64 v[2:3], 2, v[2:3]
	v_mov_b32_e32 v1, s13
	v_add_co_u32_e32 v2, vcc, s12, v2
	s_sub_i32 s0, s8, s2
	v_addc_co_u32_e32 v3, vcc, v1, v3, vcc
.LBB155_19:                             ; =>This Inner Loop Header: Depth=1
	global_load_dword v1, v[2:3], off
	s_add_i32 s0, s0, -1
	s_cmp_lg_u32 s0, 0
	s_waitcnt vmcnt(0)
	v_div_scale_f32 v4, s[2:3], v0, v0, v1
	v_rcp_f32_e32 v5, v4
	v_div_scale_f32 v6, vcc, v1, v0, v1
	v_fma_f32 v7, -v4, v5, 1.0
	v_fmac_f32_e32 v5, v7, v5
	v_mul_f32_e32 v7, v6, v5
	v_fma_f32 v8, -v4, v7, v6
	v_fmac_f32_e32 v7, v8, v5
	v_fma_f32 v4, -v4, v7, v6
	v_div_fmas_f32 v4, v4, v5, v7
	v_div_fixup_f32 v1, v4, v0, v1
	global_store_dword v[2:3], v1, off
	v_add_co_u32_e32 v2, vcc, 4, v2
	v_addc_co_u32_e32 v3, vcc, 0, v3, vcc
	s_cbranch_scc1 .LBB155_19
.LBB155_20:
	s_endpgm
	.section	.rodata,"a",@progbits
	.p2align	6, 0x0
	.amdhsa_kernel _ZN4vllm3moe10topkGatingILi8ELi8ELi4ELi16ELi32Ej14__hip_bfloat16LNS0_11ScoringFuncE0EEEvPKT5_PKbPfiPT4_PiiiibPKf
		.amdhsa_group_segment_fixed_size 0
		.amdhsa_private_segment_fixed_size 0
		.amdhsa_kernarg_size 72
		.amdhsa_user_sgpr_count 6
		.amdhsa_user_sgpr_private_segment_buffer 1
		.amdhsa_user_sgpr_dispatch_ptr 0
		.amdhsa_user_sgpr_queue_ptr 0
		.amdhsa_user_sgpr_kernarg_segment_ptr 1
		.amdhsa_user_sgpr_dispatch_id 0
		.amdhsa_user_sgpr_flat_scratch_init 0
		.amdhsa_user_sgpr_kernarg_preload_length 0
		.amdhsa_user_sgpr_kernarg_preload_offset 0
		.amdhsa_user_sgpr_private_segment_size 0
		.amdhsa_uses_dynamic_stack 0
		.amdhsa_system_sgpr_private_segment_wavefront_offset 0
		.amdhsa_system_sgpr_workgroup_id_x 1
		.amdhsa_system_sgpr_workgroup_id_y 0
		.amdhsa_system_sgpr_workgroup_id_z 0
		.amdhsa_system_sgpr_workgroup_info 0
		.amdhsa_system_vgpr_workitem_id 1
		.amdhsa_next_free_vgpr 32
		.amdhsa_next_free_sgpr 28
		.amdhsa_accum_offset 32
		.amdhsa_reserve_vcc 1
		.amdhsa_reserve_flat_scratch 0
		.amdhsa_float_round_mode_32 0
		.amdhsa_float_round_mode_16_64 0
		.amdhsa_float_denorm_mode_32 3
		.amdhsa_float_denorm_mode_16_64 3
		.amdhsa_dx10_clamp 1
		.amdhsa_ieee_mode 1
		.amdhsa_fp16_overflow 0
		.amdhsa_tg_split 0
		.amdhsa_exception_fp_ieee_invalid_op 0
		.amdhsa_exception_fp_denorm_src 0
		.amdhsa_exception_fp_ieee_div_zero 0
		.amdhsa_exception_fp_ieee_overflow 0
		.amdhsa_exception_fp_ieee_underflow 0
		.amdhsa_exception_fp_ieee_inexact 0
		.amdhsa_exception_int_div_zero 0
	.end_amdhsa_kernel
	.section	.text._ZN4vllm3moe10topkGatingILi8ELi8ELi4ELi16ELi32Ej14__hip_bfloat16LNS0_11ScoringFuncE0EEEvPKT5_PKbPfiPT4_PiiiibPKf,"axG",@progbits,_ZN4vllm3moe10topkGatingILi8ELi8ELi4ELi16ELi32Ej14__hip_bfloat16LNS0_11ScoringFuncE0EEEvPKT5_PKbPfiPT4_PiiiibPKf,comdat
.Lfunc_end155:
	.size	_ZN4vllm3moe10topkGatingILi8ELi8ELi4ELi16ELi32Ej14__hip_bfloat16LNS0_11ScoringFuncE0EEEvPKT5_PKbPfiPT4_PiiiibPKf, .Lfunc_end155-_ZN4vllm3moe10topkGatingILi8ELi8ELi4ELi16ELi32Ej14__hip_bfloat16LNS0_11ScoringFuncE0EEEvPKT5_PKbPfiPT4_PiiiibPKf
                                        ; -- End function
	.section	.AMDGPU.csdata,"",@progbits
; Kernel info:
; codeLenInByte = 2328
; NumSgprs: 32
; NumVgprs: 32
; NumAgprs: 0
; TotalNumVgprs: 32
; ScratchSize: 0
; MemoryBound: 1
; FloatMode: 240
; IeeeMode: 1
; LDSByteSize: 0 bytes/workgroup (compile time only)
; SGPRBlocks: 3
; VGPRBlocks: 3
; NumSGPRsForWavesPerEU: 32
; NumVGPRsForWavesPerEU: 32
; AccumOffset: 32
; Occupancy: 8
; WaveLimiterHint : 0
; COMPUTE_PGM_RSRC2:SCRATCH_EN: 0
; COMPUTE_PGM_RSRC2:USER_SGPR: 6
; COMPUTE_PGM_RSRC2:TRAP_HANDLER: 0
; COMPUTE_PGM_RSRC2:TGID_X_EN: 1
; COMPUTE_PGM_RSRC2:TGID_Y_EN: 0
; COMPUTE_PGM_RSRC2:TGID_Z_EN: 0
; COMPUTE_PGM_RSRC2:TIDIG_COMP_CNT: 1
; COMPUTE_PGM_RSRC3_GFX90A:ACCUM_OFFSET: 7
; COMPUTE_PGM_RSRC3_GFX90A:TG_SPLIT: 0
	.section	.text._ZN4vllm3moe10topkGatingILi8ELi16ELi4ELi16ELi64Ej14__hip_bfloat16LNS0_11ScoringFuncE0EEEvPKT5_PKbPfiPT4_PiiiibPKf,"axG",@progbits,_ZN4vllm3moe10topkGatingILi8ELi16ELi4ELi16ELi64Ej14__hip_bfloat16LNS0_11ScoringFuncE0EEEvPKT5_PKbPfiPT4_PiiiibPKf,comdat
	.protected	_ZN4vllm3moe10topkGatingILi8ELi16ELi4ELi16ELi64Ej14__hip_bfloat16LNS0_11ScoringFuncE0EEEvPKT5_PKbPfiPT4_PiiiibPKf ; -- Begin function _ZN4vllm3moe10topkGatingILi8ELi16ELi4ELi16ELi64Ej14__hip_bfloat16LNS0_11ScoringFuncE0EEEvPKT5_PKbPfiPT4_PiiiibPKf
	.globl	_ZN4vllm3moe10topkGatingILi8ELi16ELi4ELi16ELi64Ej14__hip_bfloat16LNS0_11ScoringFuncE0EEEvPKT5_PKbPfiPT4_PiiiibPKf
	.p2align	8
	.type	_ZN4vllm3moe10topkGatingILi8ELi16ELi4ELi16ELi64Ej14__hip_bfloat16LNS0_11ScoringFuncE0EEEvPKT5_PKbPfiPT4_PiiiibPKf,@function
_ZN4vllm3moe10topkGatingILi8ELi16ELi4ELi16ELi64Ej14__hip_bfloat16LNS0_11ScoringFuncE0EEEvPKT5_PKbPfiPT4_PiiiibPKf: ; @_ZN4vllm3moe10topkGatingILi8ELi16ELi4ELi16ELi64Ej14__hip_bfloat16LNS0_11ScoringFuncE0EEEvPKT5_PKbPfiPT4_PiiiibPKf
; %bb.0:
	s_load_dword s24, s[4:5], 0x18
	v_bfe_u32 v1, v0, 10, 10
	v_and_b32_e32 v0, 0x3ff, v0
	s_lshl_b32 s0, s6, 7
	v_lshlrev_b32_e32 v1, 5, v1
	v_lshrrev_b32_e32 v2, 1, v0
	v_add3_u32 v16, s0, v1, v2
	s_waitcnt lgkmcnt(0)
	v_cmp_gt_i32_e32 vcc, s24, v16
	s_and_saveexec_b64 s[0:1], vcc
	s_cbranch_execz .LBB156_30
; %bb.1:
	s_load_dwordx4 s[0:3], s[4:5], 0x0
	s_load_dwordx2 s[6:7], s[4:5], 0x10
	s_mov_b64 s[8:9], -1
	s_mov_b64 s[16:17], -1
	s_waitcnt lgkmcnt(0)
	s_cmp_eq_u64 s[2:3], 0
	s_cbranch_scc1 .LBB156_3
; %bb.2:
	v_ashrrev_i32_e32 v1, 31, v16
	v_mov_b32_e32 v3, s3
	v_add_co_u32_e32 v2, vcc, s2, v16
	v_addc_co_u32_e32 v3, vcc, v3, v1, vcc
	global_load_ubyte v1, v[2:3], off
	s_waitcnt vmcnt(0)
	v_and_b32_e32 v1, 1, v1
	v_cmp_eq_u32_e32 vcc, 1, v1
	s_xor_b64 s[2:3], vcc, -1
	s_orn2_b64 s[16:17], s[2:3], exec
.LBB156_3:
	v_lshlrev_b32_e32 v2, 4, v16
	v_ashrrev_i32_e32 v3, 31, v2
	v_lshlrev_b64 v[2:3], 1, v[2:3]
	v_mov_b32_e32 v1, s1
	v_add_co_u32_e32 v2, vcc, s0, v2
	v_and_b32_e32 v17, 1, v0
	v_addc_co_u32_e32 v1, vcc, v1, v3, vcc
	v_lshlrev_b32_e32 v0, 4, v17
	v_add_co_u32_e32 v0, vcc, v2, v0
	v_addc_co_u32_e32 v1, vcc, 0, v1, vcc
	global_load_dwordx4 v[0:3], v[0:1], off
	v_mbcnt_lo_u32_b32 v4, -1, 0
	v_mbcnt_hi_u32_b32 v4, -1, v4
	v_and_b32_e32 v6, 0x7e, v4
	v_xor_b32_e32 v5, 1, v4
	v_add_u32_e32 v6, 2, v6
	v_cmp_lt_i32_e32 vcc, v5, v6
	v_cndmask_b32_e32 v4, v4, v5, vcc
	v_lshlrev_b32_e32 v18, 2, v4
	s_mov_b32 s0, 0x3fb8aa3b
	s_mov_b32 s1, 0xc2ce8ed0
	s_mov_b32 s2, 0x42b17218
	v_mov_b32_e32 v10, 0x7f800000
	s_waitcnt vmcnt(0)
	v_lshlrev_b32_e32 v7, 16, v1
	v_and_b32_e32 v4, 0xffff0000, v1
	v_and_b32_e32 v1, 0xffff0000, v0
	v_lshlrev_b32_e32 v0, 16, v0
	v_max_f32_e32 v6, v1, v1
	v_max_f32_e32 v9, v0, v0
	;; [unrolled: 1-line block ×3, first 2 shown]
	v_lshlrev_b32_e32 v5, 16, v2
	v_and_b32_e32 v2, 0xffff0000, v2
	v_max3_f32 v6, v6, v7, v4
	v_and_b32_e32 v8, 0xffff0000, v3
	v_lshlrev_b32_e32 v3, 16, v3
	v_max3_f32 v6, v6, v5, v2
	v_max3_f32 v6, v6, v3, v8
	ds_bpermute_b32 v9, v18, v6
	s_waitcnt lgkmcnt(0)
	v_max_f32_e32 v9, v9, v9
	v_max_f32_e32 v6, v6, v9
	v_pk_add_f32 v[0:1], v[0:1], v[6:7] op_sel_hi:[1,0] neg_lo:[0,1] neg_hi:[0,1]
	v_mul_f32_e32 v9, 0x3fb8aa3b, v1
	v_sub_f32_e32 v7, v7, v6
	v_mul_f32_e32 v11, 0x3fb8aa3b, v0
	v_fma_f32 v15, v1, s0, -v9
	v_rndne_f32_e32 v19, v9
	v_pk_add_f32 v[4:5], v[4:5], v[6:7] op_sel_hi:[1,0] neg_lo:[0,1] neg_hi:[0,1]
	v_mul_f32_e32 v12, 0x3fb8aa3b, v7
	v_fma_f32 v20, v0, s0, -v11
	v_rndne_f32_e32 v21, v11
	v_fmac_f32_e32 v15, 0x32a5705f, v1
	v_sub_f32_e32 v9, v9, v19
	v_mul_f32_e32 v13, 0x3fb8aa3b, v5
	v_fma_f32 v22, v7, s0, -v12
	v_rndne_f32_e32 v23, v12
	v_fmac_f32_e32 v20, 0x32a5705f, v0
	v_sub_f32_e32 v11, v11, v21
	v_add_f32_e32 v9, v9, v15
	v_mul_f32_e32 v14, 0x3fb8aa3b, v4
	v_fma_f32 v24, v5, s0, -v13
	v_rndne_f32_e32 v25, v13
	v_cvt_i32_f32_e32 v19, v19
	v_fmac_f32_e32 v22, 0x32a5705f, v7
	v_sub_f32_e32 v12, v12, v23
	v_add_f32_e32 v11, v11, v20
	v_exp_f32_e32 v9, v9
	v_fma_f32 v26, v4, s0, -v14
	v_rndne_f32_e32 v27, v14
	v_cvt_i32_f32_e32 v21, v21
	v_fmac_f32_e32 v24, 0x32a5705f, v5
	v_sub_f32_e32 v13, v13, v25
	v_add_f32_e32 v12, v12, v22
	v_exp_f32_e32 v11, v11
	v_cvt_i32_f32_e32 v23, v23
	v_fmac_f32_e32 v26, 0x32a5705f, v4
	v_sub_f32_e32 v14, v14, v27
	v_add_f32_e32 v13, v13, v24
	v_exp_f32_e32 v12, v12
	v_cvt_i32_f32_e32 v25, v25
	v_add_f32_e32 v14, v14, v26
	v_exp_f32_e32 v13, v13
	v_cvt_i32_f32_e32 v27, v27
	v_exp_f32_e32 v14, v14
	v_ldexp_f32 v9, v9, v19
	v_cmp_ngt_f32_e32 vcc, s1, v1
	v_ldexp_f32 v11, v11, v21
	v_cndmask_b32_e32 v9, 0, v9, vcc
	v_cmp_ngt_f32_e32 vcc, s1, v0
	v_ldexp_f32 v12, v12, v23
	v_cndmask_b32_e32 v11, 0, v11, vcc
	;; [unrolled: 3-line block ×4, first 2 shown]
	v_cmp_ngt_f32_e32 vcc, s1, v4
	v_cndmask_b32_e32 v14, 0, v14, vcc
	v_cmp_nlt_f32_e32 vcc, s2, v1
	v_cndmask_b32_e32 v9, v10, v9, vcc
	v_cmp_nlt_f32_e32 vcc, s2, v0
	v_cndmask_b32_e32 v11, v10, v11, vcc
	v_cmp_nlt_f32_e32 vcc, s2, v7
	v_cndmask_b32_e32 v7, v10, v12, vcc
	v_add_f32_e32 v0, v11, v9
	v_pk_add_f32 v[2:3], v[2:3], v[6:7] op_sel_hi:[1,0] neg_lo:[0,1] neg_hi:[0,1]
	v_cmp_nlt_f32_e32 vcc, s2, v5
	v_add_f32_e32 v5, v0, v7
	v_mul_f32_e32 v0, 0x3fb8aa3b, v3
	v_cndmask_b32_e32 v1, v10, v13, vcc
	v_fma_f32 v12, v3, s0, -v0
	v_rndne_f32_e32 v13, v0
	v_fmac_f32_e32 v12, 0x32a5705f, v3
	v_sub_f32_e32 v0, v0, v13
	v_add_f32_e32 v0, v0, v12
	v_exp_f32_e32 v12, v0
	v_cvt_i32_f32_e32 v13, v13
	v_cmp_nlt_f32_e32 vcc, s2, v4
	v_cndmask_b32_e32 v0, v10, v14, vcc
	v_add_f32_e32 v4, v5, v0
	v_ldexp_f32 v5, v12, v13
	v_mul_f32_e32 v12, 0x3fb8aa3b, v2
	v_fma_f32 v13, v2, s0, -v12
	v_rndne_f32_e32 v14, v12
	v_fmac_f32_e32 v13, 0x32a5705f, v2
	v_sub_f32_e32 v12, v12, v14
	v_add_f32_e32 v12, v12, v13
	v_exp_f32_e32 v12, v12
	v_cvt_i32_f32_e32 v13, v14
	v_cmp_ngt_f32_e32 vcc, s1, v3
	v_sub_f32_e32 v6, v8, v6
	v_cndmask_b32_e32 v5, 0, v5, vcc
	v_cmp_nlt_f32_e32 vcc, s2, v3
	v_mul_f32_e32 v8, 0x3fb8aa3b, v6
	v_cndmask_b32_e32 v3, v10, v5, vcc
	v_ldexp_f32 v5, v12, v13
	v_fma_f32 v12, v6, s0, -v8
	v_rndne_f32_e32 v13, v8
	v_fmac_f32_e32 v12, 0x32a5705f, v6
	v_sub_f32_e32 v8, v8, v13
	v_add_f32_e32 v8, v8, v12
	v_exp_f32_e32 v8, v8
	v_cvt_i32_f32_e32 v12, v13
	v_cmp_ngt_f32_e32 vcc, s1, v2
	v_cndmask_b32_e32 v5, 0, v5, vcc
	v_cmp_nlt_f32_e32 vcc, s2, v2
	v_add_f32_e32 v4, v4, v1
	v_cndmask_b32_e32 v2, v10, v5, vcc
	v_ldexp_f32 v5, v8, v12
	v_cmp_ngt_f32_e32 vcc, s1, v6
	v_add_f32_e32 v4, v4, v2
	v_cndmask_b32_e32 v5, 0, v5, vcc
	v_cmp_nlt_f32_e32 vcc, s2, v6
	v_add_f32_e32 v4, v4, v3
	v_cndmask_b32_e32 v5, v10, v5, vcc
	v_add_f32_e32 v4, v4, v5
	ds_bpermute_b32 v6, v18, v4
	s_movk_i32 s2, 0x1f8
	v_lshlrev_b32_e32 v19, 3, v17
	s_waitcnt lgkmcnt(0)
	v_add_f32_e32 v4, v4, v6
	v_div_scale_f32 v6, s[0:1], v4, v4, 1.0
	v_rcp_f32_e32 v8, v6
	s_load_dwordx2 s[0:1], s[4:5], 0x40
	v_fma_f32 v10, -v6, v8, 1.0
	v_fmac_f32_e32 v8, v10, v8
	v_div_scale_f32 v10, vcc, 1.0, v4, 1.0
	v_mul_f32_e32 v12, v10, v8
	v_fma_f32 v13, -v6, v12, v10
	v_fmac_f32_e32 v12, v13, v8
	v_fma_f32 v6, -v6, v12, v10
	v_div_fmas_f32 v6, v6, v8, v12
	v_div_fixup_f32 v4, v6, v4, 1.0
	v_mul_f32_e32 v10, v4, v11
	v_mul_f32_e32 v11, v4, v9
	v_cmp_class_f32_e64 vcc, v10, s2
	v_mul_f32_e32 v12, v4, v7
	v_pk_mul_f32 v[6:7], v[4:5], v[0:1] op_sel_hi:[0,1]
	v_cndmask_b32_e32 v0, 0, v10, vcc
	v_cmp_class_f32_e64 vcc, v11, s2
	v_pk_mul_f32 v[8:9], v[4:5], v[2:3] op_sel_hi:[0,1]
	v_mul_f32_e32 v13, v4, v5
	v_cndmask_b32_e32 v1, 0, v11, vcc
	v_cmp_class_f32_e64 vcc, v12, s2
	v_mov_b32_e32 v5, 0x207
	v_cndmask_b32_e32 v2, 0, v12, vcc
	v_cmp_class_f32_e32 vcc, v7, v5
	v_cndmask_b32_e64 v4, v7, 0, vcc
	v_cmp_class_f32_e32 vcc, v6, v5
	v_cndmask_b32_e64 v3, v6, 0, vcc
	;; [unrolled: 2-line block ×4, first 2 shown]
	v_cmp_class_f32_e64 vcc, v13, s2
	s_waitcnt lgkmcnt(0)
	s_cmp_eq_u64 s[0:1], 0
	v_cndmask_b32_e32 v7, 0, v13, vcc
	s_cbranch_scc1 .LBB156_19
; %bb.4:
	v_lshlrev_b32_e32 v20, 2, v19
	global_load_dwordx4 v[8:11], v20, s[0:1]
	global_load_dwordx4 v[12:15], v20, s[0:1] offset:16
	s_waitcnt vmcnt(1)
	v_pk_add_f32 v[8:9], v[8:9], v[0:1]
	v_pk_add_f32 v[10:11], v[10:11], v[2:3]
	s_waitcnt vmcnt(0)
	v_pk_add_f32 v[12:13], v[12:13], v[4:5]
	v_pk_add_f32 v[14:15], v[14:15], v[6:7]
	s_cbranch_execnz .LBB156_6
.LBB156_5:
	v_pk_mov_b32 v[14:15], v[6:7], v[6:7] op_sel:[0,1]
	v_pk_mov_b32 v[12:13], v[4:5], v[4:5] op_sel:[0,1]
	;; [unrolled: 1-line block ×4, first 2 shown]
.LBB156_6:
	s_load_dwordx4 s[8:11], s[4:5], 0x30
	s_mov_b32 s25, 0
	v_cmp_eq_u32_e64 s[0:1], 0, v17
	s_waitcnt lgkmcnt(0)
	s_bitcmp1_b32 s11, 0
	s_cselect_b64 vcc, -1, 0
	s_cmp_gt_i32 s8, 0
	s_cselect_b64 s[18:19], -1, 0
	s_cmp_lt_i32 s8, 1
	s_cbranch_scc1 .LBB156_20
; %bb.7:
	s_load_dwordx4 s[12:15], s[4:5], 0x20
	v_mul_lo_u32 v21, v16, s8
	v_mov_b32_e32 v20, 0
	v_mov_b32_e32 v22, 0xc61c4000
	;; [unrolled: 1-line block ×3, first 2 shown]
	s_branch .LBB156_10
.LBB156_8:                              ;   in Loop: Header=BB156_10 Depth=1
	s_or_b64 exec, exec, s[4:5]
.LBB156_9:                              ;   in Loop: Header=BB156_10 Depth=1
	s_cmp_eq_u32 s8, s25
	v_add_u32_e32 v23, s24, v23
	s_cbranch_scc1 .LBB156_21
.LBB156_10:                             ; =>This Inner Loop Header: Depth=1
	v_cmp_gt_f32_e64 s[2:3], v9, v8
	v_cndmask_b32_e64 v24, v8, v9, s[2:3]
	v_cndmask_b32_e64 v25, v0, v1, s[2:3]
	v_cndmask_b32_e64 v26, 0, 1, s[2:3]
	v_cmp_gt_f32_e64 s[2:3], v10, v24
	v_cndmask_b32_e64 v24, v24, v10, s[2:3]
	v_cndmask_b32_e64 v25, v25, v2, s[2:3]
	v_cndmask_b32_e64 v26, v26, 2, s[2:3]
	;; [unrolled: 4-line block ×7, first 2 shown]
	v_or_b32_e32 v24, v19, v24
	ds_bpermute_b32 v29, v18, v28
	ds_bpermute_b32 v27, v18, v25
	;; [unrolled: 1-line block ×3, first 2 shown]
	s_waitcnt lgkmcnt(0)
	v_cmp_lt_f32_e64 s[20:21], v28, v29
	v_cmp_nlt_f32_e64 s[2:3], v28, v29
	s_and_saveexec_b64 s[22:23], s[2:3]
	s_cbranch_execnz .LBB156_14
; %bb.11:                               ;   in Loop: Header=BB156_10 Depth=1
	s_or_b64 exec, exec, s[22:23]
	s_and_saveexec_b64 s[2:3], s[20:21]
	s_cbranch_execnz .LBB156_15
.LBB156_12:                             ;   in Loop: Header=BB156_10 Depth=1
	s_or_b64 exec, exec, s[2:3]
	s_and_saveexec_b64 s[20:21], s[0:1]
	s_cbranch_execnz .LBB156_16
.LBB156_13:                             ;   in Loop: Header=BB156_10 Depth=1
	s_or_b64 exec, exec, s[20:21]
	s_add_i32 s25, s25, 1
	s_cmp_ge_i32 s25, s8
	s_cbranch_scc1 .LBB156_9
	s_branch .LBB156_17
.LBB156_14:                             ;   in Loop: Header=BB156_10 Depth=1
	v_cmp_eq_f32_e64 s[2:3], v28, v29
	v_cmp_lt_i32_e64 s[4:5], v26, v24
	s_and_b64 s[2:3], s[2:3], s[4:5]
	s_andn2_b64 s[4:5], s[20:21], exec
	s_and_b64 s[2:3], s[2:3], exec
	s_or_b64 s[20:21], s[4:5], s[2:3]
	s_or_b64 exec, exec, s[22:23]
	s_and_saveexec_b64 s[2:3], s[20:21]
	s_cbranch_execz .LBB156_12
.LBB156_15:                             ;   in Loop: Header=BB156_10 Depth=1
	v_mov_b32_e32 v25, v27
	v_mov_b32_e32 v24, v26
	s_or_b64 exec, exec, s[2:3]
	s_and_saveexec_b64 s[20:21], s[0:1]
	s_cbranch_execz .LBB156_13
.LBB156_16:                             ;   in Loop: Header=BB156_10 Depth=1
	v_add_u32_e32 v26, s25, v21
	v_ashrrev_i32_e32 v27, 31, v26
	v_cmp_le_i32_e64 s[2:3], s9, v24
	v_cmp_gt_i32_e64 s[4:5], s10, v24
	v_lshlrev_b64 v[26:27], 2, v[26:27]
	s_and_b64 s[4:5], s[2:3], s[4:5]
	v_mov_b32_e32 v29, s7
	v_add_co_u32_e64 v28, s[2:3], s6, v26
	v_addc_co_u32_e64 v29, s[2:3], v29, v27, s[2:3]
	global_store_dword v[28:29], v25, off
	v_subrev_u32_e32 v28, s9, v24
	s_and_b64 s[2:3], s[16:17], s[4:5]
	v_cndmask_b32_e64 v30, 16, v28, s[2:3]
	v_mov_b32_e32 v29, s13
	v_add_co_u32_e64 v28, s[2:3], s12, v26
	v_addc_co_u32_e64 v29, s[2:3], v29, v27, s[2:3]
	global_store_dword v[28:29], v30, off
	v_mov_b32_e32 v28, s15
	v_add_co_u32_e64 v26, s[2:3], s14, v26
	v_add_f32_e32 v25, v20, v25
	v_addc_co_u32_e64 v27, s[2:3], v28, v27, s[2:3]
	v_cndmask_b32_e32 v20, v20, v25, vcc
	global_store_dword v[26:27], v23, off
	s_or_b64 exec, exec, s[20:21]
	s_add_i32 s25, s25, 1
	s_cmp_ge_i32 s25, s8
	s_cbranch_scc1 .LBB156_9
.LBB156_17:                             ;   in Loop: Header=BB156_10 Depth=1
	v_ashrrev_i32_e32 v26, 31, v24
	v_lshrrev_b32_e32 v25, 29, v26
	v_add_u32_e32 v27, v24, v25
	v_ashrrev_i32_e32 v25, 3, v27
	v_lshrrev_b32_e32 v27, 31, v27
	v_add_u32_e32 v27, v25, v27
	v_and_b32_e32 v27, -2, v27
	v_sub_u32_e32 v27, v25, v27
	v_cmp_eq_u32_e64 s[2:3], v17, v27
	s_and_saveexec_b64 s[4:5], s[2:3]
	s_cbranch_execz .LBB156_8
; %bb.18:                               ;   in Loop: Header=BB156_10 Depth=1
	v_lshrrev_b32_e32 v26, 28, v26
	v_add_u32_e32 v26, v24, v26
	v_lshlrev_b32_e32 v25, 3, v25
	v_ashrrev_i32_e32 v26, 4, v26
	v_sub_u32_e32 v24, v24, v25
	v_lshl_add_u32 v24, v26, 3, v24
	v_cmp_ne_u32_e64 s[2:3], 7, v24
	v_cndmask_b32_e64 v15, v22, v15, s[2:3]
	v_cmp_ne_u32_e64 s[2:3], 6, v24
	v_cndmask_b32_e64 v14, v22, v14, s[2:3]
	;; [unrolled: 2-line block ×8, first 2 shown]
	s_branch .LBB156_8
.LBB156_19:
                                        ; implicit-def: $vgpr8_vgpr9_vgpr10_vgpr11_vgpr12_vgpr13_vgpr14_vgpr15
	s_andn2_b64 vcc, exec, s[8:9]
	s_cbranch_vccz .LBB156_5
	s_branch .LBB156_6
.LBB156_20:
	v_mov_b32_e32 v20, 0
.LBB156_21:
	v_cmp_eq_u32_e64 s[0:1], 0, v17
	s_and_b64 s[0:1], s[0:1], vcc
	s_and_b64 exec, exec, s[0:1]
	s_cbranch_execz .LBB156_30
; %bb.22:
	s_andn2_b64 vcc, exec, s[18:19]
	s_cbranch_vccnz .LBB156_30
; %bb.23:
	v_cmp_lt_f32_e32 vcc, 0, v20
	s_mov_b32 s2, 0
	v_cndmask_b32_e32 v0, 1.0, v20, vcc
	v_mul_lo_u32 v4, v16, s8
	s_cmp_eq_u32 s8, 1
	s_mov_b64 s[0:1], -1
	s_cbranch_scc1 .LBB156_27
; %bb.24:
	s_and_b32 s2, s8, 0x7ffffffe
	v_mov_b32_e32 v1, v0
	v_mov_b32_e32 v5, s7
	s_mov_b32 s3, s2
	v_mov_b32_e32 v2, v4
.LBB156_25:                             ; =>This Inner Loop Header: Depth=1
	v_ashrrev_i32_e32 v3, 31, v2
	v_lshlrev_b64 v[6:7], 2, v[2:3]
	v_add_co_u32_e32 v6, vcc, s6, v6
	v_addc_co_u32_e32 v7, vcc, v5, v7, vcc
	global_load_dwordx2 v[8:9], v[6:7], off
	s_add_i32 s3, s3, -2
	s_cmp_lg_u32 s3, 0
	v_add_u32_e32 v2, 2, v2
	s_waitcnt vmcnt(0)
	v_div_scale_f32 v3, s[0:1], v1, v1, v9
	v_div_scale_f32 v11, s[0:1], v0, v0, v8
	v_rcp_f32_e32 v12, v3
	v_rcp_f32_e32 v13, v11
	v_div_scale_f32 v10, vcc, v9, v1, v9
	v_fma_f32 v15, -v3, v12, 1.0
	v_fma_f32 v16, -v11, v13, 1.0
	v_fmac_f32_e32 v12, v15, v12
	v_div_scale_f32 v14, s[0:1], v8, v0, v8
	v_fmac_f32_e32 v13, v16, v13
	v_mul_f32_e32 v15, v10, v12
	v_mul_f32_e32 v16, v14, v13
	v_fma_f32 v17, -v3, v15, v10
	v_fma_f32 v18, -v11, v16, v14
	v_fmac_f32_e32 v15, v17, v12
	v_fmac_f32_e32 v16, v18, v13
	v_fma_f32 v3, -v3, v15, v10
	v_fma_f32 v10, -v11, v16, v14
	v_div_fmas_f32 v3, v3, v12, v15
	s_mov_b64 vcc, s[0:1]
	v_div_fixup_f32 v9, v3, v1, v9
	v_div_fmas_f32 v3, v10, v13, v16
	v_div_fixup_f32 v8, v3, v0, v8
	global_store_dwordx2 v[6:7], v[8:9], off
	s_cbranch_scc1 .LBB156_25
; %bb.26:
	s_cmp_lg_u32 s2, s8
	s_cselect_b64 s[0:1], -1, 0
.LBB156_27:
	s_and_b64 vcc, exec, s[0:1]
	s_cbranch_vccz .LBB156_30
; %bb.28:
	v_ashrrev_i32_e32 v1, 31, v4
	v_add_co_u32_e32 v2, vcc, s2, v4
	v_addc_co_u32_e32 v3, vcc, 0, v1, vcc
	v_lshlrev_b64 v[2:3], 2, v[2:3]
	v_mov_b32_e32 v1, s7
	v_add_co_u32_e32 v2, vcc, s6, v2
	s_sub_i32 s0, s8, s2
	v_addc_co_u32_e32 v3, vcc, v1, v3, vcc
.LBB156_29:                             ; =>This Inner Loop Header: Depth=1
	global_load_dword v1, v[2:3], off
	s_add_i32 s0, s0, -1
	s_cmp_lg_u32 s0, 0
	s_waitcnt vmcnt(0)
	v_div_scale_f32 v4, s[2:3], v0, v0, v1
	v_rcp_f32_e32 v5, v4
	v_div_scale_f32 v6, vcc, v1, v0, v1
	v_fma_f32 v7, -v4, v5, 1.0
	v_fmac_f32_e32 v5, v7, v5
	v_mul_f32_e32 v7, v6, v5
	v_fma_f32 v8, -v4, v7, v6
	v_fmac_f32_e32 v7, v8, v5
	v_fma_f32 v4, -v4, v7, v6
	v_div_fmas_f32 v4, v4, v5, v7
	v_div_fixup_f32 v1, v4, v0, v1
	global_store_dword v[2:3], v1, off
	v_add_co_u32_e32 v2, vcc, 4, v2
	v_addc_co_u32_e32 v3, vcc, 0, v3, vcc
	s_cbranch_scc1 .LBB156_29
.LBB156_30:
	s_endpgm
	.section	.rodata,"a",@progbits
	.p2align	6, 0x0
	.amdhsa_kernel _ZN4vllm3moe10topkGatingILi8ELi16ELi4ELi16ELi64Ej14__hip_bfloat16LNS0_11ScoringFuncE0EEEvPKT5_PKbPfiPT4_PiiiibPKf
		.amdhsa_group_segment_fixed_size 0
		.amdhsa_private_segment_fixed_size 0
		.amdhsa_kernarg_size 72
		.amdhsa_user_sgpr_count 6
		.amdhsa_user_sgpr_private_segment_buffer 1
		.amdhsa_user_sgpr_dispatch_ptr 0
		.amdhsa_user_sgpr_queue_ptr 0
		.amdhsa_user_sgpr_kernarg_segment_ptr 1
		.amdhsa_user_sgpr_dispatch_id 0
		.amdhsa_user_sgpr_flat_scratch_init 0
		.amdhsa_user_sgpr_kernarg_preload_length 0
		.amdhsa_user_sgpr_kernarg_preload_offset 0
		.amdhsa_user_sgpr_private_segment_size 0
		.amdhsa_uses_dynamic_stack 0
		.amdhsa_system_sgpr_private_segment_wavefront_offset 0
		.amdhsa_system_sgpr_workgroup_id_x 1
		.amdhsa_system_sgpr_workgroup_id_y 0
		.amdhsa_system_sgpr_workgroup_id_z 0
		.amdhsa_system_sgpr_workgroup_info 0
		.amdhsa_system_vgpr_workitem_id 1
		.amdhsa_next_free_vgpr 31
		.amdhsa_next_free_sgpr 26
		.amdhsa_accum_offset 32
		.amdhsa_reserve_vcc 1
		.amdhsa_reserve_flat_scratch 0
		.amdhsa_float_round_mode_32 0
		.amdhsa_float_round_mode_16_64 0
		.amdhsa_float_denorm_mode_32 3
		.amdhsa_float_denorm_mode_16_64 3
		.amdhsa_dx10_clamp 1
		.amdhsa_ieee_mode 1
		.amdhsa_fp16_overflow 0
		.amdhsa_tg_split 0
		.amdhsa_exception_fp_ieee_invalid_op 0
		.amdhsa_exception_fp_denorm_src 0
		.amdhsa_exception_fp_ieee_div_zero 0
		.amdhsa_exception_fp_ieee_overflow 0
		.amdhsa_exception_fp_ieee_underflow 0
		.amdhsa_exception_fp_ieee_inexact 0
		.amdhsa_exception_int_div_zero 0
	.end_amdhsa_kernel
	.section	.text._ZN4vllm3moe10topkGatingILi8ELi16ELi4ELi16ELi64Ej14__hip_bfloat16LNS0_11ScoringFuncE0EEEvPKT5_PKbPfiPT4_PiiiibPKf,"axG",@progbits,_ZN4vllm3moe10topkGatingILi8ELi16ELi4ELi16ELi64Ej14__hip_bfloat16LNS0_11ScoringFuncE0EEEvPKT5_PKbPfiPT4_PiiiibPKf,comdat
.Lfunc_end156:
	.size	_ZN4vllm3moe10topkGatingILi8ELi16ELi4ELi16ELi64Ej14__hip_bfloat16LNS0_11ScoringFuncE0EEEvPKT5_PKbPfiPT4_PiiiibPKf, .Lfunc_end156-_ZN4vllm3moe10topkGatingILi8ELi16ELi4ELi16ELi64Ej14__hip_bfloat16LNS0_11ScoringFuncE0EEEvPKT5_PKbPfiPT4_PiiiibPKf
                                        ; -- End function
	.section	.AMDGPU.csdata,"",@progbits
; Kernel info:
; codeLenInByte = 2656
; NumSgprs: 30
; NumVgprs: 31
; NumAgprs: 0
; TotalNumVgprs: 31
; ScratchSize: 0
; MemoryBound: 0
; FloatMode: 240
; IeeeMode: 1
; LDSByteSize: 0 bytes/workgroup (compile time only)
; SGPRBlocks: 3
; VGPRBlocks: 3
; NumSGPRsForWavesPerEU: 30
; NumVGPRsForWavesPerEU: 31
; AccumOffset: 32
; Occupancy: 8
; WaveLimiterHint : 0
; COMPUTE_PGM_RSRC2:SCRATCH_EN: 0
; COMPUTE_PGM_RSRC2:USER_SGPR: 6
; COMPUTE_PGM_RSRC2:TRAP_HANDLER: 0
; COMPUTE_PGM_RSRC2:TGID_X_EN: 1
; COMPUTE_PGM_RSRC2:TGID_Y_EN: 0
; COMPUTE_PGM_RSRC2:TGID_Z_EN: 0
; COMPUTE_PGM_RSRC2:TIDIG_COMP_CNT: 1
; COMPUTE_PGM_RSRC3_GFX90A:ACCUM_OFFSET: 7
; COMPUTE_PGM_RSRC3_GFX90A:TG_SPLIT: 0
	.section	.text._ZN4vllm3moe10topkGatingILi8ELi16ELi4ELi16ELi32Ej14__hip_bfloat16LNS0_11ScoringFuncE0EEEvPKT5_PKbPfiPT4_PiiiibPKf,"axG",@progbits,_ZN4vllm3moe10topkGatingILi8ELi16ELi4ELi16ELi32Ej14__hip_bfloat16LNS0_11ScoringFuncE0EEEvPKT5_PKbPfiPT4_PiiiibPKf,comdat
	.protected	_ZN4vllm3moe10topkGatingILi8ELi16ELi4ELi16ELi32Ej14__hip_bfloat16LNS0_11ScoringFuncE0EEEvPKT5_PKbPfiPT4_PiiiibPKf ; -- Begin function _ZN4vllm3moe10topkGatingILi8ELi16ELi4ELi16ELi32Ej14__hip_bfloat16LNS0_11ScoringFuncE0EEEvPKT5_PKbPfiPT4_PiiiibPKf
	.globl	_ZN4vllm3moe10topkGatingILi8ELi16ELi4ELi16ELi32Ej14__hip_bfloat16LNS0_11ScoringFuncE0EEEvPKT5_PKbPfiPT4_PiiiibPKf
	.p2align	8
	.type	_ZN4vllm3moe10topkGatingILi8ELi16ELi4ELi16ELi32Ej14__hip_bfloat16LNS0_11ScoringFuncE0EEEvPKT5_PKbPfiPT4_PiiiibPKf,@function
_ZN4vllm3moe10topkGatingILi8ELi16ELi4ELi16ELi32Ej14__hip_bfloat16LNS0_11ScoringFuncE0EEEvPKT5_PKbPfiPT4_PiiiibPKf: ; @_ZN4vllm3moe10topkGatingILi8ELi16ELi4ELi16ELi32Ej14__hip_bfloat16LNS0_11ScoringFuncE0EEEvPKT5_PKbPfiPT4_PiiiibPKf
; %bb.0:
	s_load_dword s24, s[4:5], 0x18
	v_bfe_u32 v1, v0, 10, 10
	v_and_b32_e32 v0, 0x3ff, v0
	s_lshl_b32 s0, s6, 6
	v_lshlrev_b32_e32 v1, 4, v1
	v_lshrrev_b32_e32 v2, 1, v0
	v_add3_u32 v16, s0, v1, v2
	s_waitcnt lgkmcnt(0)
	v_cmp_gt_i32_e32 vcc, s24, v16
	s_and_saveexec_b64 s[0:1], vcc
	s_cbranch_execz .LBB157_30
; %bb.1:
	s_load_dwordx4 s[0:3], s[4:5], 0x0
	s_load_dwordx2 s[6:7], s[4:5], 0x10
	s_mov_b64 s[8:9], -1
	s_mov_b64 s[16:17], -1
	s_waitcnt lgkmcnt(0)
	s_cmp_eq_u64 s[2:3], 0
	s_cbranch_scc1 .LBB157_3
; %bb.2:
	v_ashrrev_i32_e32 v1, 31, v16
	v_mov_b32_e32 v3, s3
	v_add_co_u32_e32 v2, vcc, s2, v16
	v_addc_co_u32_e32 v3, vcc, v3, v1, vcc
	global_load_ubyte v1, v[2:3], off
	s_waitcnt vmcnt(0)
	v_and_b32_e32 v1, 1, v1
	v_cmp_eq_u32_e32 vcc, 1, v1
	s_xor_b64 s[2:3], vcc, -1
	s_orn2_b64 s[16:17], s[2:3], exec
.LBB157_3:
	v_lshlrev_b32_e32 v2, 4, v16
	v_ashrrev_i32_e32 v3, 31, v2
	v_lshlrev_b64 v[2:3], 1, v[2:3]
	v_mov_b32_e32 v1, s1
	v_add_co_u32_e32 v2, vcc, s0, v2
	v_and_b32_e32 v17, 1, v0
	v_addc_co_u32_e32 v1, vcc, v1, v3, vcc
	v_lshlrev_b32_e32 v0, 4, v17
	v_add_co_u32_e32 v0, vcc, v2, v0
	v_addc_co_u32_e32 v1, vcc, 0, v1, vcc
	global_load_dwordx4 v[0:3], v[0:1], off
	v_mbcnt_lo_u32_b32 v4, -1, 0
	v_mbcnt_hi_u32_b32 v4, -1, v4
	v_and_b32_e32 v6, 0x7e, v4
	v_xor_b32_e32 v5, 1, v4
	v_add_u32_e32 v6, 2, v6
	v_cmp_lt_i32_e32 vcc, v5, v6
	v_cndmask_b32_e32 v4, v4, v5, vcc
	v_lshlrev_b32_e32 v18, 2, v4
	s_mov_b32 s0, 0x3fb8aa3b
	s_mov_b32 s1, 0xc2ce8ed0
	;; [unrolled: 1-line block ×3, first 2 shown]
	v_mov_b32_e32 v10, 0x7f800000
	s_waitcnt vmcnt(0)
	v_lshlrev_b32_e32 v7, 16, v1
	v_and_b32_e32 v4, 0xffff0000, v1
	v_and_b32_e32 v1, 0xffff0000, v0
	v_lshlrev_b32_e32 v0, 16, v0
	v_max_f32_e32 v6, v1, v1
	v_max_f32_e32 v9, v0, v0
	;; [unrolled: 1-line block ×3, first 2 shown]
	v_lshlrev_b32_e32 v5, 16, v2
	v_and_b32_e32 v2, 0xffff0000, v2
	v_max3_f32 v6, v6, v7, v4
	v_and_b32_e32 v8, 0xffff0000, v3
	v_lshlrev_b32_e32 v3, 16, v3
	v_max3_f32 v6, v6, v5, v2
	v_max3_f32 v6, v6, v3, v8
	ds_bpermute_b32 v9, v18, v6
	s_waitcnt lgkmcnt(0)
	v_max_f32_e32 v9, v9, v9
	v_max_f32_e32 v6, v6, v9
	v_pk_add_f32 v[0:1], v[0:1], v[6:7] op_sel_hi:[1,0] neg_lo:[0,1] neg_hi:[0,1]
	v_mul_f32_e32 v9, 0x3fb8aa3b, v1
	v_sub_f32_e32 v7, v7, v6
	v_mul_f32_e32 v11, 0x3fb8aa3b, v0
	v_fma_f32 v15, v1, s0, -v9
	v_rndne_f32_e32 v19, v9
	v_pk_add_f32 v[4:5], v[4:5], v[6:7] op_sel_hi:[1,0] neg_lo:[0,1] neg_hi:[0,1]
	v_mul_f32_e32 v12, 0x3fb8aa3b, v7
	v_fma_f32 v20, v0, s0, -v11
	v_rndne_f32_e32 v21, v11
	v_fmac_f32_e32 v15, 0x32a5705f, v1
	v_sub_f32_e32 v9, v9, v19
	v_mul_f32_e32 v13, 0x3fb8aa3b, v5
	v_fma_f32 v22, v7, s0, -v12
	v_rndne_f32_e32 v23, v12
	v_fmac_f32_e32 v20, 0x32a5705f, v0
	v_sub_f32_e32 v11, v11, v21
	v_add_f32_e32 v9, v9, v15
	v_mul_f32_e32 v14, 0x3fb8aa3b, v4
	v_fma_f32 v24, v5, s0, -v13
	v_rndne_f32_e32 v25, v13
	v_cvt_i32_f32_e32 v19, v19
	v_fmac_f32_e32 v22, 0x32a5705f, v7
	v_sub_f32_e32 v12, v12, v23
	v_add_f32_e32 v11, v11, v20
	v_exp_f32_e32 v9, v9
	v_fma_f32 v26, v4, s0, -v14
	v_rndne_f32_e32 v27, v14
	v_cvt_i32_f32_e32 v21, v21
	v_fmac_f32_e32 v24, 0x32a5705f, v5
	v_sub_f32_e32 v13, v13, v25
	v_add_f32_e32 v12, v12, v22
	v_exp_f32_e32 v11, v11
	v_cvt_i32_f32_e32 v23, v23
	v_fmac_f32_e32 v26, 0x32a5705f, v4
	v_sub_f32_e32 v14, v14, v27
	v_add_f32_e32 v13, v13, v24
	v_exp_f32_e32 v12, v12
	v_cvt_i32_f32_e32 v25, v25
	v_add_f32_e32 v14, v14, v26
	v_exp_f32_e32 v13, v13
	v_cvt_i32_f32_e32 v27, v27
	v_exp_f32_e32 v14, v14
	v_ldexp_f32 v9, v9, v19
	v_cmp_ngt_f32_e32 vcc, s1, v1
	v_ldexp_f32 v11, v11, v21
	v_cndmask_b32_e32 v9, 0, v9, vcc
	v_cmp_ngt_f32_e32 vcc, s1, v0
	v_ldexp_f32 v12, v12, v23
	v_cndmask_b32_e32 v11, 0, v11, vcc
	;; [unrolled: 3-line block ×4, first 2 shown]
	v_cmp_ngt_f32_e32 vcc, s1, v4
	v_cndmask_b32_e32 v14, 0, v14, vcc
	v_cmp_nlt_f32_e32 vcc, s2, v1
	v_cndmask_b32_e32 v9, v10, v9, vcc
	v_cmp_nlt_f32_e32 vcc, s2, v0
	;; [unrolled: 2-line block ×3, first 2 shown]
	v_cndmask_b32_e32 v7, v10, v12, vcc
	v_add_f32_e32 v0, v11, v9
	v_pk_add_f32 v[2:3], v[2:3], v[6:7] op_sel_hi:[1,0] neg_lo:[0,1] neg_hi:[0,1]
	v_cmp_nlt_f32_e32 vcc, s2, v5
	v_add_f32_e32 v5, v0, v7
	v_mul_f32_e32 v0, 0x3fb8aa3b, v3
	v_cndmask_b32_e32 v1, v10, v13, vcc
	v_fma_f32 v12, v3, s0, -v0
	v_rndne_f32_e32 v13, v0
	v_fmac_f32_e32 v12, 0x32a5705f, v3
	v_sub_f32_e32 v0, v0, v13
	v_add_f32_e32 v0, v0, v12
	v_exp_f32_e32 v12, v0
	v_cvt_i32_f32_e32 v13, v13
	v_cmp_nlt_f32_e32 vcc, s2, v4
	v_cndmask_b32_e32 v0, v10, v14, vcc
	v_add_f32_e32 v4, v5, v0
	v_ldexp_f32 v5, v12, v13
	v_mul_f32_e32 v12, 0x3fb8aa3b, v2
	v_fma_f32 v13, v2, s0, -v12
	v_rndne_f32_e32 v14, v12
	v_fmac_f32_e32 v13, 0x32a5705f, v2
	v_sub_f32_e32 v12, v12, v14
	v_add_f32_e32 v12, v12, v13
	v_exp_f32_e32 v12, v12
	v_cvt_i32_f32_e32 v13, v14
	v_cmp_ngt_f32_e32 vcc, s1, v3
	v_sub_f32_e32 v6, v8, v6
	v_cndmask_b32_e32 v5, 0, v5, vcc
	v_cmp_nlt_f32_e32 vcc, s2, v3
	v_mul_f32_e32 v8, 0x3fb8aa3b, v6
	v_cndmask_b32_e32 v3, v10, v5, vcc
	v_ldexp_f32 v5, v12, v13
	v_fma_f32 v12, v6, s0, -v8
	v_rndne_f32_e32 v13, v8
	v_fmac_f32_e32 v12, 0x32a5705f, v6
	v_sub_f32_e32 v8, v8, v13
	v_add_f32_e32 v8, v8, v12
	v_exp_f32_e32 v8, v8
	v_cvt_i32_f32_e32 v12, v13
	v_cmp_ngt_f32_e32 vcc, s1, v2
	v_cndmask_b32_e32 v5, 0, v5, vcc
	v_cmp_nlt_f32_e32 vcc, s2, v2
	v_add_f32_e32 v4, v4, v1
	v_cndmask_b32_e32 v2, v10, v5, vcc
	v_ldexp_f32 v5, v8, v12
	v_cmp_ngt_f32_e32 vcc, s1, v6
	v_add_f32_e32 v4, v4, v2
	v_cndmask_b32_e32 v5, 0, v5, vcc
	v_cmp_nlt_f32_e32 vcc, s2, v6
	v_add_f32_e32 v4, v4, v3
	v_cndmask_b32_e32 v5, v10, v5, vcc
	v_add_f32_e32 v4, v4, v5
	ds_bpermute_b32 v6, v18, v4
	s_movk_i32 s2, 0x1f8
	v_lshlrev_b32_e32 v19, 3, v17
	s_waitcnt lgkmcnt(0)
	v_add_f32_e32 v4, v4, v6
	v_div_scale_f32 v6, s[0:1], v4, v4, 1.0
	v_rcp_f32_e32 v8, v6
	s_load_dwordx2 s[0:1], s[4:5], 0x40
	v_fma_f32 v10, -v6, v8, 1.0
	v_fmac_f32_e32 v8, v10, v8
	v_div_scale_f32 v10, vcc, 1.0, v4, 1.0
	v_mul_f32_e32 v12, v10, v8
	v_fma_f32 v13, -v6, v12, v10
	v_fmac_f32_e32 v12, v13, v8
	v_fma_f32 v6, -v6, v12, v10
	v_div_fmas_f32 v6, v6, v8, v12
	v_div_fixup_f32 v4, v6, v4, 1.0
	v_mul_f32_e32 v10, v4, v11
	v_mul_f32_e32 v11, v4, v9
	v_cmp_class_f32_e64 vcc, v10, s2
	v_mul_f32_e32 v12, v4, v7
	v_pk_mul_f32 v[6:7], v[4:5], v[0:1] op_sel_hi:[0,1]
	v_cndmask_b32_e32 v0, 0, v10, vcc
	v_cmp_class_f32_e64 vcc, v11, s2
	v_pk_mul_f32 v[8:9], v[4:5], v[2:3] op_sel_hi:[0,1]
	v_mul_f32_e32 v13, v4, v5
	v_cndmask_b32_e32 v1, 0, v11, vcc
	v_cmp_class_f32_e64 vcc, v12, s2
	v_mov_b32_e32 v5, 0x207
	v_cndmask_b32_e32 v2, 0, v12, vcc
	v_cmp_class_f32_e32 vcc, v7, v5
	v_cndmask_b32_e64 v4, v7, 0, vcc
	v_cmp_class_f32_e32 vcc, v6, v5
	v_cndmask_b32_e64 v3, v6, 0, vcc
	;; [unrolled: 2-line block ×4, first 2 shown]
	v_cmp_class_f32_e64 vcc, v13, s2
	s_waitcnt lgkmcnt(0)
	s_cmp_eq_u64 s[0:1], 0
	v_cndmask_b32_e32 v7, 0, v13, vcc
	s_cbranch_scc1 .LBB157_19
; %bb.4:
	v_lshlrev_b32_e32 v20, 2, v19
	global_load_dwordx4 v[8:11], v20, s[0:1]
	global_load_dwordx4 v[12:15], v20, s[0:1] offset:16
	s_waitcnt vmcnt(1)
	v_pk_add_f32 v[8:9], v[8:9], v[0:1]
	v_pk_add_f32 v[10:11], v[10:11], v[2:3]
	s_waitcnt vmcnt(0)
	v_pk_add_f32 v[12:13], v[12:13], v[4:5]
	v_pk_add_f32 v[14:15], v[14:15], v[6:7]
	s_cbranch_execnz .LBB157_6
.LBB157_5:
	v_pk_mov_b32 v[14:15], v[6:7], v[6:7] op_sel:[0,1]
	v_pk_mov_b32 v[12:13], v[4:5], v[4:5] op_sel:[0,1]
	;; [unrolled: 1-line block ×4, first 2 shown]
.LBB157_6:
	s_load_dwordx4 s[8:11], s[4:5], 0x30
	s_mov_b32 s25, 0
	v_cmp_eq_u32_e64 s[0:1], 0, v17
	s_waitcnt lgkmcnt(0)
	s_bitcmp1_b32 s11, 0
	s_cselect_b64 vcc, -1, 0
	s_cmp_gt_i32 s8, 0
	s_cselect_b64 s[18:19], -1, 0
	s_cmp_lt_i32 s8, 1
	s_cbranch_scc1 .LBB157_20
; %bb.7:
	s_load_dwordx4 s[12:15], s[4:5], 0x20
	v_mul_lo_u32 v21, v16, s8
	v_mov_b32_e32 v20, 0
	v_mov_b32_e32 v22, 0xc61c4000
	v_mov_b32_e32 v23, v16
	s_branch .LBB157_10
.LBB157_8:                              ;   in Loop: Header=BB157_10 Depth=1
	s_or_b64 exec, exec, s[4:5]
.LBB157_9:                              ;   in Loop: Header=BB157_10 Depth=1
	s_cmp_eq_u32 s8, s25
	v_add_u32_e32 v23, s24, v23
	s_cbranch_scc1 .LBB157_21
.LBB157_10:                             ; =>This Inner Loop Header: Depth=1
	v_cmp_gt_f32_e64 s[2:3], v9, v8
	v_cndmask_b32_e64 v24, v8, v9, s[2:3]
	v_cndmask_b32_e64 v25, v0, v1, s[2:3]
	v_cndmask_b32_e64 v26, 0, 1, s[2:3]
	v_cmp_gt_f32_e64 s[2:3], v10, v24
	v_cndmask_b32_e64 v24, v24, v10, s[2:3]
	v_cndmask_b32_e64 v25, v25, v2, s[2:3]
	v_cndmask_b32_e64 v26, v26, 2, s[2:3]
	;; [unrolled: 4-line block ×7, first 2 shown]
	v_or_b32_e32 v24, v19, v24
	ds_bpermute_b32 v29, v18, v28
	ds_bpermute_b32 v27, v18, v25
	;; [unrolled: 1-line block ×3, first 2 shown]
	s_waitcnt lgkmcnt(0)
	v_cmp_lt_f32_e64 s[20:21], v28, v29
	v_cmp_nlt_f32_e64 s[2:3], v28, v29
	s_and_saveexec_b64 s[22:23], s[2:3]
	s_cbranch_execnz .LBB157_14
; %bb.11:                               ;   in Loop: Header=BB157_10 Depth=1
	s_or_b64 exec, exec, s[22:23]
	s_and_saveexec_b64 s[2:3], s[20:21]
	s_cbranch_execnz .LBB157_15
.LBB157_12:                             ;   in Loop: Header=BB157_10 Depth=1
	s_or_b64 exec, exec, s[2:3]
	s_and_saveexec_b64 s[20:21], s[0:1]
	s_cbranch_execnz .LBB157_16
.LBB157_13:                             ;   in Loop: Header=BB157_10 Depth=1
	s_or_b64 exec, exec, s[20:21]
	s_add_i32 s25, s25, 1
	s_cmp_ge_i32 s25, s8
	s_cbranch_scc1 .LBB157_9
	s_branch .LBB157_17
.LBB157_14:                             ;   in Loop: Header=BB157_10 Depth=1
	v_cmp_eq_f32_e64 s[2:3], v28, v29
	v_cmp_lt_i32_e64 s[4:5], v26, v24
	s_and_b64 s[2:3], s[2:3], s[4:5]
	s_andn2_b64 s[4:5], s[20:21], exec
	s_and_b64 s[2:3], s[2:3], exec
	s_or_b64 s[20:21], s[4:5], s[2:3]
	s_or_b64 exec, exec, s[22:23]
	s_and_saveexec_b64 s[2:3], s[20:21]
	s_cbranch_execz .LBB157_12
.LBB157_15:                             ;   in Loop: Header=BB157_10 Depth=1
	v_mov_b32_e32 v25, v27
	v_mov_b32_e32 v24, v26
	s_or_b64 exec, exec, s[2:3]
	s_and_saveexec_b64 s[20:21], s[0:1]
	s_cbranch_execz .LBB157_13
.LBB157_16:                             ;   in Loop: Header=BB157_10 Depth=1
	v_add_u32_e32 v26, s25, v21
	v_ashrrev_i32_e32 v27, 31, v26
	v_cmp_le_i32_e64 s[2:3], s9, v24
	v_cmp_gt_i32_e64 s[4:5], s10, v24
	v_lshlrev_b64 v[26:27], 2, v[26:27]
	s_and_b64 s[4:5], s[2:3], s[4:5]
	v_mov_b32_e32 v29, s7
	v_add_co_u32_e64 v28, s[2:3], s6, v26
	v_addc_co_u32_e64 v29, s[2:3], v29, v27, s[2:3]
	global_store_dword v[28:29], v25, off
	v_subrev_u32_e32 v28, s9, v24
	s_and_b64 s[2:3], s[16:17], s[4:5]
	v_cndmask_b32_e64 v30, 16, v28, s[2:3]
	v_mov_b32_e32 v29, s13
	v_add_co_u32_e64 v28, s[2:3], s12, v26
	v_addc_co_u32_e64 v29, s[2:3], v29, v27, s[2:3]
	global_store_dword v[28:29], v30, off
	v_mov_b32_e32 v28, s15
	v_add_co_u32_e64 v26, s[2:3], s14, v26
	v_add_f32_e32 v25, v20, v25
	v_addc_co_u32_e64 v27, s[2:3], v28, v27, s[2:3]
	v_cndmask_b32_e32 v20, v20, v25, vcc
	global_store_dword v[26:27], v23, off
	s_or_b64 exec, exec, s[20:21]
	s_add_i32 s25, s25, 1
	s_cmp_ge_i32 s25, s8
	s_cbranch_scc1 .LBB157_9
.LBB157_17:                             ;   in Loop: Header=BB157_10 Depth=1
	v_ashrrev_i32_e32 v26, 31, v24
	v_lshrrev_b32_e32 v25, 29, v26
	v_add_u32_e32 v27, v24, v25
	v_ashrrev_i32_e32 v25, 3, v27
	v_lshrrev_b32_e32 v27, 31, v27
	v_add_u32_e32 v27, v25, v27
	v_and_b32_e32 v27, -2, v27
	v_sub_u32_e32 v27, v25, v27
	v_cmp_eq_u32_e64 s[2:3], v17, v27
	s_and_saveexec_b64 s[4:5], s[2:3]
	s_cbranch_execz .LBB157_8
; %bb.18:                               ;   in Loop: Header=BB157_10 Depth=1
	v_lshrrev_b32_e32 v26, 28, v26
	v_add_u32_e32 v26, v24, v26
	v_lshlrev_b32_e32 v25, 3, v25
	v_ashrrev_i32_e32 v26, 4, v26
	v_sub_u32_e32 v24, v24, v25
	v_lshl_add_u32 v24, v26, 3, v24
	v_cmp_ne_u32_e64 s[2:3], 7, v24
	v_cndmask_b32_e64 v15, v22, v15, s[2:3]
	v_cmp_ne_u32_e64 s[2:3], 6, v24
	v_cndmask_b32_e64 v14, v22, v14, s[2:3]
	;; [unrolled: 2-line block ×8, first 2 shown]
	s_branch .LBB157_8
.LBB157_19:
                                        ; implicit-def: $vgpr8_vgpr9_vgpr10_vgpr11_vgpr12_vgpr13_vgpr14_vgpr15
	s_andn2_b64 vcc, exec, s[8:9]
	s_cbranch_vccz .LBB157_5
	s_branch .LBB157_6
.LBB157_20:
	v_mov_b32_e32 v20, 0
.LBB157_21:
	v_cmp_eq_u32_e64 s[0:1], 0, v17
	s_and_b64 s[0:1], s[0:1], vcc
	s_and_b64 exec, exec, s[0:1]
	s_cbranch_execz .LBB157_30
; %bb.22:
	s_andn2_b64 vcc, exec, s[18:19]
	s_cbranch_vccnz .LBB157_30
; %bb.23:
	v_cmp_lt_f32_e32 vcc, 0, v20
	s_mov_b32 s2, 0
	v_cndmask_b32_e32 v0, 1.0, v20, vcc
	v_mul_lo_u32 v4, v16, s8
	s_cmp_eq_u32 s8, 1
	s_mov_b64 s[0:1], -1
	s_cbranch_scc1 .LBB157_27
; %bb.24:
	s_and_b32 s2, s8, 0x7ffffffe
	v_mov_b32_e32 v1, v0
	v_mov_b32_e32 v5, s7
	s_mov_b32 s3, s2
	v_mov_b32_e32 v2, v4
.LBB157_25:                             ; =>This Inner Loop Header: Depth=1
	v_ashrrev_i32_e32 v3, 31, v2
	v_lshlrev_b64 v[6:7], 2, v[2:3]
	v_add_co_u32_e32 v6, vcc, s6, v6
	v_addc_co_u32_e32 v7, vcc, v5, v7, vcc
	global_load_dwordx2 v[8:9], v[6:7], off
	s_add_i32 s3, s3, -2
	s_cmp_lg_u32 s3, 0
	v_add_u32_e32 v2, 2, v2
	s_waitcnt vmcnt(0)
	v_div_scale_f32 v3, s[0:1], v1, v1, v9
	v_div_scale_f32 v11, s[0:1], v0, v0, v8
	v_rcp_f32_e32 v12, v3
	v_rcp_f32_e32 v13, v11
	v_div_scale_f32 v10, vcc, v9, v1, v9
	v_fma_f32 v15, -v3, v12, 1.0
	v_fma_f32 v16, -v11, v13, 1.0
	v_fmac_f32_e32 v12, v15, v12
	v_div_scale_f32 v14, s[0:1], v8, v0, v8
	v_fmac_f32_e32 v13, v16, v13
	v_mul_f32_e32 v15, v10, v12
	v_mul_f32_e32 v16, v14, v13
	v_fma_f32 v17, -v3, v15, v10
	v_fma_f32 v18, -v11, v16, v14
	v_fmac_f32_e32 v15, v17, v12
	v_fmac_f32_e32 v16, v18, v13
	v_fma_f32 v3, -v3, v15, v10
	v_fma_f32 v10, -v11, v16, v14
	v_div_fmas_f32 v3, v3, v12, v15
	s_mov_b64 vcc, s[0:1]
	v_div_fixup_f32 v9, v3, v1, v9
	v_div_fmas_f32 v3, v10, v13, v16
	v_div_fixup_f32 v8, v3, v0, v8
	global_store_dwordx2 v[6:7], v[8:9], off
	s_cbranch_scc1 .LBB157_25
; %bb.26:
	s_cmp_lg_u32 s2, s8
	s_cselect_b64 s[0:1], -1, 0
.LBB157_27:
	s_and_b64 vcc, exec, s[0:1]
	s_cbranch_vccz .LBB157_30
; %bb.28:
	v_ashrrev_i32_e32 v1, 31, v4
	v_add_co_u32_e32 v2, vcc, s2, v4
	v_addc_co_u32_e32 v3, vcc, 0, v1, vcc
	v_lshlrev_b64 v[2:3], 2, v[2:3]
	v_mov_b32_e32 v1, s7
	v_add_co_u32_e32 v2, vcc, s6, v2
	s_sub_i32 s0, s8, s2
	v_addc_co_u32_e32 v3, vcc, v1, v3, vcc
.LBB157_29:                             ; =>This Inner Loop Header: Depth=1
	global_load_dword v1, v[2:3], off
	s_add_i32 s0, s0, -1
	s_cmp_lg_u32 s0, 0
	s_waitcnt vmcnt(0)
	v_div_scale_f32 v4, s[2:3], v0, v0, v1
	v_rcp_f32_e32 v5, v4
	v_div_scale_f32 v6, vcc, v1, v0, v1
	v_fma_f32 v7, -v4, v5, 1.0
	v_fmac_f32_e32 v5, v7, v5
	v_mul_f32_e32 v7, v6, v5
	v_fma_f32 v8, -v4, v7, v6
	v_fmac_f32_e32 v7, v8, v5
	v_fma_f32 v4, -v4, v7, v6
	v_div_fmas_f32 v4, v4, v5, v7
	v_div_fixup_f32 v1, v4, v0, v1
	global_store_dword v[2:3], v1, off
	v_add_co_u32_e32 v2, vcc, 4, v2
	v_addc_co_u32_e32 v3, vcc, 0, v3, vcc
	s_cbranch_scc1 .LBB157_29
.LBB157_30:
	s_endpgm
	.section	.rodata,"a",@progbits
	.p2align	6, 0x0
	.amdhsa_kernel _ZN4vllm3moe10topkGatingILi8ELi16ELi4ELi16ELi32Ej14__hip_bfloat16LNS0_11ScoringFuncE0EEEvPKT5_PKbPfiPT4_PiiiibPKf
		.amdhsa_group_segment_fixed_size 0
		.amdhsa_private_segment_fixed_size 0
		.amdhsa_kernarg_size 72
		.amdhsa_user_sgpr_count 6
		.amdhsa_user_sgpr_private_segment_buffer 1
		.amdhsa_user_sgpr_dispatch_ptr 0
		.amdhsa_user_sgpr_queue_ptr 0
		.amdhsa_user_sgpr_kernarg_segment_ptr 1
		.amdhsa_user_sgpr_dispatch_id 0
		.amdhsa_user_sgpr_flat_scratch_init 0
		.amdhsa_user_sgpr_kernarg_preload_length 0
		.amdhsa_user_sgpr_kernarg_preload_offset 0
		.amdhsa_user_sgpr_private_segment_size 0
		.amdhsa_uses_dynamic_stack 0
		.amdhsa_system_sgpr_private_segment_wavefront_offset 0
		.amdhsa_system_sgpr_workgroup_id_x 1
		.amdhsa_system_sgpr_workgroup_id_y 0
		.amdhsa_system_sgpr_workgroup_id_z 0
		.amdhsa_system_sgpr_workgroup_info 0
		.amdhsa_system_vgpr_workitem_id 1
		.amdhsa_next_free_vgpr 31
		.amdhsa_next_free_sgpr 26
		.amdhsa_accum_offset 32
		.amdhsa_reserve_vcc 1
		.amdhsa_reserve_flat_scratch 0
		.amdhsa_float_round_mode_32 0
		.amdhsa_float_round_mode_16_64 0
		.amdhsa_float_denorm_mode_32 3
		.amdhsa_float_denorm_mode_16_64 3
		.amdhsa_dx10_clamp 1
		.amdhsa_ieee_mode 1
		.amdhsa_fp16_overflow 0
		.amdhsa_tg_split 0
		.amdhsa_exception_fp_ieee_invalid_op 0
		.amdhsa_exception_fp_denorm_src 0
		.amdhsa_exception_fp_ieee_div_zero 0
		.amdhsa_exception_fp_ieee_overflow 0
		.amdhsa_exception_fp_ieee_underflow 0
		.amdhsa_exception_fp_ieee_inexact 0
		.amdhsa_exception_int_div_zero 0
	.end_amdhsa_kernel
	.section	.text._ZN4vllm3moe10topkGatingILi8ELi16ELi4ELi16ELi32Ej14__hip_bfloat16LNS0_11ScoringFuncE0EEEvPKT5_PKbPfiPT4_PiiiibPKf,"axG",@progbits,_ZN4vllm3moe10topkGatingILi8ELi16ELi4ELi16ELi32Ej14__hip_bfloat16LNS0_11ScoringFuncE0EEEvPKT5_PKbPfiPT4_PiiiibPKf,comdat
.Lfunc_end157:
	.size	_ZN4vllm3moe10topkGatingILi8ELi16ELi4ELi16ELi32Ej14__hip_bfloat16LNS0_11ScoringFuncE0EEEvPKT5_PKbPfiPT4_PiiiibPKf, .Lfunc_end157-_ZN4vllm3moe10topkGatingILi8ELi16ELi4ELi16ELi32Ej14__hip_bfloat16LNS0_11ScoringFuncE0EEEvPKT5_PKbPfiPT4_PiiiibPKf
                                        ; -- End function
	.section	.AMDGPU.csdata,"",@progbits
; Kernel info:
; codeLenInByte = 2656
; NumSgprs: 30
; NumVgprs: 31
; NumAgprs: 0
; TotalNumVgprs: 31
; ScratchSize: 0
; MemoryBound: 0
; FloatMode: 240
; IeeeMode: 1
; LDSByteSize: 0 bytes/workgroup (compile time only)
; SGPRBlocks: 3
; VGPRBlocks: 3
; NumSGPRsForWavesPerEU: 30
; NumVGPRsForWavesPerEU: 31
; AccumOffset: 32
; Occupancy: 8
; WaveLimiterHint : 0
; COMPUTE_PGM_RSRC2:SCRATCH_EN: 0
; COMPUTE_PGM_RSRC2:USER_SGPR: 6
; COMPUTE_PGM_RSRC2:TRAP_HANDLER: 0
; COMPUTE_PGM_RSRC2:TGID_X_EN: 1
; COMPUTE_PGM_RSRC2:TGID_Y_EN: 0
; COMPUTE_PGM_RSRC2:TGID_Z_EN: 0
; COMPUTE_PGM_RSRC2:TIDIG_COMP_CNT: 1
; COMPUTE_PGM_RSRC3_GFX90A:ACCUM_OFFSET: 7
; COMPUTE_PGM_RSRC3_GFX90A:TG_SPLIT: 0
	.section	.text._ZN4vllm3moe10topkGatingILi8ELi32ELi4ELi16ELi64Ej14__hip_bfloat16LNS0_11ScoringFuncE0EEEvPKT5_PKbPfiPT4_PiiiibPKf,"axG",@progbits,_ZN4vllm3moe10topkGatingILi8ELi32ELi4ELi16ELi64Ej14__hip_bfloat16LNS0_11ScoringFuncE0EEEvPKT5_PKbPfiPT4_PiiiibPKf,comdat
	.protected	_ZN4vllm3moe10topkGatingILi8ELi32ELi4ELi16ELi64Ej14__hip_bfloat16LNS0_11ScoringFuncE0EEEvPKT5_PKbPfiPT4_PiiiibPKf ; -- Begin function _ZN4vllm3moe10topkGatingILi8ELi32ELi4ELi16ELi64Ej14__hip_bfloat16LNS0_11ScoringFuncE0EEEvPKT5_PKbPfiPT4_PiiiibPKf
	.globl	_ZN4vllm3moe10topkGatingILi8ELi32ELi4ELi16ELi64Ej14__hip_bfloat16LNS0_11ScoringFuncE0EEEvPKT5_PKbPfiPT4_PiiiibPKf
	.p2align	8
	.type	_ZN4vllm3moe10topkGatingILi8ELi32ELi4ELi16ELi64Ej14__hip_bfloat16LNS0_11ScoringFuncE0EEEvPKT5_PKbPfiPT4_PiiiibPKf,@function
_ZN4vllm3moe10topkGatingILi8ELi32ELi4ELi16ELi64Ej14__hip_bfloat16LNS0_11ScoringFuncE0EEEvPKT5_PKbPfiPT4_PiiiibPKf: ; @_ZN4vllm3moe10topkGatingILi8ELi32ELi4ELi16ELi64Ej14__hip_bfloat16LNS0_11ScoringFuncE0EEEvPKT5_PKbPfiPT4_PiiiibPKf
; %bb.0:
	s_load_dword s22, s[4:5], 0x18
	v_bfe_u32 v1, v0, 10, 10
	v_and_b32_e32 v0, 0x3ff, v0
	s_lshl_b32 s0, s6, 6
	v_lshlrev_b32_e32 v1, 4, v1
	v_lshrrev_b32_e32 v2, 2, v0
	v_add3_u32 v16, s0, v1, v2
	s_waitcnt lgkmcnt(0)
	v_cmp_gt_i32_e32 vcc, s22, v16
	s_and_saveexec_b64 s[0:1], vcc
	s_cbranch_execz .LBB158_26
; %bb.1:
	s_load_dwordx4 s[0:3], s[4:5], 0x0
	s_load_dwordx2 s[16:17], s[4:5], 0x10
	s_mov_b64 s[6:7], -1
	s_mov_b64 s[18:19], -1
	s_waitcnt lgkmcnt(0)
	s_cmp_eq_u64 s[2:3], 0
	s_cbranch_scc1 .LBB158_3
; %bb.2:
	v_ashrrev_i32_e32 v1, 31, v16
	v_mov_b32_e32 v3, s3
	v_add_co_u32_e32 v2, vcc, s2, v16
	v_addc_co_u32_e32 v3, vcc, v3, v1, vcc
	global_load_ubyte v1, v[2:3], off
	s_waitcnt vmcnt(0)
	v_and_b32_e32 v1, 1, v1
	v_cmp_eq_u32_e32 vcc, 1, v1
	s_xor_b64 s[2:3], vcc, -1
	s_orn2_b64 s[18:19], s[2:3], exec
.LBB158_3:
	v_lshlrev_b32_e32 v2, 5, v16
	v_ashrrev_i32_e32 v3, 31, v2
	v_lshlrev_b64 v[2:3], 1, v[2:3]
	v_mov_b32_e32 v1, s1
	v_add_co_u32_e32 v2, vcc, s0, v2
	v_and_b32_e32 v17, 3, v0
	v_addc_co_u32_e32 v1, vcc, v1, v3, vcc
	v_lshlrev_b32_e32 v0, 4, v17
	v_add_co_u32_e32 v0, vcc, v2, v0
	v_addc_co_u32_e32 v1, vcc, 0, v1, vcc
	global_load_dwordx4 v[0:3], v[0:1], off
	v_mbcnt_lo_u32_b32 v4, -1, 0
	v_mbcnt_hi_u32_b32 v6, -1, v4
	v_and_b32_e32 v4, 0x7c, v6
	v_xor_b32_e32 v5, 2, v6
	v_add_u32_e32 v7, 4, v4
	v_cmp_lt_i32_e32 vcc, v5, v7
	v_cndmask_b32_e32 v4, v6, v5, vcc
	v_lshlrev_b32_e32 v18, 2, v4
	v_xor_b32_e32 v12, 1, v6
	v_cmp_lt_i32_e32 vcc, v12, v7
	v_cndmask_b32_e32 v6, v6, v12, vcc
	v_lshlrev_b32_e32 v19, 2, v6
	s_mov_b32 s0, 0x3fb8aa3b
	s_mov_b32 s1, 0xc2ce8ed0
	;; [unrolled: 1-line block ×3, first 2 shown]
	s_waitcnt vmcnt(0)
	v_lshlrev_b32_e32 v8, 16, v1
	v_and_b32_e32 v4, 0xffff0000, v1
	v_and_b32_e32 v1, 0xffff0000, v0
	v_lshlrev_b32_e32 v0, 16, v0
	v_max_f32_e32 v10, v1, v1
	v_max_f32_e32 v11, v0, v0
	;; [unrolled: 1-line block ×3, first 2 shown]
	v_lshlrev_b32_e32 v5, 16, v2
	v_and_b32_e32 v2, 0xffff0000, v2
	v_max3_f32 v10, v10, v8, v4
	v_and_b32_e32 v9, 0xffff0000, v3
	v_lshlrev_b32_e32 v3, 16, v3
	v_max3_f32 v10, v10, v5, v2
	v_max3_f32 v10, v10, v3, v9
	ds_bpermute_b32 v11, v18, v10
	s_waitcnt lgkmcnt(0)
	v_max_f32_e32 v6, v11, v11
	v_max_f32_e32 v6, v10, v6
	ds_bpermute_b32 v7, v19, v6
	v_mov_b32_e32 v10, 0x7f800000
	s_waitcnt lgkmcnt(0)
	v_max_f32_e32 v7, v7, v7
	v_max_f32_e32 v6, v6, v7
	v_pk_add_f32 v[0:1], v[0:1], v[6:7] op_sel_hi:[1,0] neg_lo:[0,1] neg_hi:[0,1]
	v_sub_f32_e32 v7, v8, v6
	v_mul_f32_e32 v8, 0x3fb8aa3b, v1
	v_mul_f32_e32 v11, 0x3fb8aa3b, v0
	v_fma_f32 v15, v1, s0, -v8
	v_rndne_f32_e32 v20, v8
	v_pk_add_f32 v[4:5], v[4:5], v[6:7] op_sel_hi:[1,0] neg_lo:[0,1] neg_hi:[0,1]
	v_mul_f32_e32 v12, 0x3fb8aa3b, v7
	v_fma_f32 v21, v0, s0, -v11
	v_rndne_f32_e32 v22, v11
	v_fmac_f32_e32 v15, 0x32a5705f, v1
	v_sub_f32_e32 v8, v8, v20
	v_mul_f32_e32 v13, 0x3fb8aa3b, v5
	v_fma_f32 v23, v7, s0, -v12
	v_rndne_f32_e32 v24, v12
	v_fmac_f32_e32 v21, 0x32a5705f, v0
	v_sub_f32_e32 v11, v11, v22
	v_add_f32_e32 v8, v8, v15
	v_mul_f32_e32 v14, 0x3fb8aa3b, v4
	v_fma_f32 v25, v5, s0, -v13
	v_rndne_f32_e32 v26, v13
	v_cvt_i32_f32_e32 v20, v20
	v_fmac_f32_e32 v23, 0x32a5705f, v7
	v_sub_f32_e32 v12, v12, v24
	v_add_f32_e32 v11, v11, v21
	v_exp_f32_e32 v8, v8
	v_fma_f32 v27, v4, s0, -v14
	v_rndne_f32_e32 v28, v14
	v_cvt_i32_f32_e32 v22, v22
	v_fmac_f32_e32 v25, 0x32a5705f, v5
	v_sub_f32_e32 v13, v13, v26
	v_add_f32_e32 v12, v12, v23
	v_exp_f32_e32 v11, v11
	v_cvt_i32_f32_e32 v24, v24
	v_fmac_f32_e32 v27, 0x32a5705f, v4
	v_sub_f32_e32 v14, v14, v28
	v_add_f32_e32 v13, v13, v25
	v_exp_f32_e32 v12, v12
	v_cvt_i32_f32_e32 v26, v26
	v_add_f32_e32 v14, v14, v27
	v_exp_f32_e32 v13, v13
	v_cvt_i32_f32_e32 v28, v28
	v_exp_f32_e32 v14, v14
	v_ldexp_f32 v8, v8, v20
	v_cmp_ngt_f32_e32 vcc, s1, v1
	v_ldexp_f32 v11, v11, v22
	v_cndmask_b32_e32 v8, 0, v8, vcc
	v_cmp_ngt_f32_e32 vcc, s1, v0
	v_ldexp_f32 v12, v12, v24
	v_cndmask_b32_e32 v11, 0, v11, vcc
	;; [unrolled: 3-line block ×4, first 2 shown]
	v_cmp_ngt_f32_e32 vcc, s1, v4
	v_cndmask_b32_e32 v14, 0, v14, vcc
	v_cmp_nlt_f32_e32 vcc, s2, v1
	v_cndmask_b32_e32 v8, v10, v8, vcc
	v_cmp_nlt_f32_e32 vcc, s2, v0
	;; [unrolled: 2-line block ×3, first 2 shown]
	v_cndmask_b32_e32 v7, v10, v12, vcc
	v_add_f32_e32 v0, v11, v8
	v_pk_add_f32 v[2:3], v[2:3], v[6:7] op_sel_hi:[1,0] neg_lo:[0,1] neg_hi:[0,1]
	v_cmp_nlt_f32_e32 vcc, s2, v5
	v_add_f32_e32 v5, v0, v7
	v_mul_f32_e32 v0, 0x3fb8aa3b, v3
	v_cndmask_b32_e32 v1, v10, v13, vcc
	v_fma_f32 v12, v3, s0, -v0
	v_rndne_f32_e32 v13, v0
	v_fmac_f32_e32 v12, 0x32a5705f, v3
	v_sub_f32_e32 v0, v0, v13
	v_add_f32_e32 v0, v0, v12
	v_exp_f32_e32 v12, v0
	v_cvt_i32_f32_e32 v13, v13
	v_cmp_nlt_f32_e32 vcc, s2, v4
	v_cndmask_b32_e32 v0, v10, v14, vcc
	v_add_f32_e32 v4, v5, v0
	v_ldexp_f32 v5, v12, v13
	v_mul_f32_e32 v12, 0x3fb8aa3b, v2
	v_fma_f32 v13, v2, s0, -v12
	v_rndne_f32_e32 v14, v12
	v_fmac_f32_e32 v13, 0x32a5705f, v2
	v_sub_f32_e32 v12, v12, v14
	v_add_f32_e32 v12, v12, v13
	v_exp_f32_e32 v12, v12
	v_cvt_i32_f32_e32 v13, v14
	v_cmp_ngt_f32_e32 vcc, s1, v3
	v_sub_f32_e32 v6, v9, v6
	v_cndmask_b32_e32 v5, 0, v5, vcc
	v_cmp_nlt_f32_e32 vcc, s2, v3
	v_mul_f32_e32 v9, 0x3fb8aa3b, v6
	v_cndmask_b32_e32 v3, v10, v5, vcc
	v_ldexp_f32 v5, v12, v13
	v_fma_f32 v12, v6, s0, -v9
	v_rndne_f32_e32 v13, v9
	v_fmac_f32_e32 v12, 0x32a5705f, v6
	v_sub_f32_e32 v9, v9, v13
	v_add_f32_e32 v9, v9, v12
	v_exp_f32_e32 v9, v9
	v_cvt_i32_f32_e32 v12, v13
	v_cmp_ngt_f32_e32 vcc, s1, v2
	v_cndmask_b32_e32 v5, 0, v5, vcc
	v_cmp_nlt_f32_e32 vcc, s2, v2
	v_add_f32_e32 v4, v4, v1
	v_cndmask_b32_e32 v2, v10, v5, vcc
	v_ldexp_f32 v5, v9, v12
	v_cmp_ngt_f32_e32 vcc, s1, v6
	v_add_f32_e32 v4, v4, v2
	v_cndmask_b32_e32 v5, 0, v5, vcc
	v_cmp_nlt_f32_e32 vcc, s2, v6
	v_add_f32_e32 v4, v4, v3
	v_cndmask_b32_e32 v5, v10, v5, vcc
	v_add_f32_e32 v4, v4, v5
	ds_bpermute_b32 v6, v18, v4
	s_movk_i32 s2, 0x1f8
	v_lshlrev_b32_e32 v20, 3, v17
	s_waitcnt lgkmcnt(0)
	v_add_f32_e32 v4, v4, v6
	ds_bpermute_b32 v6, v19, v4
	s_waitcnt lgkmcnt(0)
	v_add_f32_e32 v4, v4, v6
	v_div_scale_f32 v6, s[0:1], v4, v4, 1.0
	v_rcp_f32_e32 v9, v6
	s_load_dwordx2 s[0:1], s[4:5], 0x40
	v_fma_f32 v10, -v6, v9, 1.0
	v_fmac_f32_e32 v9, v10, v9
	v_div_scale_f32 v10, vcc, 1.0, v4, 1.0
	v_mul_f32_e32 v12, v10, v9
	v_fma_f32 v13, -v6, v12, v10
	v_fmac_f32_e32 v12, v13, v9
	v_fma_f32 v6, -v6, v12, v10
	v_div_fmas_f32 v6, v6, v9, v12
	v_div_fixup_f32 v4, v6, v4, 1.0
	v_mul_f32_e32 v10, v4, v11
	v_mul_f32_e32 v11, v4, v8
	v_cmp_class_f32_e64 vcc, v10, s2
	v_mul_f32_e32 v12, v4, v7
	v_pk_mul_f32 v[6:7], v[4:5], v[0:1] op_sel_hi:[0,1]
	v_cndmask_b32_e32 v0, 0, v10, vcc
	v_cmp_class_f32_e64 vcc, v11, s2
	v_pk_mul_f32 v[8:9], v[4:5], v[2:3] op_sel_hi:[0,1]
	v_mul_f32_e32 v13, v4, v5
	v_cndmask_b32_e32 v1, 0, v11, vcc
	v_cmp_class_f32_e64 vcc, v12, s2
	v_mov_b32_e32 v5, 0x207
	v_cndmask_b32_e32 v2, 0, v12, vcc
	v_cmp_class_f32_e32 vcc, v7, v5
	v_cndmask_b32_e64 v4, v7, 0, vcc
	v_cmp_class_f32_e32 vcc, v6, v5
	v_cndmask_b32_e64 v3, v6, 0, vcc
	;; [unrolled: 2-line block ×4, first 2 shown]
	v_cmp_class_f32_e64 vcc, v13, s2
	s_waitcnt lgkmcnt(0)
	s_cmp_eq_u64 s[0:1], 0
	v_cndmask_b32_e32 v7, 0, v13, vcc
	s_cbranch_scc1 .LBB158_15
; %bb.4:
	v_lshlrev_b32_e32 v21, 2, v20
	global_load_dwordx4 v[8:11], v21, s[0:1]
	global_load_dwordx4 v[12:15], v21, s[0:1] offset:16
	s_waitcnt vmcnt(1)
	v_pk_add_f32 v[8:9], v[8:9], v[0:1]
	v_pk_add_f32 v[10:11], v[10:11], v[2:3]
	s_waitcnt vmcnt(0)
	v_pk_add_f32 v[12:13], v[12:13], v[4:5]
	v_pk_add_f32 v[14:15], v[14:15], v[6:7]
	s_cbranch_execnz .LBB158_6
.LBB158_5:
	v_pk_mov_b32 v[14:15], v[6:7], v[6:7] op_sel:[0,1]
	v_pk_mov_b32 v[12:13], v[4:5], v[4:5] op_sel:[0,1]
	;; [unrolled: 1-line block ×4, first 2 shown]
.LBB158_6:
	s_load_dwordx4 s[8:11], s[4:5], 0x30
	s_mov_b32 s23, 0
	v_cmp_eq_u32_e64 s[0:1], 0, v17
	s_waitcnt lgkmcnt(0)
	s_bitcmp1_b32 s11, 0
	s_cselect_b64 vcc, -1, 0
	s_cmp_gt_i32 s8, 0
	s_cselect_b64 s[20:21], -1, 0
	s_cmp_lt_i32 s8, 1
	s_cbranch_scc1 .LBB158_16
; %bb.7:
	s_load_dwordx4 s[12:15], s[4:5], 0x20
	v_mul_lo_u32 v22, v16, s8
	v_mov_b32_e32 v21, 0
	v_mov_b32_e32 v23, 0xc61c4000
	;; [unrolled: 1-line block ×3, first 2 shown]
	s_branch .LBB158_10
.LBB158_8:                              ;   in Loop: Header=BB158_10 Depth=1
	s_or_b64 exec, exec, s[4:5]
.LBB158_9:                              ;   in Loop: Header=BB158_10 Depth=1
	s_cmp_eq_u32 s8, s23
	v_add_u32_e32 v24, s22, v24
	s_cbranch_scc1 .LBB158_17
.LBB158_10:                             ; =>This Inner Loop Header: Depth=1
	v_cmp_gt_f32_e64 s[2:3], v9, v8
	v_cndmask_b32_e64 v25, v8, v9, s[2:3]
	v_cndmask_b32_e64 v26, v0, v1, s[2:3]
	s_waitcnt lgkmcnt(0)
	v_cndmask_b32_e64 v27, 0, 1, s[2:3]
	v_cmp_gt_f32_e64 s[2:3], v10, v25
	v_cndmask_b32_e64 v25, v25, v10, s[2:3]
	v_cndmask_b32_e64 v26, v26, v2, s[2:3]
	v_cndmask_b32_e64 v27, v27, 2, s[2:3]
	v_cmp_gt_f32_e64 s[2:3], v11, v25
	v_cndmask_b32_e64 v25, v25, v11, s[2:3]
	v_cndmask_b32_e64 v26, v26, v3, s[2:3]
	;; [unrolled: 4-line block ×6, first 2 shown]
	v_or_b32_e32 v27, v20, v27
	ds_bpermute_b32 v28, v18, v25
	ds_bpermute_b32 v29, v18, v27
	v_cndmask_b32_e64 v26, v26, v7, s[2:3]
	ds_bpermute_b32 v30, v18, v26
	s_waitcnt lgkmcnt(0)
	v_cmp_eq_f32_e64 s[4:5], v25, v28
	v_cmp_lt_i32_e64 s[6:7], v29, v27
	v_cmp_lt_f32_e64 s[2:3], v25, v28
	s_and_b64 s[4:5], s[4:5], s[6:7]
	s_or_b64 s[2:3], s[2:3], s[4:5]
	v_cndmask_b32_e64 v29, v27, v29, s[2:3]
	v_cndmask_b32_e64 v25, v25, v28, s[2:3]
	ds_bpermute_b32 v28, v19, v25
	ds_bpermute_b32 v31, v19, v29
	v_cndmask_b32_e64 v26, v26, v30, s[2:3]
	ds_bpermute_b32 v27, v19, v26
	s_waitcnt lgkmcnt(2)
	v_cmp_eq_f32_e64 s[4:5], v25, v28
	s_waitcnt lgkmcnt(1)
	v_cmp_lt_i32_e64 s[6:7], v31, v29
	v_cmp_lt_f32_e64 s[2:3], v25, v28
	s_and_b64 s[4:5], s[4:5], s[6:7]
	s_or_b64 s[2:3], s[2:3], s[4:5]
	v_cndmask_b32_e64 v25, v29, v31, s[2:3]
	s_and_saveexec_b64 s[6:7], s[0:1]
	s_cbranch_execnz .LBB158_12
; %bb.11:                               ;   in Loop: Header=BB158_10 Depth=1
	s_or_b64 exec, exec, s[6:7]
	s_add_i32 s23, s23, 1
	s_cmp_ge_i32 s23, s8
	s_cbranch_scc1 .LBB158_9
	s_branch .LBB158_13
.LBB158_12:                             ;   in Loop: Header=BB158_10 Depth=1
	s_waitcnt lgkmcnt(0)
	v_cndmask_b32_e64 v30, v26, v27, s[2:3]
	v_add_u32_e32 v26, s23, v22
	v_ashrrev_i32_e32 v27, 31, v26
	v_cmp_le_i32_e64 s[2:3], s9, v25
	v_cmp_gt_i32_e64 s[4:5], s10, v25
	v_lshlrev_b64 v[26:27], 2, v[26:27]
	s_and_b64 s[4:5], s[2:3], s[4:5]
	v_mov_b32_e32 v29, s17
	v_add_co_u32_e64 v28, s[2:3], s16, v26
	v_addc_co_u32_e64 v29, s[2:3], v29, v27, s[2:3]
	global_store_dword v[28:29], v30, off
	v_subrev_u32_e32 v28, s9, v25
	s_and_b64 s[2:3], s[18:19], s[4:5]
	v_cndmask_b32_e64 v31, 32, v28, s[2:3]
	v_mov_b32_e32 v29, s13
	v_add_co_u32_e64 v28, s[2:3], s12, v26
	v_addc_co_u32_e64 v29, s[2:3], v29, v27, s[2:3]
	global_store_dword v[28:29], v31, off
	v_mov_b32_e32 v28, s15
	v_add_co_u32_e64 v26, s[2:3], s14, v26
	v_addc_co_u32_e64 v27, s[2:3], v28, v27, s[2:3]
	global_store_dword v[26:27], v24, off
	v_add_f32_e32 v26, v21, v30
	v_cndmask_b32_e32 v21, v21, v26, vcc
	s_or_b64 exec, exec, s[6:7]
	s_add_i32 s23, s23, 1
	s_cmp_ge_i32 s23, s8
	s_cbranch_scc1 .LBB158_9
.LBB158_13:                             ;   in Loop: Header=BB158_10 Depth=1
	s_waitcnt lgkmcnt(0)
	v_ashrrev_i32_e32 v27, 31, v25
	v_lshrrev_b32_e32 v26, 29, v27
	v_add_u32_e32 v26, v25, v26
	v_ashrrev_i32_e32 v26, 3, v26
	v_lshrrev_b32_e32 v28, 30, v26
	v_add_u32_e32 v28, v26, v28
	v_and_b32_e32 v28, -4, v28
	v_sub_u32_e32 v28, v26, v28
	v_cmp_eq_u32_e64 s[2:3], v17, v28
	s_and_saveexec_b64 s[4:5], s[2:3]
	s_cbranch_execz .LBB158_8
; %bb.14:                               ;   in Loop: Header=BB158_10 Depth=1
	v_lshrrev_b32_e32 v27, 27, v27
	v_add_u32_e32 v27, v25, v27
	v_lshlrev_b32_e32 v26, 3, v26
	v_ashrrev_i32_e32 v27, 5, v27
	v_sub_u32_e32 v25, v25, v26
	v_lshl_add_u32 v25, v27, 3, v25
	v_cmp_ne_u32_e64 s[2:3], 7, v25
	v_cndmask_b32_e64 v15, v23, v15, s[2:3]
	v_cmp_ne_u32_e64 s[2:3], 6, v25
	v_cndmask_b32_e64 v14, v23, v14, s[2:3]
	;; [unrolled: 2-line block ×8, first 2 shown]
	s_branch .LBB158_8
.LBB158_15:
                                        ; implicit-def: $vgpr8_vgpr9_vgpr10_vgpr11_vgpr12_vgpr13_vgpr14_vgpr15
	s_andn2_b64 vcc, exec, s[6:7]
	s_cbranch_vccz .LBB158_5
	s_branch .LBB158_6
.LBB158_16:
	v_mov_b32_e32 v21, 0
.LBB158_17:
	v_cmp_eq_u32_e64 s[0:1], 0, v17
	s_and_b64 s[0:1], s[0:1], vcc
	s_and_b64 exec, exec, s[0:1]
	s_cbranch_execz .LBB158_26
; %bb.18:
	s_andn2_b64 vcc, exec, s[20:21]
	s_cbranch_vccnz .LBB158_26
; %bb.19:
	v_cmp_lt_f32_e32 vcc, 0, v21
	s_mov_b32 s2, 0
	v_cndmask_b32_e32 v0, 1.0, v21, vcc
	v_mul_lo_u32 v4, v16, s8
	s_cmp_eq_u32 s8, 1
	s_mov_b64 s[0:1], -1
	s_cbranch_scc1 .LBB158_23
; %bb.20:
	s_and_b32 s2, s8, 0x7ffffffe
	v_mov_b32_e32 v1, v0
	v_mov_b32_e32 v5, s17
	s_mov_b32 s3, s2
	v_mov_b32_e32 v2, v4
.LBB158_21:                             ; =>This Inner Loop Header: Depth=1
	v_ashrrev_i32_e32 v3, 31, v2
	v_lshlrev_b64 v[6:7], 2, v[2:3]
	v_add_co_u32_e32 v6, vcc, s16, v6
	v_addc_co_u32_e32 v7, vcc, v5, v7, vcc
	global_load_dwordx2 v[8:9], v[6:7], off
	s_add_i32 s3, s3, -2
	s_cmp_lg_u32 s3, 0
	v_add_u32_e32 v2, 2, v2
	s_waitcnt vmcnt(0)
	v_div_scale_f32 v3, s[0:1], v1, v1, v9
	v_div_scale_f32 v11, s[0:1], v0, v0, v8
	v_rcp_f32_e32 v12, v3
	v_rcp_f32_e32 v13, v11
	v_div_scale_f32 v10, vcc, v9, v1, v9
	v_fma_f32 v15, -v3, v12, 1.0
	v_fma_f32 v16, -v11, v13, 1.0
	v_fmac_f32_e32 v12, v15, v12
	v_div_scale_f32 v14, s[0:1], v8, v0, v8
	v_fmac_f32_e32 v13, v16, v13
	v_mul_f32_e32 v15, v10, v12
	v_mul_f32_e32 v16, v14, v13
	v_fma_f32 v17, -v3, v15, v10
	v_fma_f32 v18, -v11, v16, v14
	v_fmac_f32_e32 v15, v17, v12
	v_fmac_f32_e32 v16, v18, v13
	v_fma_f32 v3, -v3, v15, v10
	v_fma_f32 v10, -v11, v16, v14
	v_div_fmas_f32 v3, v3, v12, v15
	s_mov_b64 vcc, s[0:1]
	v_div_fixup_f32 v9, v3, v1, v9
	v_div_fmas_f32 v3, v10, v13, v16
	v_div_fixup_f32 v8, v3, v0, v8
	global_store_dwordx2 v[6:7], v[8:9], off
	s_cbranch_scc1 .LBB158_21
; %bb.22:
	s_cmp_lg_u32 s2, s8
	s_cselect_b64 s[0:1], -1, 0
.LBB158_23:
	s_and_b64 vcc, exec, s[0:1]
	s_cbranch_vccz .LBB158_26
; %bb.24:
	v_ashrrev_i32_e32 v1, 31, v4
	v_add_co_u32_e32 v2, vcc, s2, v4
	v_addc_co_u32_e32 v3, vcc, 0, v1, vcc
	v_lshlrev_b64 v[2:3], 2, v[2:3]
	v_mov_b32_e32 v1, s17
	v_add_co_u32_e32 v2, vcc, s16, v2
	s_sub_i32 s0, s8, s2
	v_addc_co_u32_e32 v3, vcc, v1, v3, vcc
.LBB158_25:                             ; =>This Inner Loop Header: Depth=1
	global_load_dword v1, v[2:3], off
	s_add_i32 s0, s0, -1
	s_cmp_lg_u32 s0, 0
	s_waitcnt vmcnt(0)
	v_div_scale_f32 v4, s[2:3], v0, v0, v1
	v_rcp_f32_e32 v5, v4
	v_div_scale_f32 v6, vcc, v1, v0, v1
	v_fma_f32 v7, -v4, v5, 1.0
	v_fmac_f32_e32 v5, v7, v5
	v_mul_f32_e32 v7, v6, v5
	v_fma_f32 v8, -v4, v7, v6
	v_fmac_f32_e32 v7, v8, v5
	v_fma_f32 v4, -v4, v7, v6
	v_div_fmas_f32 v4, v4, v5, v7
	v_div_fixup_f32 v1, v4, v0, v1
	global_store_dword v[2:3], v1, off
	v_add_co_u32_e32 v2, vcc, 4, v2
	v_addc_co_u32_e32 v3, vcc, 0, v3, vcc
	s_cbranch_scc1 .LBB158_25
.LBB158_26:
	s_endpgm
	.section	.rodata,"a",@progbits
	.p2align	6, 0x0
	.amdhsa_kernel _ZN4vllm3moe10topkGatingILi8ELi32ELi4ELi16ELi64Ej14__hip_bfloat16LNS0_11ScoringFuncE0EEEvPKT5_PKbPfiPT4_PiiiibPKf
		.amdhsa_group_segment_fixed_size 0
		.amdhsa_private_segment_fixed_size 0
		.amdhsa_kernarg_size 72
		.amdhsa_user_sgpr_count 6
		.amdhsa_user_sgpr_private_segment_buffer 1
		.amdhsa_user_sgpr_dispatch_ptr 0
		.amdhsa_user_sgpr_queue_ptr 0
		.amdhsa_user_sgpr_kernarg_segment_ptr 1
		.amdhsa_user_sgpr_dispatch_id 0
		.amdhsa_user_sgpr_flat_scratch_init 0
		.amdhsa_user_sgpr_kernarg_preload_length 0
		.amdhsa_user_sgpr_kernarg_preload_offset 0
		.amdhsa_user_sgpr_private_segment_size 0
		.amdhsa_uses_dynamic_stack 0
		.amdhsa_system_sgpr_private_segment_wavefront_offset 0
		.amdhsa_system_sgpr_workgroup_id_x 1
		.amdhsa_system_sgpr_workgroup_id_y 0
		.amdhsa_system_sgpr_workgroup_id_z 0
		.amdhsa_system_sgpr_workgroup_info 0
		.amdhsa_system_vgpr_workitem_id 1
		.amdhsa_next_free_vgpr 32
		.amdhsa_next_free_sgpr 24
		.amdhsa_accum_offset 32
		.amdhsa_reserve_vcc 1
		.amdhsa_reserve_flat_scratch 0
		.amdhsa_float_round_mode_32 0
		.amdhsa_float_round_mode_16_64 0
		.amdhsa_float_denorm_mode_32 3
		.amdhsa_float_denorm_mode_16_64 3
		.amdhsa_dx10_clamp 1
		.amdhsa_ieee_mode 1
		.amdhsa_fp16_overflow 0
		.amdhsa_tg_split 0
		.amdhsa_exception_fp_ieee_invalid_op 0
		.amdhsa_exception_fp_denorm_src 0
		.amdhsa_exception_fp_ieee_div_zero 0
		.amdhsa_exception_fp_ieee_overflow 0
		.amdhsa_exception_fp_ieee_underflow 0
		.amdhsa_exception_fp_ieee_inexact 0
		.amdhsa_exception_int_div_zero 0
	.end_amdhsa_kernel
	.section	.text._ZN4vllm3moe10topkGatingILi8ELi32ELi4ELi16ELi64Ej14__hip_bfloat16LNS0_11ScoringFuncE0EEEvPKT5_PKbPfiPT4_PiiiibPKf,"axG",@progbits,_ZN4vllm3moe10topkGatingILi8ELi32ELi4ELi16ELi64Ej14__hip_bfloat16LNS0_11ScoringFuncE0EEEvPKT5_PKbPfiPT4_PiiiibPKf,comdat
.Lfunc_end158:
	.size	_ZN4vllm3moe10topkGatingILi8ELi32ELi4ELi16ELi64Ej14__hip_bfloat16LNS0_11ScoringFuncE0EEEvPKT5_PKbPfiPT4_PiiiibPKf, .Lfunc_end158-_ZN4vllm3moe10topkGatingILi8ELi32ELi4ELi16ELi64Ej14__hip_bfloat16LNS0_11ScoringFuncE0EEEvPKT5_PKbPfiPT4_PiiiibPKf
                                        ; -- End function
	.section	.AMDGPU.csdata,"",@progbits
; Kernel info:
; codeLenInByte = 2752
; NumSgprs: 28
; NumVgprs: 32
; NumAgprs: 0
; TotalNumVgprs: 32
; ScratchSize: 0
; MemoryBound: 0
; FloatMode: 240
; IeeeMode: 1
; LDSByteSize: 0 bytes/workgroup (compile time only)
; SGPRBlocks: 3
; VGPRBlocks: 3
; NumSGPRsForWavesPerEU: 28
; NumVGPRsForWavesPerEU: 32
; AccumOffset: 32
; Occupancy: 8
; WaveLimiterHint : 0
; COMPUTE_PGM_RSRC2:SCRATCH_EN: 0
; COMPUTE_PGM_RSRC2:USER_SGPR: 6
; COMPUTE_PGM_RSRC2:TRAP_HANDLER: 0
; COMPUTE_PGM_RSRC2:TGID_X_EN: 1
; COMPUTE_PGM_RSRC2:TGID_Y_EN: 0
; COMPUTE_PGM_RSRC2:TGID_Z_EN: 0
; COMPUTE_PGM_RSRC2:TIDIG_COMP_CNT: 1
; COMPUTE_PGM_RSRC3_GFX90A:ACCUM_OFFSET: 7
; COMPUTE_PGM_RSRC3_GFX90A:TG_SPLIT: 0
	.section	.text._ZN4vllm3moe10topkGatingILi8ELi32ELi4ELi16ELi32Ej14__hip_bfloat16LNS0_11ScoringFuncE0EEEvPKT5_PKbPfiPT4_PiiiibPKf,"axG",@progbits,_ZN4vllm3moe10topkGatingILi8ELi32ELi4ELi16ELi32Ej14__hip_bfloat16LNS0_11ScoringFuncE0EEEvPKT5_PKbPfiPT4_PiiiibPKf,comdat
	.protected	_ZN4vllm3moe10topkGatingILi8ELi32ELi4ELi16ELi32Ej14__hip_bfloat16LNS0_11ScoringFuncE0EEEvPKT5_PKbPfiPT4_PiiiibPKf ; -- Begin function _ZN4vllm3moe10topkGatingILi8ELi32ELi4ELi16ELi32Ej14__hip_bfloat16LNS0_11ScoringFuncE0EEEvPKT5_PKbPfiPT4_PiiiibPKf
	.globl	_ZN4vllm3moe10topkGatingILi8ELi32ELi4ELi16ELi32Ej14__hip_bfloat16LNS0_11ScoringFuncE0EEEvPKT5_PKbPfiPT4_PiiiibPKf
	.p2align	8
	.type	_ZN4vllm3moe10topkGatingILi8ELi32ELi4ELi16ELi32Ej14__hip_bfloat16LNS0_11ScoringFuncE0EEEvPKT5_PKbPfiPT4_PiiiibPKf,@function
_ZN4vllm3moe10topkGatingILi8ELi32ELi4ELi16ELi32Ej14__hip_bfloat16LNS0_11ScoringFuncE0EEEvPKT5_PKbPfiPT4_PiiiibPKf: ; @_ZN4vllm3moe10topkGatingILi8ELi32ELi4ELi16ELi32Ej14__hip_bfloat16LNS0_11ScoringFuncE0EEEvPKT5_PKbPfiPT4_PiiiibPKf
; %bb.0:
	s_load_dword s22, s[4:5], 0x18
	v_bfe_u32 v1, v0, 10, 10
	v_and_b32_e32 v0, 0x3ff, v0
	s_lshl_b32 s0, s6, 5
	v_lshlrev_b32_e32 v1, 3, v1
	v_lshrrev_b32_e32 v2, 2, v0
	v_add3_u32 v16, s0, v1, v2
	s_waitcnt lgkmcnt(0)
	v_cmp_gt_i32_e32 vcc, s22, v16
	s_and_saveexec_b64 s[0:1], vcc
	s_cbranch_execz .LBB159_26
; %bb.1:
	s_load_dwordx4 s[0:3], s[4:5], 0x0
	s_load_dwordx2 s[16:17], s[4:5], 0x10
	s_mov_b64 s[6:7], -1
	s_mov_b64 s[18:19], -1
	s_waitcnt lgkmcnt(0)
	s_cmp_eq_u64 s[2:3], 0
	s_cbranch_scc1 .LBB159_3
; %bb.2:
	v_ashrrev_i32_e32 v1, 31, v16
	v_mov_b32_e32 v3, s3
	v_add_co_u32_e32 v2, vcc, s2, v16
	v_addc_co_u32_e32 v3, vcc, v3, v1, vcc
	global_load_ubyte v1, v[2:3], off
	s_waitcnt vmcnt(0)
	v_and_b32_e32 v1, 1, v1
	v_cmp_eq_u32_e32 vcc, 1, v1
	s_xor_b64 s[2:3], vcc, -1
	s_orn2_b64 s[18:19], s[2:3], exec
.LBB159_3:
	v_lshlrev_b32_e32 v2, 5, v16
	v_ashrrev_i32_e32 v3, 31, v2
	v_lshlrev_b64 v[2:3], 1, v[2:3]
	v_mov_b32_e32 v1, s1
	v_add_co_u32_e32 v2, vcc, s0, v2
	v_and_b32_e32 v17, 3, v0
	v_addc_co_u32_e32 v1, vcc, v1, v3, vcc
	v_lshlrev_b32_e32 v0, 4, v17
	v_add_co_u32_e32 v0, vcc, v2, v0
	v_addc_co_u32_e32 v1, vcc, 0, v1, vcc
	global_load_dwordx4 v[0:3], v[0:1], off
	v_mbcnt_lo_u32_b32 v4, -1, 0
	v_mbcnt_hi_u32_b32 v6, -1, v4
	v_and_b32_e32 v4, 0x7c, v6
	v_xor_b32_e32 v5, 2, v6
	v_add_u32_e32 v7, 4, v4
	v_cmp_lt_i32_e32 vcc, v5, v7
	v_cndmask_b32_e32 v4, v6, v5, vcc
	v_lshlrev_b32_e32 v18, 2, v4
	v_xor_b32_e32 v12, 1, v6
	v_cmp_lt_i32_e32 vcc, v12, v7
	v_cndmask_b32_e32 v6, v6, v12, vcc
	v_lshlrev_b32_e32 v19, 2, v6
	s_mov_b32 s0, 0x3fb8aa3b
	s_mov_b32 s1, 0xc2ce8ed0
	;; [unrolled: 1-line block ×3, first 2 shown]
	s_waitcnt vmcnt(0)
	v_lshlrev_b32_e32 v8, 16, v1
	v_and_b32_e32 v4, 0xffff0000, v1
	v_and_b32_e32 v1, 0xffff0000, v0
	v_lshlrev_b32_e32 v0, 16, v0
	v_max_f32_e32 v10, v1, v1
	v_max_f32_e32 v11, v0, v0
	;; [unrolled: 1-line block ×3, first 2 shown]
	v_lshlrev_b32_e32 v5, 16, v2
	v_and_b32_e32 v2, 0xffff0000, v2
	v_max3_f32 v10, v10, v8, v4
	v_and_b32_e32 v9, 0xffff0000, v3
	v_lshlrev_b32_e32 v3, 16, v3
	v_max3_f32 v10, v10, v5, v2
	v_max3_f32 v10, v10, v3, v9
	ds_bpermute_b32 v11, v18, v10
	s_waitcnt lgkmcnt(0)
	v_max_f32_e32 v6, v11, v11
	v_max_f32_e32 v6, v10, v6
	ds_bpermute_b32 v7, v19, v6
	v_mov_b32_e32 v10, 0x7f800000
	s_waitcnt lgkmcnt(0)
	v_max_f32_e32 v7, v7, v7
	v_max_f32_e32 v6, v6, v7
	v_pk_add_f32 v[0:1], v[0:1], v[6:7] op_sel_hi:[1,0] neg_lo:[0,1] neg_hi:[0,1]
	v_sub_f32_e32 v7, v8, v6
	v_mul_f32_e32 v8, 0x3fb8aa3b, v1
	v_mul_f32_e32 v11, 0x3fb8aa3b, v0
	v_fma_f32 v15, v1, s0, -v8
	v_rndne_f32_e32 v20, v8
	v_pk_add_f32 v[4:5], v[4:5], v[6:7] op_sel_hi:[1,0] neg_lo:[0,1] neg_hi:[0,1]
	v_mul_f32_e32 v12, 0x3fb8aa3b, v7
	v_fma_f32 v21, v0, s0, -v11
	v_rndne_f32_e32 v22, v11
	v_fmac_f32_e32 v15, 0x32a5705f, v1
	v_sub_f32_e32 v8, v8, v20
	v_mul_f32_e32 v13, 0x3fb8aa3b, v5
	v_fma_f32 v23, v7, s0, -v12
	v_rndne_f32_e32 v24, v12
	v_fmac_f32_e32 v21, 0x32a5705f, v0
	v_sub_f32_e32 v11, v11, v22
	v_add_f32_e32 v8, v8, v15
	v_mul_f32_e32 v14, 0x3fb8aa3b, v4
	v_fma_f32 v25, v5, s0, -v13
	v_rndne_f32_e32 v26, v13
	v_cvt_i32_f32_e32 v20, v20
	v_fmac_f32_e32 v23, 0x32a5705f, v7
	v_sub_f32_e32 v12, v12, v24
	v_add_f32_e32 v11, v11, v21
	v_exp_f32_e32 v8, v8
	v_fma_f32 v27, v4, s0, -v14
	v_rndne_f32_e32 v28, v14
	v_cvt_i32_f32_e32 v22, v22
	v_fmac_f32_e32 v25, 0x32a5705f, v5
	v_sub_f32_e32 v13, v13, v26
	v_add_f32_e32 v12, v12, v23
	v_exp_f32_e32 v11, v11
	v_cvt_i32_f32_e32 v24, v24
	v_fmac_f32_e32 v27, 0x32a5705f, v4
	v_sub_f32_e32 v14, v14, v28
	v_add_f32_e32 v13, v13, v25
	v_exp_f32_e32 v12, v12
	v_cvt_i32_f32_e32 v26, v26
	v_add_f32_e32 v14, v14, v27
	v_exp_f32_e32 v13, v13
	v_cvt_i32_f32_e32 v28, v28
	v_exp_f32_e32 v14, v14
	v_ldexp_f32 v8, v8, v20
	v_cmp_ngt_f32_e32 vcc, s1, v1
	v_ldexp_f32 v11, v11, v22
	v_cndmask_b32_e32 v8, 0, v8, vcc
	v_cmp_ngt_f32_e32 vcc, s1, v0
	v_ldexp_f32 v12, v12, v24
	v_cndmask_b32_e32 v11, 0, v11, vcc
	;; [unrolled: 3-line block ×4, first 2 shown]
	v_cmp_ngt_f32_e32 vcc, s1, v4
	v_cndmask_b32_e32 v14, 0, v14, vcc
	v_cmp_nlt_f32_e32 vcc, s2, v1
	v_cndmask_b32_e32 v8, v10, v8, vcc
	v_cmp_nlt_f32_e32 vcc, s2, v0
	;; [unrolled: 2-line block ×3, first 2 shown]
	v_cndmask_b32_e32 v7, v10, v12, vcc
	v_add_f32_e32 v0, v11, v8
	v_pk_add_f32 v[2:3], v[2:3], v[6:7] op_sel_hi:[1,0] neg_lo:[0,1] neg_hi:[0,1]
	v_cmp_nlt_f32_e32 vcc, s2, v5
	v_add_f32_e32 v5, v0, v7
	v_mul_f32_e32 v0, 0x3fb8aa3b, v3
	v_cndmask_b32_e32 v1, v10, v13, vcc
	v_fma_f32 v12, v3, s0, -v0
	v_rndne_f32_e32 v13, v0
	v_fmac_f32_e32 v12, 0x32a5705f, v3
	v_sub_f32_e32 v0, v0, v13
	v_add_f32_e32 v0, v0, v12
	v_exp_f32_e32 v12, v0
	v_cvt_i32_f32_e32 v13, v13
	v_cmp_nlt_f32_e32 vcc, s2, v4
	v_cndmask_b32_e32 v0, v10, v14, vcc
	v_add_f32_e32 v4, v5, v0
	v_ldexp_f32 v5, v12, v13
	v_mul_f32_e32 v12, 0x3fb8aa3b, v2
	v_fma_f32 v13, v2, s0, -v12
	v_rndne_f32_e32 v14, v12
	v_fmac_f32_e32 v13, 0x32a5705f, v2
	v_sub_f32_e32 v12, v12, v14
	v_add_f32_e32 v12, v12, v13
	v_exp_f32_e32 v12, v12
	v_cvt_i32_f32_e32 v13, v14
	v_cmp_ngt_f32_e32 vcc, s1, v3
	v_sub_f32_e32 v6, v9, v6
	v_cndmask_b32_e32 v5, 0, v5, vcc
	v_cmp_nlt_f32_e32 vcc, s2, v3
	v_mul_f32_e32 v9, 0x3fb8aa3b, v6
	v_cndmask_b32_e32 v3, v10, v5, vcc
	v_ldexp_f32 v5, v12, v13
	v_fma_f32 v12, v6, s0, -v9
	v_rndne_f32_e32 v13, v9
	v_fmac_f32_e32 v12, 0x32a5705f, v6
	v_sub_f32_e32 v9, v9, v13
	v_add_f32_e32 v9, v9, v12
	v_exp_f32_e32 v9, v9
	v_cvt_i32_f32_e32 v12, v13
	v_cmp_ngt_f32_e32 vcc, s1, v2
	v_cndmask_b32_e32 v5, 0, v5, vcc
	v_cmp_nlt_f32_e32 vcc, s2, v2
	v_add_f32_e32 v4, v4, v1
	v_cndmask_b32_e32 v2, v10, v5, vcc
	v_ldexp_f32 v5, v9, v12
	v_cmp_ngt_f32_e32 vcc, s1, v6
	v_add_f32_e32 v4, v4, v2
	v_cndmask_b32_e32 v5, 0, v5, vcc
	v_cmp_nlt_f32_e32 vcc, s2, v6
	v_add_f32_e32 v4, v4, v3
	v_cndmask_b32_e32 v5, v10, v5, vcc
	v_add_f32_e32 v4, v4, v5
	ds_bpermute_b32 v6, v18, v4
	s_movk_i32 s2, 0x1f8
	v_lshlrev_b32_e32 v20, 3, v17
	s_waitcnt lgkmcnt(0)
	v_add_f32_e32 v4, v4, v6
	ds_bpermute_b32 v6, v19, v4
	s_waitcnt lgkmcnt(0)
	v_add_f32_e32 v4, v4, v6
	v_div_scale_f32 v6, s[0:1], v4, v4, 1.0
	v_rcp_f32_e32 v9, v6
	s_load_dwordx2 s[0:1], s[4:5], 0x40
	v_fma_f32 v10, -v6, v9, 1.0
	v_fmac_f32_e32 v9, v10, v9
	v_div_scale_f32 v10, vcc, 1.0, v4, 1.0
	v_mul_f32_e32 v12, v10, v9
	v_fma_f32 v13, -v6, v12, v10
	v_fmac_f32_e32 v12, v13, v9
	v_fma_f32 v6, -v6, v12, v10
	v_div_fmas_f32 v6, v6, v9, v12
	v_div_fixup_f32 v4, v6, v4, 1.0
	v_mul_f32_e32 v10, v4, v11
	v_mul_f32_e32 v11, v4, v8
	v_cmp_class_f32_e64 vcc, v10, s2
	v_mul_f32_e32 v12, v4, v7
	v_pk_mul_f32 v[6:7], v[4:5], v[0:1] op_sel_hi:[0,1]
	v_cndmask_b32_e32 v0, 0, v10, vcc
	v_cmp_class_f32_e64 vcc, v11, s2
	v_pk_mul_f32 v[8:9], v[4:5], v[2:3] op_sel_hi:[0,1]
	v_mul_f32_e32 v13, v4, v5
	v_cndmask_b32_e32 v1, 0, v11, vcc
	v_cmp_class_f32_e64 vcc, v12, s2
	v_mov_b32_e32 v5, 0x207
	v_cndmask_b32_e32 v2, 0, v12, vcc
	v_cmp_class_f32_e32 vcc, v7, v5
	v_cndmask_b32_e64 v4, v7, 0, vcc
	v_cmp_class_f32_e32 vcc, v6, v5
	v_cndmask_b32_e64 v3, v6, 0, vcc
	;; [unrolled: 2-line block ×4, first 2 shown]
	v_cmp_class_f32_e64 vcc, v13, s2
	s_waitcnt lgkmcnt(0)
	s_cmp_eq_u64 s[0:1], 0
	v_cndmask_b32_e32 v7, 0, v13, vcc
	s_cbranch_scc1 .LBB159_15
; %bb.4:
	v_lshlrev_b32_e32 v21, 2, v20
	global_load_dwordx4 v[8:11], v21, s[0:1]
	global_load_dwordx4 v[12:15], v21, s[0:1] offset:16
	s_waitcnt vmcnt(1)
	v_pk_add_f32 v[8:9], v[8:9], v[0:1]
	v_pk_add_f32 v[10:11], v[10:11], v[2:3]
	s_waitcnt vmcnt(0)
	v_pk_add_f32 v[12:13], v[12:13], v[4:5]
	v_pk_add_f32 v[14:15], v[14:15], v[6:7]
	s_cbranch_execnz .LBB159_6
.LBB159_5:
	v_pk_mov_b32 v[14:15], v[6:7], v[6:7] op_sel:[0,1]
	v_pk_mov_b32 v[12:13], v[4:5], v[4:5] op_sel:[0,1]
	;; [unrolled: 1-line block ×4, first 2 shown]
.LBB159_6:
	s_load_dwordx4 s[8:11], s[4:5], 0x30
	s_mov_b32 s23, 0
	v_cmp_eq_u32_e64 s[0:1], 0, v17
	s_waitcnt lgkmcnt(0)
	s_bitcmp1_b32 s11, 0
	s_cselect_b64 vcc, -1, 0
	s_cmp_gt_i32 s8, 0
	s_cselect_b64 s[20:21], -1, 0
	s_cmp_lt_i32 s8, 1
	s_cbranch_scc1 .LBB159_16
; %bb.7:
	s_load_dwordx4 s[12:15], s[4:5], 0x20
	v_mul_lo_u32 v22, v16, s8
	v_mov_b32_e32 v21, 0
	v_mov_b32_e32 v23, 0xc61c4000
	;; [unrolled: 1-line block ×3, first 2 shown]
	s_branch .LBB159_10
.LBB159_8:                              ;   in Loop: Header=BB159_10 Depth=1
	s_or_b64 exec, exec, s[4:5]
.LBB159_9:                              ;   in Loop: Header=BB159_10 Depth=1
	s_cmp_eq_u32 s8, s23
	v_add_u32_e32 v24, s22, v24
	s_cbranch_scc1 .LBB159_17
.LBB159_10:                             ; =>This Inner Loop Header: Depth=1
	v_cmp_gt_f32_e64 s[2:3], v9, v8
	v_cndmask_b32_e64 v25, v8, v9, s[2:3]
	v_cndmask_b32_e64 v26, v0, v1, s[2:3]
	s_waitcnt lgkmcnt(0)
	v_cndmask_b32_e64 v27, 0, 1, s[2:3]
	v_cmp_gt_f32_e64 s[2:3], v10, v25
	v_cndmask_b32_e64 v25, v25, v10, s[2:3]
	v_cndmask_b32_e64 v26, v26, v2, s[2:3]
	v_cndmask_b32_e64 v27, v27, 2, s[2:3]
	v_cmp_gt_f32_e64 s[2:3], v11, v25
	v_cndmask_b32_e64 v25, v25, v11, s[2:3]
	v_cndmask_b32_e64 v26, v26, v3, s[2:3]
	;; [unrolled: 4-line block ×6, first 2 shown]
	v_or_b32_e32 v27, v20, v27
	ds_bpermute_b32 v28, v18, v25
	ds_bpermute_b32 v29, v18, v27
	v_cndmask_b32_e64 v26, v26, v7, s[2:3]
	ds_bpermute_b32 v30, v18, v26
	s_waitcnt lgkmcnt(0)
	v_cmp_eq_f32_e64 s[4:5], v25, v28
	v_cmp_lt_i32_e64 s[6:7], v29, v27
	v_cmp_lt_f32_e64 s[2:3], v25, v28
	s_and_b64 s[4:5], s[4:5], s[6:7]
	s_or_b64 s[2:3], s[2:3], s[4:5]
	v_cndmask_b32_e64 v29, v27, v29, s[2:3]
	v_cndmask_b32_e64 v25, v25, v28, s[2:3]
	ds_bpermute_b32 v28, v19, v25
	ds_bpermute_b32 v31, v19, v29
	v_cndmask_b32_e64 v26, v26, v30, s[2:3]
	ds_bpermute_b32 v27, v19, v26
	s_waitcnt lgkmcnt(2)
	v_cmp_eq_f32_e64 s[4:5], v25, v28
	s_waitcnt lgkmcnt(1)
	v_cmp_lt_i32_e64 s[6:7], v31, v29
	v_cmp_lt_f32_e64 s[2:3], v25, v28
	s_and_b64 s[4:5], s[4:5], s[6:7]
	s_or_b64 s[2:3], s[2:3], s[4:5]
	v_cndmask_b32_e64 v25, v29, v31, s[2:3]
	s_and_saveexec_b64 s[6:7], s[0:1]
	s_cbranch_execnz .LBB159_12
; %bb.11:                               ;   in Loop: Header=BB159_10 Depth=1
	s_or_b64 exec, exec, s[6:7]
	s_add_i32 s23, s23, 1
	s_cmp_ge_i32 s23, s8
	s_cbranch_scc1 .LBB159_9
	s_branch .LBB159_13
.LBB159_12:                             ;   in Loop: Header=BB159_10 Depth=1
	s_waitcnt lgkmcnt(0)
	v_cndmask_b32_e64 v30, v26, v27, s[2:3]
	v_add_u32_e32 v26, s23, v22
	v_ashrrev_i32_e32 v27, 31, v26
	v_cmp_le_i32_e64 s[2:3], s9, v25
	v_cmp_gt_i32_e64 s[4:5], s10, v25
	v_lshlrev_b64 v[26:27], 2, v[26:27]
	s_and_b64 s[4:5], s[2:3], s[4:5]
	v_mov_b32_e32 v29, s17
	v_add_co_u32_e64 v28, s[2:3], s16, v26
	v_addc_co_u32_e64 v29, s[2:3], v29, v27, s[2:3]
	global_store_dword v[28:29], v30, off
	v_subrev_u32_e32 v28, s9, v25
	s_and_b64 s[2:3], s[18:19], s[4:5]
	v_cndmask_b32_e64 v31, 32, v28, s[2:3]
	v_mov_b32_e32 v29, s13
	v_add_co_u32_e64 v28, s[2:3], s12, v26
	v_addc_co_u32_e64 v29, s[2:3], v29, v27, s[2:3]
	global_store_dword v[28:29], v31, off
	v_mov_b32_e32 v28, s15
	v_add_co_u32_e64 v26, s[2:3], s14, v26
	v_addc_co_u32_e64 v27, s[2:3], v28, v27, s[2:3]
	global_store_dword v[26:27], v24, off
	v_add_f32_e32 v26, v21, v30
	v_cndmask_b32_e32 v21, v21, v26, vcc
	s_or_b64 exec, exec, s[6:7]
	s_add_i32 s23, s23, 1
	s_cmp_ge_i32 s23, s8
	s_cbranch_scc1 .LBB159_9
.LBB159_13:                             ;   in Loop: Header=BB159_10 Depth=1
	s_waitcnt lgkmcnt(0)
	v_ashrrev_i32_e32 v27, 31, v25
	v_lshrrev_b32_e32 v26, 29, v27
	v_add_u32_e32 v26, v25, v26
	v_ashrrev_i32_e32 v26, 3, v26
	v_lshrrev_b32_e32 v28, 30, v26
	v_add_u32_e32 v28, v26, v28
	v_and_b32_e32 v28, -4, v28
	v_sub_u32_e32 v28, v26, v28
	v_cmp_eq_u32_e64 s[2:3], v17, v28
	s_and_saveexec_b64 s[4:5], s[2:3]
	s_cbranch_execz .LBB159_8
; %bb.14:                               ;   in Loop: Header=BB159_10 Depth=1
	v_lshrrev_b32_e32 v27, 27, v27
	v_add_u32_e32 v27, v25, v27
	v_lshlrev_b32_e32 v26, 3, v26
	v_ashrrev_i32_e32 v27, 5, v27
	v_sub_u32_e32 v25, v25, v26
	v_lshl_add_u32 v25, v27, 3, v25
	v_cmp_ne_u32_e64 s[2:3], 7, v25
	v_cndmask_b32_e64 v15, v23, v15, s[2:3]
	v_cmp_ne_u32_e64 s[2:3], 6, v25
	v_cndmask_b32_e64 v14, v23, v14, s[2:3]
	;; [unrolled: 2-line block ×8, first 2 shown]
	s_branch .LBB159_8
.LBB159_15:
                                        ; implicit-def: $vgpr8_vgpr9_vgpr10_vgpr11_vgpr12_vgpr13_vgpr14_vgpr15
	s_andn2_b64 vcc, exec, s[6:7]
	s_cbranch_vccz .LBB159_5
	s_branch .LBB159_6
.LBB159_16:
	v_mov_b32_e32 v21, 0
.LBB159_17:
	v_cmp_eq_u32_e64 s[0:1], 0, v17
	s_and_b64 s[0:1], s[0:1], vcc
	s_and_b64 exec, exec, s[0:1]
	s_cbranch_execz .LBB159_26
; %bb.18:
	s_andn2_b64 vcc, exec, s[20:21]
	s_cbranch_vccnz .LBB159_26
; %bb.19:
	v_cmp_lt_f32_e32 vcc, 0, v21
	s_mov_b32 s2, 0
	v_cndmask_b32_e32 v0, 1.0, v21, vcc
	v_mul_lo_u32 v4, v16, s8
	s_cmp_eq_u32 s8, 1
	s_mov_b64 s[0:1], -1
	s_cbranch_scc1 .LBB159_23
; %bb.20:
	s_and_b32 s2, s8, 0x7ffffffe
	v_mov_b32_e32 v1, v0
	v_mov_b32_e32 v5, s17
	s_mov_b32 s3, s2
	v_mov_b32_e32 v2, v4
.LBB159_21:                             ; =>This Inner Loop Header: Depth=1
	v_ashrrev_i32_e32 v3, 31, v2
	v_lshlrev_b64 v[6:7], 2, v[2:3]
	v_add_co_u32_e32 v6, vcc, s16, v6
	v_addc_co_u32_e32 v7, vcc, v5, v7, vcc
	global_load_dwordx2 v[8:9], v[6:7], off
	s_add_i32 s3, s3, -2
	s_cmp_lg_u32 s3, 0
	v_add_u32_e32 v2, 2, v2
	s_waitcnt vmcnt(0)
	v_div_scale_f32 v3, s[0:1], v1, v1, v9
	v_div_scale_f32 v11, s[0:1], v0, v0, v8
	v_rcp_f32_e32 v12, v3
	v_rcp_f32_e32 v13, v11
	v_div_scale_f32 v10, vcc, v9, v1, v9
	v_fma_f32 v15, -v3, v12, 1.0
	v_fma_f32 v16, -v11, v13, 1.0
	v_fmac_f32_e32 v12, v15, v12
	v_div_scale_f32 v14, s[0:1], v8, v0, v8
	v_fmac_f32_e32 v13, v16, v13
	v_mul_f32_e32 v15, v10, v12
	v_mul_f32_e32 v16, v14, v13
	v_fma_f32 v17, -v3, v15, v10
	v_fma_f32 v18, -v11, v16, v14
	v_fmac_f32_e32 v15, v17, v12
	v_fmac_f32_e32 v16, v18, v13
	v_fma_f32 v3, -v3, v15, v10
	v_fma_f32 v10, -v11, v16, v14
	v_div_fmas_f32 v3, v3, v12, v15
	s_mov_b64 vcc, s[0:1]
	v_div_fixup_f32 v9, v3, v1, v9
	v_div_fmas_f32 v3, v10, v13, v16
	v_div_fixup_f32 v8, v3, v0, v8
	global_store_dwordx2 v[6:7], v[8:9], off
	s_cbranch_scc1 .LBB159_21
; %bb.22:
	s_cmp_lg_u32 s2, s8
	s_cselect_b64 s[0:1], -1, 0
.LBB159_23:
	s_and_b64 vcc, exec, s[0:1]
	s_cbranch_vccz .LBB159_26
; %bb.24:
	v_ashrrev_i32_e32 v1, 31, v4
	v_add_co_u32_e32 v2, vcc, s2, v4
	v_addc_co_u32_e32 v3, vcc, 0, v1, vcc
	v_lshlrev_b64 v[2:3], 2, v[2:3]
	v_mov_b32_e32 v1, s17
	v_add_co_u32_e32 v2, vcc, s16, v2
	s_sub_i32 s0, s8, s2
	v_addc_co_u32_e32 v3, vcc, v1, v3, vcc
.LBB159_25:                             ; =>This Inner Loop Header: Depth=1
	global_load_dword v1, v[2:3], off
	s_add_i32 s0, s0, -1
	s_cmp_lg_u32 s0, 0
	s_waitcnt vmcnt(0)
	v_div_scale_f32 v4, s[2:3], v0, v0, v1
	v_rcp_f32_e32 v5, v4
	v_div_scale_f32 v6, vcc, v1, v0, v1
	v_fma_f32 v7, -v4, v5, 1.0
	v_fmac_f32_e32 v5, v7, v5
	v_mul_f32_e32 v7, v6, v5
	v_fma_f32 v8, -v4, v7, v6
	v_fmac_f32_e32 v7, v8, v5
	v_fma_f32 v4, -v4, v7, v6
	v_div_fmas_f32 v4, v4, v5, v7
	v_div_fixup_f32 v1, v4, v0, v1
	global_store_dword v[2:3], v1, off
	v_add_co_u32_e32 v2, vcc, 4, v2
	v_addc_co_u32_e32 v3, vcc, 0, v3, vcc
	s_cbranch_scc1 .LBB159_25
.LBB159_26:
	s_endpgm
	.section	.rodata,"a",@progbits
	.p2align	6, 0x0
	.amdhsa_kernel _ZN4vllm3moe10topkGatingILi8ELi32ELi4ELi16ELi32Ej14__hip_bfloat16LNS0_11ScoringFuncE0EEEvPKT5_PKbPfiPT4_PiiiibPKf
		.amdhsa_group_segment_fixed_size 0
		.amdhsa_private_segment_fixed_size 0
		.amdhsa_kernarg_size 72
		.amdhsa_user_sgpr_count 6
		.amdhsa_user_sgpr_private_segment_buffer 1
		.amdhsa_user_sgpr_dispatch_ptr 0
		.amdhsa_user_sgpr_queue_ptr 0
		.amdhsa_user_sgpr_kernarg_segment_ptr 1
		.amdhsa_user_sgpr_dispatch_id 0
		.amdhsa_user_sgpr_flat_scratch_init 0
		.amdhsa_user_sgpr_kernarg_preload_length 0
		.amdhsa_user_sgpr_kernarg_preload_offset 0
		.amdhsa_user_sgpr_private_segment_size 0
		.amdhsa_uses_dynamic_stack 0
		.amdhsa_system_sgpr_private_segment_wavefront_offset 0
		.amdhsa_system_sgpr_workgroup_id_x 1
		.amdhsa_system_sgpr_workgroup_id_y 0
		.amdhsa_system_sgpr_workgroup_id_z 0
		.amdhsa_system_sgpr_workgroup_info 0
		.amdhsa_system_vgpr_workitem_id 1
		.amdhsa_next_free_vgpr 32
		.amdhsa_next_free_sgpr 24
		.amdhsa_accum_offset 32
		.amdhsa_reserve_vcc 1
		.amdhsa_reserve_flat_scratch 0
		.amdhsa_float_round_mode_32 0
		.amdhsa_float_round_mode_16_64 0
		.amdhsa_float_denorm_mode_32 3
		.amdhsa_float_denorm_mode_16_64 3
		.amdhsa_dx10_clamp 1
		.amdhsa_ieee_mode 1
		.amdhsa_fp16_overflow 0
		.amdhsa_tg_split 0
		.amdhsa_exception_fp_ieee_invalid_op 0
		.amdhsa_exception_fp_denorm_src 0
		.amdhsa_exception_fp_ieee_div_zero 0
		.amdhsa_exception_fp_ieee_overflow 0
		.amdhsa_exception_fp_ieee_underflow 0
		.amdhsa_exception_fp_ieee_inexact 0
		.amdhsa_exception_int_div_zero 0
	.end_amdhsa_kernel
	.section	.text._ZN4vllm3moe10topkGatingILi8ELi32ELi4ELi16ELi32Ej14__hip_bfloat16LNS0_11ScoringFuncE0EEEvPKT5_PKbPfiPT4_PiiiibPKf,"axG",@progbits,_ZN4vllm3moe10topkGatingILi8ELi32ELi4ELi16ELi32Ej14__hip_bfloat16LNS0_11ScoringFuncE0EEEvPKT5_PKbPfiPT4_PiiiibPKf,comdat
.Lfunc_end159:
	.size	_ZN4vllm3moe10topkGatingILi8ELi32ELi4ELi16ELi32Ej14__hip_bfloat16LNS0_11ScoringFuncE0EEEvPKT5_PKbPfiPT4_PiiiibPKf, .Lfunc_end159-_ZN4vllm3moe10topkGatingILi8ELi32ELi4ELi16ELi32Ej14__hip_bfloat16LNS0_11ScoringFuncE0EEEvPKT5_PKbPfiPT4_PiiiibPKf
                                        ; -- End function
	.section	.AMDGPU.csdata,"",@progbits
; Kernel info:
; codeLenInByte = 2752
; NumSgprs: 28
; NumVgprs: 32
; NumAgprs: 0
; TotalNumVgprs: 32
; ScratchSize: 0
; MemoryBound: 0
; FloatMode: 240
; IeeeMode: 1
; LDSByteSize: 0 bytes/workgroup (compile time only)
; SGPRBlocks: 3
; VGPRBlocks: 3
; NumSGPRsForWavesPerEU: 28
; NumVGPRsForWavesPerEU: 32
; AccumOffset: 32
; Occupancy: 8
; WaveLimiterHint : 0
; COMPUTE_PGM_RSRC2:SCRATCH_EN: 0
; COMPUTE_PGM_RSRC2:USER_SGPR: 6
; COMPUTE_PGM_RSRC2:TRAP_HANDLER: 0
; COMPUTE_PGM_RSRC2:TGID_X_EN: 1
; COMPUTE_PGM_RSRC2:TGID_Y_EN: 0
; COMPUTE_PGM_RSRC2:TGID_Z_EN: 0
; COMPUTE_PGM_RSRC2:TIDIG_COMP_CNT: 1
; COMPUTE_PGM_RSRC3_GFX90A:ACCUM_OFFSET: 7
; COMPUTE_PGM_RSRC3_GFX90A:TG_SPLIT: 0
	.section	.text._ZN4vllm3moe10topkGatingILi8ELi64ELi4ELi16ELi64Ej14__hip_bfloat16LNS0_11ScoringFuncE0EEEvPKT5_PKbPfiPT4_PiiiibPKf,"axG",@progbits,_ZN4vllm3moe10topkGatingILi8ELi64ELi4ELi16ELi64Ej14__hip_bfloat16LNS0_11ScoringFuncE0EEEvPKT5_PKbPfiPT4_PiiiibPKf,comdat
	.protected	_ZN4vllm3moe10topkGatingILi8ELi64ELi4ELi16ELi64Ej14__hip_bfloat16LNS0_11ScoringFuncE0EEEvPKT5_PKbPfiPT4_PiiiibPKf ; -- Begin function _ZN4vllm3moe10topkGatingILi8ELi64ELi4ELi16ELi64Ej14__hip_bfloat16LNS0_11ScoringFuncE0EEEvPKT5_PKbPfiPT4_PiiiibPKf
	.globl	_ZN4vllm3moe10topkGatingILi8ELi64ELi4ELi16ELi64Ej14__hip_bfloat16LNS0_11ScoringFuncE0EEEvPKT5_PKbPfiPT4_PiiiibPKf
	.p2align	8
	.type	_ZN4vllm3moe10topkGatingILi8ELi64ELi4ELi16ELi64Ej14__hip_bfloat16LNS0_11ScoringFuncE0EEEvPKT5_PKbPfiPT4_PiiiibPKf,@function
_ZN4vllm3moe10topkGatingILi8ELi64ELi4ELi16ELi64Ej14__hip_bfloat16LNS0_11ScoringFuncE0EEEvPKT5_PKbPfiPT4_PiiiibPKf: ; @_ZN4vllm3moe10topkGatingILi8ELi64ELi4ELi16ELi64Ej14__hip_bfloat16LNS0_11ScoringFuncE0EEEvPKT5_PKbPfiPT4_PiiiibPKf
; %bb.0:
	s_load_dword s24, s[4:5], 0x18
	v_bfe_u32 v1, v0, 10, 10
	v_and_b32_e32 v0, 0x3ff, v0
	s_lshl_b32 s0, s6, 5
	v_lshlrev_b32_e32 v1, 3, v1
	v_lshrrev_b32_e32 v2, 3, v0
	v_add3_u32 v17, s0, v1, v2
	s_waitcnt lgkmcnt(0)
	v_cmp_gt_i32_e32 vcc, s24, v17
	s_and_saveexec_b64 s[0:1], vcc
	s_cbranch_execz .LBB160_30
; %bb.1:
	s_load_dwordx4 s[0:3], s[4:5], 0x0
	s_load_dwordx2 s[16:17], s[4:5], 0x10
	s_mov_b64 s[6:7], -1
	s_mov_b64 s[18:19], -1
	s_waitcnt lgkmcnt(0)
	s_cmp_eq_u64 s[2:3], 0
	s_cbranch_scc1 .LBB160_3
; %bb.2:
	v_ashrrev_i32_e32 v1, 31, v17
	v_mov_b32_e32 v3, s3
	v_add_co_u32_e32 v2, vcc, s2, v17
	v_addc_co_u32_e32 v3, vcc, v3, v1, vcc
	global_load_ubyte v1, v[2:3], off
	s_waitcnt vmcnt(0)
	v_and_b32_e32 v1, 1, v1
	v_cmp_eq_u32_e32 vcc, 1, v1
	s_xor_b64 s[2:3], vcc, -1
	s_orn2_b64 s[18:19], s[2:3], exec
.LBB160_3:
	v_lshlrev_b32_e32 v2, 6, v17
	v_ashrrev_i32_e32 v3, 31, v2
	v_lshlrev_b64 v[2:3], 1, v[2:3]
	v_mov_b32_e32 v1, s1
	v_add_co_u32_e32 v2, vcc, s0, v2
	v_and_b32_e32 v21, 7, v0
	v_addc_co_u32_e32 v1, vcc, v1, v3, vcc
	v_lshlrev_b32_e32 v0, 4, v21
	v_add_co_u32_e32 v0, vcc, v2, v0
	v_addc_co_u32_e32 v1, vcc, 0, v1, vcc
	global_load_dwordx4 v[0:3], v[0:1], off
	v_mbcnt_lo_u32_b32 v4, -1, 0
	v_mbcnt_hi_u32_b32 v6, -1, v4
	v_and_b32_e32 v4, 0x78, v6
	v_xor_b32_e32 v5, 4, v6
	v_add_u32_e32 v7, 8, v4
	v_cmp_lt_i32_e32 vcc, v5, v7
	v_cndmask_b32_e32 v4, v6, v5, vcc
	v_lshlrev_b32_e32 v22, 2, v4
	v_xor_b32_e32 v12, 2, v6
	v_cmp_lt_i32_e32 vcc, v12, v7
	v_cndmask_b32_e32 v12, v6, v12, vcc
	v_lshlrev_b32_e32 v23, 2, v12
	v_xor_b32_e32 v12, 1, v6
	v_cmp_lt_i32_e32 vcc, v12, v7
	v_cndmask_b32_e32 v6, v6, v12, vcc
	v_lshlrev_b32_e32 v24, 2, v6
	s_mov_b32 s0, 0x3fb8aa3b
	s_mov_b32 s1, 0xc2ce8ed0
	;; [unrolled: 1-line block ×3, first 2 shown]
	s_waitcnt vmcnt(0)
	v_lshlrev_b32_e32 v8, 16, v1
	v_and_b32_e32 v4, 0xffff0000, v1
	v_and_b32_e32 v1, 0xffff0000, v0
	v_lshlrev_b32_e32 v0, 16, v0
	v_max_f32_e32 v10, v1, v1
	v_max_f32_e32 v11, v0, v0
	;; [unrolled: 1-line block ×3, first 2 shown]
	v_lshlrev_b32_e32 v5, 16, v2
	v_and_b32_e32 v2, 0xffff0000, v2
	v_max3_f32 v10, v10, v8, v4
	v_and_b32_e32 v9, 0xffff0000, v3
	v_lshlrev_b32_e32 v3, 16, v3
	v_max3_f32 v10, v10, v5, v2
	v_max3_f32 v10, v10, v3, v9
	ds_bpermute_b32 v11, v22, v10
	s_waitcnt lgkmcnt(0)
	v_max_f32_e32 v11, v11, v11
	v_max_f32_e32 v10, v10, v11
	ds_bpermute_b32 v11, v23, v10
	s_waitcnt lgkmcnt(0)
	v_max_f32_e32 v6, v11, v11
	v_max_f32_e32 v6, v10, v6
	ds_bpermute_b32 v7, v24, v6
	v_mov_b32_e32 v10, 0x7f800000
	s_waitcnt lgkmcnt(0)
	v_max_f32_e32 v7, v7, v7
	v_max_f32_e32 v6, v6, v7
	v_pk_add_f32 v[0:1], v[0:1], v[6:7] op_sel_hi:[1,0] neg_lo:[0,1] neg_hi:[0,1]
	v_sub_f32_e32 v7, v8, v6
	v_mul_f32_e32 v8, 0x3fb8aa3b, v1
	v_mul_f32_e32 v11, 0x3fb8aa3b, v0
	v_fma_f32 v15, v1, s0, -v8
	v_rndne_f32_e32 v16, v8
	v_pk_add_f32 v[4:5], v[4:5], v[6:7] op_sel_hi:[1,0] neg_lo:[0,1] neg_hi:[0,1]
	v_mul_f32_e32 v12, 0x3fb8aa3b, v7
	v_fma_f32 v18, v0, s0, -v11
	v_rndne_f32_e32 v19, v11
	v_fmac_f32_e32 v15, 0x32a5705f, v1
	v_sub_f32_e32 v8, v8, v16
	v_mul_f32_e32 v13, 0x3fb8aa3b, v5
	v_fma_f32 v20, v7, s0, -v12
	v_rndne_f32_e32 v25, v12
	v_fmac_f32_e32 v18, 0x32a5705f, v0
	v_sub_f32_e32 v11, v11, v19
	v_add_f32_e32 v8, v8, v15
	v_mul_f32_e32 v14, 0x3fb8aa3b, v4
	v_fma_f32 v26, v5, s0, -v13
	v_rndne_f32_e32 v27, v13
	v_cvt_i32_f32_e32 v16, v16
	v_fmac_f32_e32 v20, 0x32a5705f, v7
	v_sub_f32_e32 v12, v12, v25
	v_add_f32_e32 v11, v11, v18
	v_exp_f32_e32 v8, v8
	v_fma_f32 v28, v4, s0, -v14
	v_rndne_f32_e32 v29, v14
	v_cvt_i32_f32_e32 v19, v19
	v_fmac_f32_e32 v26, 0x32a5705f, v5
	v_sub_f32_e32 v13, v13, v27
	v_add_f32_e32 v12, v12, v20
	v_exp_f32_e32 v11, v11
	v_cvt_i32_f32_e32 v25, v25
	v_fmac_f32_e32 v28, 0x32a5705f, v4
	v_sub_f32_e32 v14, v14, v29
	v_add_f32_e32 v13, v13, v26
	v_exp_f32_e32 v12, v12
	v_cvt_i32_f32_e32 v27, v27
	v_add_f32_e32 v14, v14, v28
	v_exp_f32_e32 v13, v13
	v_cvt_i32_f32_e32 v29, v29
	v_exp_f32_e32 v14, v14
	v_ldexp_f32 v8, v8, v16
	v_cmp_ngt_f32_e32 vcc, s1, v1
	v_ldexp_f32 v11, v11, v19
	v_cndmask_b32_e32 v8, 0, v8, vcc
	v_cmp_ngt_f32_e32 vcc, s1, v0
	v_ldexp_f32 v12, v12, v25
	v_cndmask_b32_e32 v11, 0, v11, vcc
	;; [unrolled: 3-line block ×4, first 2 shown]
	v_cmp_ngt_f32_e32 vcc, s1, v4
	v_cndmask_b32_e32 v14, 0, v14, vcc
	v_cmp_nlt_f32_e32 vcc, s2, v1
	v_cndmask_b32_e32 v8, v10, v8, vcc
	v_cmp_nlt_f32_e32 vcc, s2, v0
	;; [unrolled: 2-line block ×3, first 2 shown]
	v_cndmask_b32_e32 v7, v10, v12, vcc
	v_add_f32_e32 v0, v11, v8
	v_pk_add_f32 v[2:3], v[2:3], v[6:7] op_sel_hi:[1,0] neg_lo:[0,1] neg_hi:[0,1]
	v_cmp_nlt_f32_e32 vcc, s2, v5
	v_add_f32_e32 v5, v0, v7
	v_mul_f32_e32 v0, 0x3fb8aa3b, v3
	v_cndmask_b32_e32 v1, v10, v13, vcc
	v_fma_f32 v12, v3, s0, -v0
	v_rndne_f32_e32 v13, v0
	v_fmac_f32_e32 v12, 0x32a5705f, v3
	v_sub_f32_e32 v0, v0, v13
	v_add_f32_e32 v0, v0, v12
	v_exp_f32_e32 v12, v0
	v_cvt_i32_f32_e32 v13, v13
	v_cmp_nlt_f32_e32 vcc, s2, v4
	v_cndmask_b32_e32 v0, v10, v14, vcc
	v_add_f32_e32 v4, v5, v0
	v_ldexp_f32 v5, v12, v13
	v_mul_f32_e32 v12, 0x3fb8aa3b, v2
	v_fma_f32 v13, v2, s0, -v12
	v_rndne_f32_e32 v14, v12
	v_fmac_f32_e32 v13, 0x32a5705f, v2
	v_sub_f32_e32 v12, v12, v14
	v_add_f32_e32 v12, v12, v13
	v_exp_f32_e32 v12, v12
	v_cvt_i32_f32_e32 v13, v14
	v_cmp_ngt_f32_e32 vcc, s1, v3
	v_sub_f32_e32 v6, v9, v6
	v_cndmask_b32_e32 v5, 0, v5, vcc
	v_cmp_nlt_f32_e32 vcc, s2, v3
	v_mul_f32_e32 v9, 0x3fb8aa3b, v6
	v_cndmask_b32_e32 v3, v10, v5, vcc
	v_ldexp_f32 v5, v12, v13
	v_fma_f32 v12, v6, s0, -v9
	v_rndne_f32_e32 v13, v9
	v_fmac_f32_e32 v12, 0x32a5705f, v6
	v_sub_f32_e32 v9, v9, v13
	v_add_f32_e32 v9, v9, v12
	v_exp_f32_e32 v9, v9
	v_cvt_i32_f32_e32 v12, v13
	v_cmp_ngt_f32_e32 vcc, s1, v2
	v_cndmask_b32_e32 v5, 0, v5, vcc
	v_cmp_nlt_f32_e32 vcc, s2, v2
	v_add_f32_e32 v4, v4, v1
	v_cndmask_b32_e32 v2, v10, v5, vcc
	v_ldexp_f32 v5, v9, v12
	v_cmp_ngt_f32_e32 vcc, s1, v6
	v_add_f32_e32 v4, v4, v2
	v_cndmask_b32_e32 v5, 0, v5, vcc
	v_cmp_nlt_f32_e32 vcc, s2, v6
	v_add_f32_e32 v4, v4, v3
	v_cndmask_b32_e32 v5, v10, v5, vcc
	v_add_f32_e32 v4, v4, v5
	ds_bpermute_b32 v6, v22, v4
	s_movk_i32 s2, 0x1f8
	v_lshlrev_b32_e32 v25, 3, v21
	s_waitcnt lgkmcnt(0)
	v_add_f32_e32 v4, v4, v6
	ds_bpermute_b32 v6, v23, v4
	s_waitcnt lgkmcnt(0)
	v_add_f32_e32 v4, v4, v6
	ds_bpermute_b32 v6, v24, v4
	s_waitcnt lgkmcnt(0)
	v_add_f32_e32 v4, v4, v6
	v_div_scale_f32 v6, s[0:1], v4, v4, 1.0
	v_rcp_f32_e32 v9, v6
	s_load_dwordx2 s[0:1], s[4:5], 0x40
	v_fma_f32 v10, -v6, v9, 1.0
	v_fmac_f32_e32 v9, v10, v9
	v_div_scale_f32 v10, vcc, 1.0, v4, 1.0
	v_mul_f32_e32 v12, v10, v9
	v_fma_f32 v13, -v6, v12, v10
	v_fmac_f32_e32 v12, v13, v9
	v_fma_f32 v6, -v6, v12, v10
	v_div_fmas_f32 v6, v6, v9, v12
	v_div_fixup_f32 v4, v6, v4, 1.0
	v_mul_f32_e32 v10, v4, v11
	v_mul_f32_e32 v11, v4, v8
	v_cmp_class_f32_e64 vcc, v10, s2
	v_mul_f32_e32 v12, v4, v7
	v_pk_mul_f32 v[6:7], v[4:5], v[0:1] op_sel_hi:[0,1]
	v_cndmask_b32_e32 v0, 0, v10, vcc
	v_cmp_class_f32_e64 vcc, v11, s2
	v_pk_mul_f32 v[8:9], v[4:5], v[2:3] op_sel_hi:[0,1]
	v_mul_f32_e32 v13, v4, v5
	v_cndmask_b32_e32 v1, 0, v11, vcc
	v_cmp_class_f32_e64 vcc, v12, s2
	v_mov_b32_e32 v5, 0x207
	v_cndmask_b32_e32 v2, 0, v12, vcc
	v_cmp_class_f32_e32 vcc, v7, v5
	v_cndmask_b32_e64 v4, v7, 0, vcc
	v_cmp_class_f32_e32 vcc, v6, v5
	v_cndmask_b32_e64 v3, v6, 0, vcc
	;; [unrolled: 2-line block ×4, first 2 shown]
	v_cmp_class_f32_e64 vcc, v13, s2
	s_waitcnt lgkmcnt(0)
	s_cmp_eq_u64 s[0:1], 0
	v_cndmask_b32_e32 v7, 0, v13, vcc
	s_cbranch_scc1 .LBB160_19
; %bb.4:
	v_lshlrev_b32_e32 v16, 2, v25
	global_load_dwordx4 v[8:11], v16, s[0:1]
	global_load_dwordx4 v[12:15], v16, s[0:1] offset:16
	s_waitcnt vmcnt(1)
	v_pk_add_f32 v[8:9], v[8:9], v[0:1]
	v_pk_add_f32 v[10:11], v[10:11], v[2:3]
	s_waitcnt vmcnt(0)
	v_pk_add_f32 v[12:13], v[12:13], v[4:5]
	v_pk_add_f32 v[14:15], v[14:15], v[6:7]
	s_cbranch_execnz .LBB160_6
.LBB160_5:
	v_pk_mov_b32 v[14:15], v[6:7], v[6:7] op_sel:[0,1]
	v_pk_mov_b32 v[12:13], v[4:5], v[4:5] op_sel:[0,1]
	v_pk_mov_b32 v[10:11], v[2:3], v[2:3] op_sel:[0,1]
	v_pk_mov_b32 v[8:9], v[0:1], v[0:1] op_sel:[0,1]
.LBB160_6:
	s_load_dwordx4 s[8:11], s[4:5], 0x30
	s_mov_b32 s25, 0
	v_cmp_eq_u32_e64 s[0:1], 0, v21
	s_waitcnt lgkmcnt(0)
	s_bitcmp1_b32 s11, 0
	s_cselect_b64 vcc, -1, 0
	s_cmp_gt_i32 s8, 0
	s_cselect_b64 s[20:21], -1, 0
	s_cmp_lt_i32 s8, 1
	s_cbranch_scc1 .LBB160_20
; %bb.7:
	s_load_dwordx4 s[12:15], s[4:5], 0x20
	v_mul_lo_u32 v27, v17, s8
	v_mov_b32_e32 v26, 0
	v_mov_b32_e32 v28, 0xc61c4000
	;; [unrolled: 1-line block ×3, first 2 shown]
	s_branch .LBB160_10
.LBB160_8:                              ;   in Loop: Header=BB160_10 Depth=1
	s_or_b64 exec, exec, s[4:5]
.LBB160_9:                              ;   in Loop: Header=BB160_10 Depth=1
	s_cmp_eq_u32 s8, s25
	v_add_u32_e32 v29, s24, v29
	s_cbranch_scc1 .LBB160_21
.LBB160_10:                             ; =>This Inner Loop Header: Depth=1
	v_cmp_gt_f32_e64 s[2:3], v9, v8
	v_cndmask_b32_e64 v16, v8, v9, s[2:3]
	v_cndmask_b32_e64 v18, v0, v1, s[2:3]
	s_waitcnt lgkmcnt(0)
	v_cndmask_b32_e64 v19, 0, 1, s[2:3]
	v_cmp_gt_f32_e64 s[2:3], v10, v16
	v_cndmask_b32_e64 v16, v16, v10, s[2:3]
	v_cndmask_b32_e64 v18, v18, v2, s[2:3]
	v_cndmask_b32_e64 v19, v19, 2, s[2:3]
	v_cmp_gt_f32_e64 s[2:3], v11, v16
	v_cndmask_b32_e64 v16, v16, v11, s[2:3]
	v_cndmask_b32_e64 v18, v18, v3, s[2:3]
	;; [unrolled: 4-line block ×6, first 2 shown]
	v_or_b32_e32 v19, v25, v19
	ds_bpermute_b32 v20, v22, v16
	ds_bpermute_b32 v30, v22, v19
	v_cndmask_b32_e64 v18, v18, v7, s[2:3]
	ds_bpermute_b32 v32, v22, v18
	s_waitcnt lgkmcnt(0)
	v_cmp_eq_f32_e64 s[4:5], v16, v20
	v_cmp_lt_i32_e64 s[6:7], v30, v19
	v_cmp_lt_f32_e64 s[2:3], v16, v20
	s_and_b64 s[4:5], s[4:5], s[6:7]
	s_or_b64 s[2:3], s[2:3], s[4:5]
	v_cndmask_b32_e64 v31, v16, v20, s[2:3]
	v_cndmask_b32_e64 v30, v19, v30, s[2:3]
	;; [unrolled: 1-line block ×3, first 2 shown]
	ds_bpermute_b32 v33, v23, v31
	ds_bpermute_b32 v20, v23, v16
	;; [unrolled: 1-line block ×3, first 2 shown]
                                        ; implicit-def: $vgpr18_vgpr19
	s_waitcnt lgkmcnt(2)
	v_cmp_lt_f32_e64 s[6:7], v31, v33
	v_cmp_nlt_f32_e64 s[2:3], v31, v33
	s_and_saveexec_b64 s[22:23], s[2:3]
	s_cbranch_execz .LBB160_12
; %bb.11:                               ;   in Loop: Header=BB160_10 Depth=1
	v_cmp_eq_f32_e64 s[2:3], v31, v33
	s_waitcnt lgkmcnt(0)
	v_cmp_lt_i32_e64 s[4:5], v32, v30
	s_and_b64 s[2:3], s[2:3], s[4:5]
	s_andn2_b64 s[4:5], s[6:7], exec
	s_and_b64 s[2:3], s[2:3], exec
	s_or_b64 s[6:7], s[4:5], s[2:3]
	v_pk_mov_b32 v[18:19], v[16:17], v[16:17] op_sel:[0,1]
.LBB160_12:                             ;   in Loop: Header=BB160_10 Depth=1
	s_or_b64 exec, exec, s[22:23]
	s_and_saveexec_b64 s[2:3], s[6:7]
	s_cbranch_execz .LBB160_14
; %bb.13:                               ;   in Loop: Header=BB160_10 Depth=1
	v_mov_b32_e32 v31, v33
	s_waitcnt lgkmcnt(1)
	v_mov_b32_e32 v16, v20
	s_waitcnt lgkmcnt(0)
	v_mov_b32_e32 v30, v32
	v_pk_mov_b32 v[18:19], v[20:21], v[20:21] op_sel:[0,1]
.LBB160_14:                             ;   in Loop: Header=BB160_10 Depth=1
	s_or_b64 exec, exec, s[2:3]
	s_waitcnt lgkmcnt(1)
	ds_bpermute_b32 v20, v24, v31
	s_waitcnt lgkmcnt(1)
	ds_bpermute_b32 v32, v24, v30
	ds_bpermute_b32 v19, v24, v16
	s_waitcnt lgkmcnt(2)
	v_cmp_eq_f32_e64 s[4:5], v31, v20
	s_waitcnt lgkmcnt(1)
	v_cmp_lt_i32_e64 s[6:7], v32, v30
	v_cmp_lt_f32_e64 s[2:3], v31, v20
	s_and_b64 s[4:5], s[4:5], s[6:7]
	s_or_b64 s[2:3], s[2:3], s[4:5]
	v_cndmask_b32_e64 v16, v30, v32, s[2:3]
	s_and_saveexec_b64 s[6:7], s[0:1]
	s_cbranch_execnz .LBB160_16
; %bb.15:                               ;   in Loop: Header=BB160_10 Depth=1
	s_or_b64 exec, exec, s[6:7]
	s_add_i32 s25, s25, 1
	s_cmp_ge_i32 s25, s8
	s_cbranch_scc1 .LBB160_9
	s_branch .LBB160_17
.LBB160_16:                             ;   in Loop: Header=BB160_10 Depth=1
	s_waitcnt lgkmcnt(0)
	v_cndmask_b32_e64 v20, v18, v19, s[2:3]
	v_add_u32_e32 v18, s25, v27
	v_ashrrev_i32_e32 v19, 31, v18
	v_cmp_le_i32_e64 s[2:3], s9, v16
	v_cmp_gt_i32_e64 s[4:5], s10, v16
	v_lshlrev_b64 v[18:19], 2, v[18:19]
	s_and_b64 s[4:5], s[2:3], s[4:5]
	v_mov_b32_e32 v31, s17
	v_add_co_u32_e64 v30, s[2:3], s16, v18
	v_addc_co_u32_e64 v31, s[2:3], v31, v19, s[2:3]
	global_store_dword v[30:31], v20, off
	v_subrev_u32_e32 v30, s9, v16
	s_and_b64 s[2:3], s[18:19], s[4:5]
	v_cndmask_b32_e64 v32, 64, v30, s[2:3]
	v_mov_b32_e32 v31, s13
	v_add_co_u32_e64 v30, s[2:3], s12, v18
	v_addc_co_u32_e64 v31, s[2:3], v31, v19, s[2:3]
	global_store_dword v[30:31], v32, off
	v_mov_b32_e32 v30, s15
	v_add_co_u32_e64 v18, s[2:3], s14, v18
	v_addc_co_u32_e64 v19, s[2:3], v30, v19, s[2:3]
	global_store_dword v[18:19], v29, off
	v_add_f32_e32 v18, v26, v20
	v_cndmask_b32_e32 v26, v26, v18, vcc
	s_or_b64 exec, exec, s[6:7]
	s_add_i32 s25, s25, 1
	s_cmp_ge_i32 s25, s8
	s_cbranch_scc1 .LBB160_9
.LBB160_17:                             ;   in Loop: Header=BB160_10 Depth=1
	s_waitcnt lgkmcnt(0)
	v_ashrrev_i32_e32 v19, 31, v16
	v_lshrrev_b32_e32 v18, 29, v19
	v_add_u32_e32 v18, v16, v18
	v_ashrrev_i32_e32 v18, 3, v18
	v_lshrrev_b32_e32 v20, 29, v18
	v_add_u32_e32 v20, v18, v20
	v_and_b32_e32 v20, -8, v20
	v_sub_u32_e32 v20, v18, v20
	v_cmp_eq_u32_e64 s[2:3], v21, v20
	s_and_saveexec_b64 s[4:5], s[2:3]
	s_cbranch_execz .LBB160_8
; %bb.18:                               ;   in Loop: Header=BB160_10 Depth=1
	v_lshrrev_b32_e32 v19, 26, v19
	v_add_u32_e32 v19, v16, v19
	v_lshlrev_b32_e32 v18, 3, v18
	v_ashrrev_i32_e32 v19, 6, v19
	v_sub_u32_e32 v16, v16, v18
	v_lshl_add_u32 v16, v19, 3, v16
	v_cmp_ne_u32_e64 s[2:3], 7, v16
	v_cndmask_b32_e64 v15, v28, v15, s[2:3]
	v_cmp_ne_u32_e64 s[2:3], 6, v16
	v_cndmask_b32_e64 v14, v28, v14, s[2:3]
	;; [unrolled: 2-line block ×8, first 2 shown]
	s_branch .LBB160_8
.LBB160_19:
                                        ; implicit-def: $vgpr8_vgpr9_vgpr10_vgpr11_vgpr12_vgpr13_vgpr14_vgpr15
	s_andn2_b64 vcc, exec, s[6:7]
	s_cbranch_vccz .LBB160_5
	s_branch .LBB160_6
.LBB160_20:
	v_mov_b32_e32 v26, 0
.LBB160_21:
	v_cmp_eq_u32_e64 s[0:1], 0, v21
	s_and_b64 s[0:1], s[0:1], vcc
	s_and_b64 exec, exec, s[0:1]
	s_cbranch_execz .LBB160_30
; %bb.22:
	s_andn2_b64 vcc, exec, s[20:21]
	s_cbranch_vccnz .LBB160_30
; %bb.23:
	v_cmp_lt_f32_e32 vcc, 0, v26
	s_mov_b32 s2, 0
	v_cndmask_b32_e32 v0, 1.0, v26, vcc
	v_mul_lo_u32 v4, v17, s8
	s_cmp_eq_u32 s8, 1
	s_mov_b64 s[0:1], -1
	s_cbranch_scc1 .LBB160_27
; %bb.24:
	s_and_b32 s2, s8, 0x7ffffffe
	v_mov_b32_e32 v1, v0
	v_mov_b32_e32 v5, s17
	s_mov_b32 s3, s2
	v_mov_b32_e32 v2, v4
.LBB160_25:                             ; =>This Inner Loop Header: Depth=1
	v_ashrrev_i32_e32 v3, 31, v2
	v_lshlrev_b64 v[6:7], 2, v[2:3]
	v_add_co_u32_e32 v6, vcc, s16, v6
	v_addc_co_u32_e32 v7, vcc, v5, v7, vcc
	global_load_dwordx2 v[8:9], v[6:7], off
	s_add_i32 s3, s3, -2
	s_cmp_lg_u32 s3, 0
	v_add_u32_e32 v2, 2, v2
	s_waitcnt vmcnt(0)
	v_div_scale_f32 v3, s[0:1], v1, v1, v9
	v_div_scale_f32 v11, s[0:1], v0, v0, v8
	v_rcp_f32_e32 v12, v3
	v_rcp_f32_e32 v13, v11
	v_div_scale_f32 v10, vcc, v9, v1, v9
	v_fma_f32 v15, -v3, v12, 1.0
	v_fma_f32 v16, -v11, v13, 1.0
	v_fmac_f32_e32 v12, v15, v12
	v_div_scale_f32 v14, s[0:1], v8, v0, v8
	v_fmac_f32_e32 v13, v16, v13
	v_mul_f32_e32 v15, v10, v12
	v_mul_f32_e32 v16, v14, v13
	v_fma_f32 v17, -v3, v15, v10
	v_fma_f32 v18, -v11, v16, v14
	v_fmac_f32_e32 v15, v17, v12
	v_fmac_f32_e32 v16, v18, v13
	v_fma_f32 v3, -v3, v15, v10
	v_fma_f32 v10, -v11, v16, v14
	v_div_fmas_f32 v3, v3, v12, v15
	s_mov_b64 vcc, s[0:1]
	v_div_fixup_f32 v9, v3, v1, v9
	v_div_fmas_f32 v3, v10, v13, v16
	v_div_fixup_f32 v8, v3, v0, v8
	global_store_dwordx2 v[6:7], v[8:9], off
	s_cbranch_scc1 .LBB160_25
; %bb.26:
	s_cmp_lg_u32 s2, s8
	s_cselect_b64 s[0:1], -1, 0
.LBB160_27:
	s_and_b64 vcc, exec, s[0:1]
	s_cbranch_vccz .LBB160_30
; %bb.28:
	v_ashrrev_i32_e32 v1, 31, v4
	v_add_co_u32_e32 v2, vcc, s2, v4
	v_addc_co_u32_e32 v3, vcc, 0, v1, vcc
	v_lshlrev_b64 v[2:3], 2, v[2:3]
	v_mov_b32_e32 v1, s17
	v_add_co_u32_e32 v2, vcc, s16, v2
	s_sub_i32 s0, s8, s2
	v_addc_co_u32_e32 v3, vcc, v1, v3, vcc
.LBB160_29:                             ; =>This Inner Loop Header: Depth=1
	global_load_dword v1, v[2:3], off
	s_add_i32 s0, s0, -1
	s_cmp_lg_u32 s0, 0
	s_waitcnt vmcnt(0)
	v_div_scale_f32 v4, s[2:3], v0, v0, v1
	v_rcp_f32_e32 v5, v4
	v_div_scale_f32 v6, vcc, v1, v0, v1
	v_fma_f32 v7, -v4, v5, 1.0
	v_fmac_f32_e32 v5, v7, v5
	v_mul_f32_e32 v7, v6, v5
	v_fma_f32 v8, -v4, v7, v6
	v_fmac_f32_e32 v7, v8, v5
	v_fma_f32 v4, -v4, v7, v6
	v_div_fmas_f32 v4, v4, v5, v7
	v_div_fixup_f32 v1, v4, v0, v1
	global_store_dword v[2:3], v1, off
	v_add_co_u32_e32 v2, vcc, 4, v2
	v_addc_co_u32_e32 v3, vcc, 0, v3, vcc
	s_cbranch_scc1 .LBB160_29
.LBB160_30:
	s_endpgm
	.section	.rodata,"a",@progbits
	.p2align	6, 0x0
	.amdhsa_kernel _ZN4vllm3moe10topkGatingILi8ELi64ELi4ELi16ELi64Ej14__hip_bfloat16LNS0_11ScoringFuncE0EEEvPKT5_PKbPfiPT4_PiiiibPKf
		.amdhsa_group_segment_fixed_size 0
		.amdhsa_private_segment_fixed_size 0
		.amdhsa_kernarg_size 72
		.amdhsa_user_sgpr_count 6
		.amdhsa_user_sgpr_private_segment_buffer 1
		.amdhsa_user_sgpr_dispatch_ptr 0
		.amdhsa_user_sgpr_queue_ptr 0
		.amdhsa_user_sgpr_kernarg_segment_ptr 1
		.amdhsa_user_sgpr_dispatch_id 0
		.amdhsa_user_sgpr_flat_scratch_init 0
		.amdhsa_user_sgpr_kernarg_preload_length 0
		.amdhsa_user_sgpr_kernarg_preload_offset 0
		.amdhsa_user_sgpr_private_segment_size 0
		.amdhsa_uses_dynamic_stack 0
		.amdhsa_system_sgpr_private_segment_wavefront_offset 0
		.amdhsa_system_sgpr_workgroup_id_x 1
		.amdhsa_system_sgpr_workgroup_id_y 0
		.amdhsa_system_sgpr_workgroup_id_z 0
		.amdhsa_system_sgpr_workgroup_info 0
		.amdhsa_system_vgpr_workitem_id 1
		.amdhsa_next_free_vgpr 34
		.amdhsa_next_free_sgpr 26
		.amdhsa_accum_offset 36
		.amdhsa_reserve_vcc 1
		.amdhsa_reserve_flat_scratch 0
		.amdhsa_float_round_mode_32 0
		.amdhsa_float_round_mode_16_64 0
		.amdhsa_float_denorm_mode_32 3
		.amdhsa_float_denorm_mode_16_64 3
		.amdhsa_dx10_clamp 1
		.amdhsa_ieee_mode 1
		.amdhsa_fp16_overflow 0
		.amdhsa_tg_split 0
		.amdhsa_exception_fp_ieee_invalid_op 0
		.amdhsa_exception_fp_denorm_src 0
		.amdhsa_exception_fp_ieee_div_zero 0
		.amdhsa_exception_fp_ieee_overflow 0
		.amdhsa_exception_fp_ieee_underflow 0
		.amdhsa_exception_fp_ieee_inexact 0
		.amdhsa_exception_int_div_zero 0
	.end_amdhsa_kernel
	.section	.text._ZN4vllm3moe10topkGatingILi8ELi64ELi4ELi16ELi64Ej14__hip_bfloat16LNS0_11ScoringFuncE0EEEvPKT5_PKbPfiPT4_PiiiibPKf,"axG",@progbits,_ZN4vllm3moe10topkGatingILi8ELi64ELi4ELi16ELi64Ej14__hip_bfloat16LNS0_11ScoringFuncE0EEEvPKT5_PKbPfiPT4_PiiiibPKf,comdat
.Lfunc_end160:
	.size	_ZN4vllm3moe10topkGatingILi8ELi64ELi4ELi16ELi64Ej14__hip_bfloat16LNS0_11ScoringFuncE0EEEvPKT5_PKbPfiPT4_PiiiibPKf, .Lfunc_end160-_ZN4vllm3moe10topkGatingILi8ELi64ELi4ELi16ELi64Ej14__hip_bfloat16LNS0_11ScoringFuncE0EEEvPKT5_PKbPfiPT4_PiiiibPKf
                                        ; -- End function
	.section	.AMDGPU.csdata,"",@progbits
; Kernel info:
; codeLenInByte = 2952
; NumSgprs: 30
; NumVgprs: 34
; NumAgprs: 0
; TotalNumVgprs: 34
; ScratchSize: 0
; MemoryBound: 0
; FloatMode: 240
; IeeeMode: 1
; LDSByteSize: 0 bytes/workgroup (compile time only)
; SGPRBlocks: 3
; VGPRBlocks: 4
; NumSGPRsForWavesPerEU: 30
; NumVGPRsForWavesPerEU: 34
; AccumOffset: 36
; Occupancy: 8
; WaveLimiterHint : 0
; COMPUTE_PGM_RSRC2:SCRATCH_EN: 0
; COMPUTE_PGM_RSRC2:USER_SGPR: 6
; COMPUTE_PGM_RSRC2:TRAP_HANDLER: 0
; COMPUTE_PGM_RSRC2:TGID_X_EN: 1
; COMPUTE_PGM_RSRC2:TGID_Y_EN: 0
; COMPUTE_PGM_RSRC2:TGID_Z_EN: 0
; COMPUTE_PGM_RSRC2:TIDIG_COMP_CNT: 1
; COMPUTE_PGM_RSRC3_GFX90A:ACCUM_OFFSET: 8
; COMPUTE_PGM_RSRC3_GFX90A:TG_SPLIT: 0
	.section	.text._ZN4vllm3moe10topkGatingILi8ELi64ELi4ELi16ELi32Ej14__hip_bfloat16LNS0_11ScoringFuncE0EEEvPKT5_PKbPfiPT4_PiiiibPKf,"axG",@progbits,_ZN4vllm3moe10topkGatingILi8ELi64ELi4ELi16ELi32Ej14__hip_bfloat16LNS0_11ScoringFuncE0EEEvPKT5_PKbPfiPT4_PiiiibPKf,comdat
	.protected	_ZN4vllm3moe10topkGatingILi8ELi64ELi4ELi16ELi32Ej14__hip_bfloat16LNS0_11ScoringFuncE0EEEvPKT5_PKbPfiPT4_PiiiibPKf ; -- Begin function _ZN4vllm3moe10topkGatingILi8ELi64ELi4ELi16ELi32Ej14__hip_bfloat16LNS0_11ScoringFuncE0EEEvPKT5_PKbPfiPT4_PiiiibPKf
	.globl	_ZN4vllm3moe10topkGatingILi8ELi64ELi4ELi16ELi32Ej14__hip_bfloat16LNS0_11ScoringFuncE0EEEvPKT5_PKbPfiPT4_PiiiibPKf
	.p2align	8
	.type	_ZN4vllm3moe10topkGatingILi8ELi64ELi4ELi16ELi32Ej14__hip_bfloat16LNS0_11ScoringFuncE0EEEvPKT5_PKbPfiPT4_PiiiibPKf,@function
_ZN4vllm3moe10topkGatingILi8ELi64ELi4ELi16ELi32Ej14__hip_bfloat16LNS0_11ScoringFuncE0EEEvPKT5_PKbPfiPT4_PiiiibPKf: ; @_ZN4vllm3moe10topkGatingILi8ELi64ELi4ELi16ELi32Ej14__hip_bfloat16LNS0_11ScoringFuncE0EEEvPKT5_PKbPfiPT4_PiiiibPKf
; %bb.0:
	s_load_dword s24, s[4:5], 0x18
	v_bfe_u32 v1, v0, 10, 10
	v_and_b32_e32 v0, 0x3ff, v0
	s_lshl_b32 s0, s6, 4
	v_lshlrev_b32_e32 v1, 2, v1
	v_lshrrev_b32_e32 v2, 3, v0
	v_add3_u32 v17, s0, v1, v2
	s_waitcnt lgkmcnt(0)
	v_cmp_gt_i32_e32 vcc, s24, v17
	s_and_saveexec_b64 s[0:1], vcc
	s_cbranch_execz .LBB161_30
; %bb.1:
	s_load_dwordx4 s[0:3], s[4:5], 0x0
	s_load_dwordx2 s[16:17], s[4:5], 0x10
	s_mov_b64 s[6:7], -1
	s_mov_b64 s[18:19], -1
	s_waitcnt lgkmcnt(0)
	s_cmp_eq_u64 s[2:3], 0
	s_cbranch_scc1 .LBB161_3
; %bb.2:
	v_ashrrev_i32_e32 v1, 31, v17
	v_mov_b32_e32 v3, s3
	v_add_co_u32_e32 v2, vcc, s2, v17
	v_addc_co_u32_e32 v3, vcc, v3, v1, vcc
	global_load_ubyte v1, v[2:3], off
	s_waitcnt vmcnt(0)
	v_and_b32_e32 v1, 1, v1
	v_cmp_eq_u32_e32 vcc, 1, v1
	s_xor_b64 s[2:3], vcc, -1
	s_orn2_b64 s[18:19], s[2:3], exec
.LBB161_3:
	v_lshlrev_b32_e32 v2, 6, v17
	v_ashrrev_i32_e32 v3, 31, v2
	v_lshlrev_b64 v[2:3], 1, v[2:3]
	v_mov_b32_e32 v1, s1
	v_add_co_u32_e32 v2, vcc, s0, v2
	v_and_b32_e32 v21, 7, v0
	v_addc_co_u32_e32 v1, vcc, v1, v3, vcc
	v_lshlrev_b32_e32 v0, 4, v21
	v_add_co_u32_e32 v0, vcc, v2, v0
	v_addc_co_u32_e32 v1, vcc, 0, v1, vcc
	global_load_dwordx4 v[0:3], v[0:1], off
	v_mbcnt_lo_u32_b32 v4, -1, 0
	v_mbcnt_hi_u32_b32 v6, -1, v4
	v_and_b32_e32 v4, 0x78, v6
	v_xor_b32_e32 v5, 4, v6
	v_add_u32_e32 v7, 8, v4
	v_cmp_lt_i32_e32 vcc, v5, v7
	v_cndmask_b32_e32 v4, v6, v5, vcc
	v_lshlrev_b32_e32 v22, 2, v4
	v_xor_b32_e32 v12, 2, v6
	v_cmp_lt_i32_e32 vcc, v12, v7
	v_cndmask_b32_e32 v12, v6, v12, vcc
	v_lshlrev_b32_e32 v23, 2, v12
	v_xor_b32_e32 v12, 1, v6
	v_cmp_lt_i32_e32 vcc, v12, v7
	v_cndmask_b32_e32 v6, v6, v12, vcc
	v_lshlrev_b32_e32 v24, 2, v6
	s_mov_b32 s0, 0x3fb8aa3b
	s_mov_b32 s1, 0xc2ce8ed0
	;; [unrolled: 1-line block ×3, first 2 shown]
	s_waitcnt vmcnt(0)
	v_lshlrev_b32_e32 v8, 16, v1
	v_and_b32_e32 v4, 0xffff0000, v1
	v_and_b32_e32 v1, 0xffff0000, v0
	v_lshlrev_b32_e32 v0, 16, v0
	v_max_f32_e32 v10, v1, v1
	v_max_f32_e32 v11, v0, v0
	;; [unrolled: 1-line block ×3, first 2 shown]
	v_lshlrev_b32_e32 v5, 16, v2
	v_and_b32_e32 v2, 0xffff0000, v2
	v_max3_f32 v10, v10, v8, v4
	v_and_b32_e32 v9, 0xffff0000, v3
	v_lshlrev_b32_e32 v3, 16, v3
	v_max3_f32 v10, v10, v5, v2
	v_max3_f32 v10, v10, v3, v9
	ds_bpermute_b32 v11, v22, v10
	s_waitcnt lgkmcnt(0)
	v_max_f32_e32 v11, v11, v11
	v_max_f32_e32 v10, v10, v11
	ds_bpermute_b32 v11, v23, v10
	s_waitcnt lgkmcnt(0)
	v_max_f32_e32 v6, v11, v11
	v_max_f32_e32 v6, v10, v6
	ds_bpermute_b32 v7, v24, v6
	v_mov_b32_e32 v10, 0x7f800000
	s_waitcnt lgkmcnt(0)
	v_max_f32_e32 v7, v7, v7
	v_max_f32_e32 v6, v6, v7
	v_pk_add_f32 v[0:1], v[0:1], v[6:7] op_sel_hi:[1,0] neg_lo:[0,1] neg_hi:[0,1]
	v_sub_f32_e32 v7, v8, v6
	v_mul_f32_e32 v8, 0x3fb8aa3b, v1
	v_mul_f32_e32 v11, 0x3fb8aa3b, v0
	v_fma_f32 v15, v1, s0, -v8
	v_rndne_f32_e32 v16, v8
	v_pk_add_f32 v[4:5], v[4:5], v[6:7] op_sel_hi:[1,0] neg_lo:[0,1] neg_hi:[0,1]
	v_mul_f32_e32 v12, 0x3fb8aa3b, v7
	v_fma_f32 v18, v0, s0, -v11
	v_rndne_f32_e32 v19, v11
	v_fmac_f32_e32 v15, 0x32a5705f, v1
	v_sub_f32_e32 v8, v8, v16
	v_mul_f32_e32 v13, 0x3fb8aa3b, v5
	v_fma_f32 v20, v7, s0, -v12
	v_rndne_f32_e32 v25, v12
	v_fmac_f32_e32 v18, 0x32a5705f, v0
	v_sub_f32_e32 v11, v11, v19
	v_add_f32_e32 v8, v8, v15
	v_mul_f32_e32 v14, 0x3fb8aa3b, v4
	v_fma_f32 v26, v5, s0, -v13
	v_rndne_f32_e32 v27, v13
	v_cvt_i32_f32_e32 v16, v16
	v_fmac_f32_e32 v20, 0x32a5705f, v7
	v_sub_f32_e32 v12, v12, v25
	v_add_f32_e32 v11, v11, v18
	v_exp_f32_e32 v8, v8
	v_fma_f32 v28, v4, s0, -v14
	v_rndne_f32_e32 v29, v14
	v_cvt_i32_f32_e32 v19, v19
	v_fmac_f32_e32 v26, 0x32a5705f, v5
	v_sub_f32_e32 v13, v13, v27
	v_add_f32_e32 v12, v12, v20
	v_exp_f32_e32 v11, v11
	v_cvt_i32_f32_e32 v25, v25
	v_fmac_f32_e32 v28, 0x32a5705f, v4
	v_sub_f32_e32 v14, v14, v29
	v_add_f32_e32 v13, v13, v26
	v_exp_f32_e32 v12, v12
	v_cvt_i32_f32_e32 v27, v27
	v_add_f32_e32 v14, v14, v28
	v_exp_f32_e32 v13, v13
	v_cvt_i32_f32_e32 v29, v29
	v_exp_f32_e32 v14, v14
	v_ldexp_f32 v8, v8, v16
	v_cmp_ngt_f32_e32 vcc, s1, v1
	v_ldexp_f32 v11, v11, v19
	v_cndmask_b32_e32 v8, 0, v8, vcc
	v_cmp_ngt_f32_e32 vcc, s1, v0
	v_ldexp_f32 v12, v12, v25
	v_cndmask_b32_e32 v11, 0, v11, vcc
	;; [unrolled: 3-line block ×4, first 2 shown]
	v_cmp_ngt_f32_e32 vcc, s1, v4
	v_cndmask_b32_e32 v14, 0, v14, vcc
	v_cmp_nlt_f32_e32 vcc, s2, v1
	v_cndmask_b32_e32 v8, v10, v8, vcc
	v_cmp_nlt_f32_e32 vcc, s2, v0
	;; [unrolled: 2-line block ×3, first 2 shown]
	v_cndmask_b32_e32 v7, v10, v12, vcc
	v_add_f32_e32 v0, v11, v8
	v_pk_add_f32 v[2:3], v[2:3], v[6:7] op_sel_hi:[1,0] neg_lo:[0,1] neg_hi:[0,1]
	v_cmp_nlt_f32_e32 vcc, s2, v5
	v_add_f32_e32 v5, v0, v7
	v_mul_f32_e32 v0, 0x3fb8aa3b, v3
	v_cndmask_b32_e32 v1, v10, v13, vcc
	v_fma_f32 v12, v3, s0, -v0
	v_rndne_f32_e32 v13, v0
	v_fmac_f32_e32 v12, 0x32a5705f, v3
	v_sub_f32_e32 v0, v0, v13
	v_add_f32_e32 v0, v0, v12
	v_exp_f32_e32 v12, v0
	v_cvt_i32_f32_e32 v13, v13
	v_cmp_nlt_f32_e32 vcc, s2, v4
	v_cndmask_b32_e32 v0, v10, v14, vcc
	v_add_f32_e32 v4, v5, v0
	v_ldexp_f32 v5, v12, v13
	v_mul_f32_e32 v12, 0x3fb8aa3b, v2
	v_fma_f32 v13, v2, s0, -v12
	v_rndne_f32_e32 v14, v12
	v_fmac_f32_e32 v13, 0x32a5705f, v2
	v_sub_f32_e32 v12, v12, v14
	v_add_f32_e32 v12, v12, v13
	v_exp_f32_e32 v12, v12
	v_cvt_i32_f32_e32 v13, v14
	v_cmp_ngt_f32_e32 vcc, s1, v3
	v_sub_f32_e32 v6, v9, v6
	v_cndmask_b32_e32 v5, 0, v5, vcc
	v_cmp_nlt_f32_e32 vcc, s2, v3
	v_mul_f32_e32 v9, 0x3fb8aa3b, v6
	v_cndmask_b32_e32 v3, v10, v5, vcc
	v_ldexp_f32 v5, v12, v13
	v_fma_f32 v12, v6, s0, -v9
	v_rndne_f32_e32 v13, v9
	v_fmac_f32_e32 v12, 0x32a5705f, v6
	v_sub_f32_e32 v9, v9, v13
	v_add_f32_e32 v9, v9, v12
	v_exp_f32_e32 v9, v9
	v_cvt_i32_f32_e32 v12, v13
	v_cmp_ngt_f32_e32 vcc, s1, v2
	v_cndmask_b32_e32 v5, 0, v5, vcc
	v_cmp_nlt_f32_e32 vcc, s2, v2
	v_add_f32_e32 v4, v4, v1
	v_cndmask_b32_e32 v2, v10, v5, vcc
	v_ldexp_f32 v5, v9, v12
	v_cmp_ngt_f32_e32 vcc, s1, v6
	v_add_f32_e32 v4, v4, v2
	v_cndmask_b32_e32 v5, 0, v5, vcc
	v_cmp_nlt_f32_e32 vcc, s2, v6
	v_add_f32_e32 v4, v4, v3
	v_cndmask_b32_e32 v5, v10, v5, vcc
	v_add_f32_e32 v4, v4, v5
	ds_bpermute_b32 v6, v22, v4
	s_movk_i32 s2, 0x1f8
	v_lshlrev_b32_e32 v25, 3, v21
	s_waitcnt lgkmcnt(0)
	v_add_f32_e32 v4, v4, v6
	ds_bpermute_b32 v6, v23, v4
	s_waitcnt lgkmcnt(0)
	v_add_f32_e32 v4, v4, v6
	ds_bpermute_b32 v6, v24, v4
	s_waitcnt lgkmcnt(0)
	v_add_f32_e32 v4, v4, v6
	v_div_scale_f32 v6, s[0:1], v4, v4, 1.0
	v_rcp_f32_e32 v9, v6
	s_load_dwordx2 s[0:1], s[4:5], 0x40
	v_fma_f32 v10, -v6, v9, 1.0
	v_fmac_f32_e32 v9, v10, v9
	v_div_scale_f32 v10, vcc, 1.0, v4, 1.0
	v_mul_f32_e32 v12, v10, v9
	v_fma_f32 v13, -v6, v12, v10
	v_fmac_f32_e32 v12, v13, v9
	v_fma_f32 v6, -v6, v12, v10
	v_div_fmas_f32 v6, v6, v9, v12
	v_div_fixup_f32 v4, v6, v4, 1.0
	v_mul_f32_e32 v10, v4, v11
	v_mul_f32_e32 v11, v4, v8
	v_cmp_class_f32_e64 vcc, v10, s2
	v_mul_f32_e32 v12, v4, v7
	v_pk_mul_f32 v[6:7], v[4:5], v[0:1] op_sel_hi:[0,1]
	v_cndmask_b32_e32 v0, 0, v10, vcc
	v_cmp_class_f32_e64 vcc, v11, s2
	v_pk_mul_f32 v[8:9], v[4:5], v[2:3] op_sel_hi:[0,1]
	v_mul_f32_e32 v13, v4, v5
	v_cndmask_b32_e32 v1, 0, v11, vcc
	v_cmp_class_f32_e64 vcc, v12, s2
	v_mov_b32_e32 v5, 0x207
	v_cndmask_b32_e32 v2, 0, v12, vcc
	v_cmp_class_f32_e32 vcc, v7, v5
	v_cndmask_b32_e64 v4, v7, 0, vcc
	v_cmp_class_f32_e32 vcc, v6, v5
	v_cndmask_b32_e64 v3, v6, 0, vcc
	;; [unrolled: 2-line block ×4, first 2 shown]
	v_cmp_class_f32_e64 vcc, v13, s2
	s_waitcnt lgkmcnt(0)
	s_cmp_eq_u64 s[0:1], 0
	v_cndmask_b32_e32 v7, 0, v13, vcc
	s_cbranch_scc1 .LBB161_19
; %bb.4:
	v_lshlrev_b32_e32 v16, 2, v25
	global_load_dwordx4 v[8:11], v16, s[0:1]
	global_load_dwordx4 v[12:15], v16, s[0:1] offset:16
	s_waitcnt vmcnt(1)
	v_pk_add_f32 v[8:9], v[8:9], v[0:1]
	v_pk_add_f32 v[10:11], v[10:11], v[2:3]
	s_waitcnt vmcnt(0)
	v_pk_add_f32 v[12:13], v[12:13], v[4:5]
	v_pk_add_f32 v[14:15], v[14:15], v[6:7]
	s_cbranch_execnz .LBB161_6
.LBB161_5:
	v_pk_mov_b32 v[14:15], v[6:7], v[6:7] op_sel:[0,1]
	v_pk_mov_b32 v[12:13], v[4:5], v[4:5] op_sel:[0,1]
	;; [unrolled: 1-line block ×4, first 2 shown]
.LBB161_6:
	s_load_dwordx4 s[8:11], s[4:5], 0x30
	s_mov_b32 s25, 0
	v_cmp_eq_u32_e64 s[0:1], 0, v21
	s_waitcnt lgkmcnt(0)
	s_bitcmp1_b32 s11, 0
	s_cselect_b64 vcc, -1, 0
	s_cmp_gt_i32 s8, 0
	s_cselect_b64 s[20:21], -1, 0
	s_cmp_lt_i32 s8, 1
	s_cbranch_scc1 .LBB161_20
; %bb.7:
	s_load_dwordx4 s[12:15], s[4:5], 0x20
	v_mul_lo_u32 v27, v17, s8
	v_mov_b32_e32 v26, 0
	v_mov_b32_e32 v28, 0xc61c4000
	;; [unrolled: 1-line block ×3, first 2 shown]
	s_branch .LBB161_10
.LBB161_8:                              ;   in Loop: Header=BB161_10 Depth=1
	s_or_b64 exec, exec, s[4:5]
.LBB161_9:                              ;   in Loop: Header=BB161_10 Depth=1
	s_cmp_eq_u32 s8, s25
	v_add_u32_e32 v29, s24, v29
	s_cbranch_scc1 .LBB161_21
.LBB161_10:                             ; =>This Inner Loop Header: Depth=1
	v_cmp_gt_f32_e64 s[2:3], v9, v8
	v_cndmask_b32_e64 v16, v8, v9, s[2:3]
	v_cndmask_b32_e64 v18, v0, v1, s[2:3]
	s_waitcnt lgkmcnt(0)
	v_cndmask_b32_e64 v19, 0, 1, s[2:3]
	v_cmp_gt_f32_e64 s[2:3], v10, v16
	v_cndmask_b32_e64 v16, v16, v10, s[2:3]
	v_cndmask_b32_e64 v18, v18, v2, s[2:3]
	v_cndmask_b32_e64 v19, v19, 2, s[2:3]
	v_cmp_gt_f32_e64 s[2:3], v11, v16
	v_cndmask_b32_e64 v16, v16, v11, s[2:3]
	v_cndmask_b32_e64 v18, v18, v3, s[2:3]
	v_cndmask_b32_e64 v19, v19, 3, s[2:3]
	v_cmp_gt_f32_e64 s[2:3], v12, v16
	v_cndmask_b32_e64 v16, v16, v12, s[2:3]
	v_cndmask_b32_e64 v18, v18, v4, s[2:3]
	v_cndmask_b32_e64 v19, v19, 4, s[2:3]
	v_cmp_gt_f32_e64 s[2:3], v13, v16
	v_cndmask_b32_e64 v16, v16, v13, s[2:3]
	v_cndmask_b32_e64 v18, v18, v5, s[2:3]
	v_cndmask_b32_e64 v19, v19, 5, s[2:3]
	v_cmp_gt_f32_e64 s[2:3], v14, v16
	v_cndmask_b32_e64 v16, v16, v14, s[2:3]
	v_cndmask_b32_e64 v18, v18, v6, s[2:3]
	v_cndmask_b32_e64 v19, v19, 6, s[2:3]
	v_cmp_gt_f32_e64 s[2:3], v15, v16
	v_cndmask_b32_e64 v19, v19, 7, s[2:3]
	v_cndmask_b32_e64 v16, v16, v15, s[2:3]
	v_or_b32_e32 v19, v25, v19
	ds_bpermute_b32 v20, v22, v16
	ds_bpermute_b32 v30, v22, v19
	v_cndmask_b32_e64 v18, v18, v7, s[2:3]
	ds_bpermute_b32 v32, v22, v18
	s_waitcnt lgkmcnt(0)
	v_cmp_eq_f32_e64 s[4:5], v16, v20
	v_cmp_lt_i32_e64 s[6:7], v30, v19
	v_cmp_lt_f32_e64 s[2:3], v16, v20
	s_and_b64 s[4:5], s[4:5], s[6:7]
	s_or_b64 s[2:3], s[2:3], s[4:5]
	v_cndmask_b32_e64 v31, v16, v20, s[2:3]
	v_cndmask_b32_e64 v30, v19, v30, s[2:3]
	;; [unrolled: 1-line block ×3, first 2 shown]
	ds_bpermute_b32 v33, v23, v31
	ds_bpermute_b32 v20, v23, v16
	;; [unrolled: 1-line block ×3, first 2 shown]
                                        ; implicit-def: $vgpr18_vgpr19
	s_waitcnt lgkmcnt(2)
	v_cmp_lt_f32_e64 s[6:7], v31, v33
	v_cmp_nlt_f32_e64 s[2:3], v31, v33
	s_and_saveexec_b64 s[22:23], s[2:3]
	s_cbranch_execz .LBB161_12
; %bb.11:                               ;   in Loop: Header=BB161_10 Depth=1
	v_cmp_eq_f32_e64 s[2:3], v31, v33
	s_waitcnt lgkmcnt(0)
	v_cmp_lt_i32_e64 s[4:5], v32, v30
	s_and_b64 s[2:3], s[2:3], s[4:5]
	s_andn2_b64 s[4:5], s[6:7], exec
	s_and_b64 s[2:3], s[2:3], exec
	s_or_b64 s[6:7], s[4:5], s[2:3]
	v_pk_mov_b32 v[18:19], v[16:17], v[16:17] op_sel:[0,1]
.LBB161_12:                             ;   in Loop: Header=BB161_10 Depth=1
	s_or_b64 exec, exec, s[22:23]
	s_and_saveexec_b64 s[2:3], s[6:7]
	s_cbranch_execz .LBB161_14
; %bb.13:                               ;   in Loop: Header=BB161_10 Depth=1
	v_mov_b32_e32 v31, v33
	s_waitcnt lgkmcnt(1)
	v_mov_b32_e32 v16, v20
	s_waitcnt lgkmcnt(0)
	v_mov_b32_e32 v30, v32
	v_pk_mov_b32 v[18:19], v[20:21], v[20:21] op_sel:[0,1]
.LBB161_14:                             ;   in Loop: Header=BB161_10 Depth=1
	s_or_b64 exec, exec, s[2:3]
	s_waitcnt lgkmcnt(1)
	ds_bpermute_b32 v20, v24, v31
	s_waitcnt lgkmcnt(1)
	ds_bpermute_b32 v32, v24, v30
	ds_bpermute_b32 v19, v24, v16
	s_waitcnt lgkmcnt(2)
	v_cmp_eq_f32_e64 s[4:5], v31, v20
	s_waitcnt lgkmcnt(1)
	v_cmp_lt_i32_e64 s[6:7], v32, v30
	v_cmp_lt_f32_e64 s[2:3], v31, v20
	s_and_b64 s[4:5], s[4:5], s[6:7]
	s_or_b64 s[2:3], s[2:3], s[4:5]
	v_cndmask_b32_e64 v16, v30, v32, s[2:3]
	s_and_saveexec_b64 s[6:7], s[0:1]
	s_cbranch_execnz .LBB161_16
; %bb.15:                               ;   in Loop: Header=BB161_10 Depth=1
	s_or_b64 exec, exec, s[6:7]
	s_add_i32 s25, s25, 1
	s_cmp_ge_i32 s25, s8
	s_cbranch_scc1 .LBB161_9
	s_branch .LBB161_17
.LBB161_16:                             ;   in Loop: Header=BB161_10 Depth=1
	s_waitcnt lgkmcnt(0)
	v_cndmask_b32_e64 v20, v18, v19, s[2:3]
	v_add_u32_e32 v18, s25, v27
	v_ashrrev_i32_e32 v19, 31, v18
	v_cmp_le_i32_e64 s[2:3], s9, v16
	v_cmp_gt_i32_e64 s[4:5], s10, v16
	v_lshlrev_b64 v[18:19], 2, v[18:19]
	s_and_b64 s[4:5], s[2:3], s[4:5]
	v_mov_b32_e32 v31, s17
	v_add_co_u32_e64 v30, s[2:3], s16, v18
	v_addc_co_u32_e64 v31, s[2:3], v31, v19, s[2:3]
	global_store_dword v[30:31], v20, off
	v_subrev_u32_e32 v30, s9, v16
	s_and_b64 s[2:3], s[18:19], s[4:5]
	v_cndmask_b32_e64 v32, 64, v30, s[2:3]
	v_mov_b32_e32 v31, s13
	v_add_co_u32_e64 v30, s[2:3], s12, v18
	v_addc_co_u32_e64 v31, s[2:3], v31, v19, s[2:3]
	global_store_dword v[30:31], v32, off
	v_mov_b32_e32 v30, s15
	v_add_co_u32_e64 v18, s[2:3], s14, v18
	v_addc_co_u32_e64 v19, s[2:3], v30, v19, s[2:3]
	global_store_dword v[18:19], v29, off
	v_add_f32_e32 v18, v26, v20
	v_cndmask_b32_e32 v26, v26, v18, vcc
	s_or_b64 exec, exec, s[6:7]
	s_add_i32 s25, s25, 1
	s_cmp_ge_i32 s25, s8
	s_cbranch_scc1 .LBB161_9
.LBB161_17:                             ;   in Loop: Header=BB161_10 Depth=1
	s_waitcnt lgkmcnt(0)
	v_ashrrev_i32_e32 v19, 31, v16
	v_lshrrev_b32_e32 v18, 29, v19
	v_add_u32_e32 v18, v16, v18
	v_ashrrev_i32_e32 v18, 3, v18
	v_lshrrev_b32_e32 v20, 29, v18
	v_add_u32_e32 v20, v18, v20
	v_and_b32_e32 v20, -8, v20
	v_sub_u32_e32 v20, v18, v20
	v_cmp_eq_u32_e64 s[2:3], v21, v20
	s_and_saveexec_b64 s[4:5], s[2:3]
	s_cbranch_execz .LBB161_8
; %bb.18:                               ;   in Loop: Header=BB161_10 Depth=1
	v_lshrrev_b32_e32 v19, 26, v19
	v_add_u32_e32 v19, v16, v19
	v_lshlrev_b32_e32 v18, 3, v18
	v_ashrrev_i32_e32 v19, 6, v19
	v_sub_u32_e32 v16, v16, v18
	v_lshl_add_u32 v16, v19, 3, v16
	v_cmp_ne_u32_e64 s[2:3], 7, v16
	v_cndmask_b32_e64 v15, v28, v15, s[2:3]
	v_cmp_ne_u32_e64 s[2:3], 6, v16
	v_cndmask_b32_e64 v14, v28, v14, s[2:3]
	;; [unrolled: 2-line block ×8, first 2 shown]
	s_branch .LBB161_8
.LBB161_19:
                                        ; implicit-def: $vgpr8_vgpr9_vgpr10_vgpr11_vgpr12_vgpr13_vgpr14_vgpr15
	s_andn2_b64 vcc, exec, s[6:7]
	s_cbranch_vccz .LBB161_5
	s_branch .LBB161_6
.LBB161_20:
	v_mov_b32_e32 v26, 0
.LBB161_21:
	v_cmp_eq_u32_e64 s[0:1], 0, v21
	s_and_b64 s[0:1], s[0:1], vcc
	s_and_b64 exec, exec, s[0:1]
	s_cbranch_execz .LBB161_30
; %bb.22:
	s_andn2_b64 vcc, exec, s[20:21]
	s_cbranch_vccnz .LBB161_30
; %bb.23:
	v_cmp_lt_f32_e32 vcc, 0, v26
	s_mov_b32 s2, 0
	v_cndmask_b32_e32 v0, 1.0, v26, vcc
	v_mul_lo_u32 v4, v17, s8
	s_cmp_eq_u32 s8, 1
	s_mov_b64 s[0:1], -1
	s_cbranch_scc1 .LBB161_27
; %bb.24:
	s_and_b32 s2, s8, 0x7ffffffe
	v_mov_b32_e32 v1, v0
	v_mov_b32_e32 v5, s17
	s_mov_b32 s3, s2
	v_mov_b32_e32 v2, v4
.LBB161_25:                             ; =>This Inner Loop Header: Depth=1
	v_ashrrev_i32_e32 v3, 31, v2
	v_lshlrev_b64 v[6:7], 2, v[2:3]
	v_add_co_u32_e32 v6, vcc, s16, v6
	v_addc_co_u32_e32 v7, vcc, v5, v7, vcc
	global_load_dwordx2 v[8:9], v[6:7], off
	s_add_i32 s3, s3, -2
	s_cmp_lg_u32 s3, 0
	v_add_u32_e32 v2, 2, v2
	s_waitcnt vmcnt(0)
	v_div_scale_f32 v3, s[0:1], v1, v1, v9
	v_div_scale_f32 v11, s[0:1], v0, v0, v8
	v_rcp_f32_e32 v12, v3
	v_rcp_f32_e32 v13, v11
	v_div_scale_f32 v10, vcc, v9, v1, v9
	v_fma_f32 v15, -v3, v12, 1.0
	v_fma_f32 v16, -v11, v13, 1.0
	v_fmac_f32_e32 v12, v15, v12
	v_div_scale_f32 v14, s[0:1], v8, v0, v8
	v_fmac_f32_e32 v13, v16, v13
	v_mul_f32_e32 v15, v10, v12
	v_mul_f32_e32 v16, v14, v13
	v_fma_f32 v17, -v3, v15, v10
	v_fma_f32 v18, -v11, v16, v14
	v_fmac_f32_e32 v15, v17, v12
	v_fmac_f32_e32 v16, v18, v13
	v_fma_f32 v3, -v3, v15, v10
	v_fma_f32 v10, -v11, v16, v14
	v_div_fmas_f32 v3, v3, v12, v15
	s_mov_b64 vcc, s[0:1]
	v_div_fixup_f32 v9, v3, v1, v9
	v_div_fmas_f32 v3, v10, v13, v16
	v_div_fixup_f32 v8, v3, v0, v8
	global_store_dwordx2 v[6:7], v[8:9], off
	s_cbranch_scc1 .LBB161_25
; %bb.26:
	s_cmp_lg_u32 s2, s8
	s_cselect_b64 s[0:1], -1, 0
.LBB161_27:
	s_and_b64 vcc, exec, s[0:1]
	s_cbranch_vccz .LBB161_30
; %bb.28:
	v_ashrrev_i32_e32 v1, 31, v4
	v_add_co_u32_e32 v2, vcc, s2, v4
	v_addc_co_u32_e32 v3, vcc, 0, v1, vcc
	v_lshlrev_b64 v[2:3], 2, v[2:3]
	v_mov_b32_e32 v1, s17
	v_add_co_u32_e32 v2, vcc, s16, v2
	s_sub_i32 s0, s8, s2
	v_addc_co_u32_e32 v3, vcc, v1, v3, vcc
.LBB161_29:                             ; =>This Inner Loop Header: Depth=1
	global_load_dword v1, v[2:3], off
	s_add_i32 s0, s0, -1
	s_cmp_lg_u32 s0, 0
	s_waitcnt vmcnt(0)
	v_div_scale_f32 v4, s[2:3], v0, v0, v1
	v_rcp_f32_e32 v5, v4
	v_div_scale_f32 v6, vcc, v1, v0, v1
	v_fma_f32 v7, -v4, v5, 1.0
	v_fmac_f32_e32 v5, v7, v5
	v_mul_f32_e32 v7, v6, v5
	v_fma_f32 v8, -v4, v7, v6
	v_fmac_f32_e32 v7, v8, v5
	v_fma_f32 v4, -v4, v7, v6
	v_div_fmas_f32 v4, v4, v5, v7
	v_div_fixup_f32 v1, v4, v0, v1
	global_store_dword v[2:3], v1, off
	v_add_co_u32_e32 v2, vcc, 4, v2
	v_addc_co_u32_e32 v3, vcc, 0, v3, vcc
	s_cbranch_scc1 .LBB161_29
.LBB161_30:
	s_endpgm
	.section	.rodata,"a",@progbits
	.p2align	6, 0x0
	.amdhsa_kernel _ZN4vllm3moe10topkGatingILi8ELi64ELi4ELi16ELi32Ej14__hip_bfloat16LNS0_11ScoringFuncE0EEEvPKT5_PKbPfiPT4_PiiiibPKf
		.amdhsa_group_segment_fixed_size 0
		.amdhsa_private_segment_fixed_size 0
		.amdhsa_kernarg_size 72
		.amdhsa_user_sgpr_count 6
		.amdhsa_user_sgpr_private_segment_buffer 1
		.amdhsa_user_sgpr_dispatch_ptr 0
		.amdhsa_user_sgpr_queue_ptr 0
		.amdhsa_user_sgpr_kernarg_segment_ptr 1
		.amdhsa_user_sgpr_dispatch_id 0
		.amdhsa_user_sgpr_flat_scratch_init 0
		.amdhsa_user_sgpr_kernarg_preload_length 0
		.amdhsa_user_sgpr_kernarg_preload_offset 0
		.amdhsa_user_sgpr_private_segment_size 0
		.amdhsa_uses_dynamic_stack 0
		.amdhsa_system_sgpr_private_segment_wavefront_offset 0
		.amdhsa_system_sgpr_workgroup_id_x 1
		.amdhsa_system_sgpr_workgroup_id_y 0
		.amdhsa_system_sgpr_workgroup_id_z 0
		.amdhsa_system_sgpr_workgroup_info 0
		.amdhsa_system_vgpr_workitem_id 1
		.amdhsa_next_free_vgpr 34
		.amdhsa_next_free_sgpr 26
		.amdhsa_accum_offset 36
		.amdhsa_reserve_vcc 1
		.amdhsa_reserve_flat_scratch 0
		.amdhsa_float_round_mode_32 0
		.amdhsa_float_round_mode_16_64 0
		.amdhsa_float_denorm_mode_32 3
		.amdhsa_float_denorm_mode_16_64 3
		.amdhsa_dx10_clamp 1
		.amdhsa_ieee_mode 1
		.amdhsa_fp16_overflow 0
		.amdhsa_tg_split 0
		.amdhsa_exception_fp_ieee_invalid_op 0
		.amdhsa_exception_fp_denorm_src 0
		.amdhsa_exception_fp_ieee_div_zero 0
		.amdhsa_exception_fp_ieee_overflow 0
		.amdhsa_exception_fp_ieee_underflow 0
		.amdhsa_exception_fp_ieee_inexact 0
		.amdhsa_exception_int_div_zero 0
	.end_amdhsa_kernel
	.section	.text._ZN4vllm3moe10topkGatingILi8ELi64ELi4ELi16ELi32Ej14__hip_bfloat16LNS0_11ScoringFuncE0EEEvPKT5_PKbPfiPT4_PiiiibPKf,"axG",@progbits,_ZN4vllm3moe10topkGatingILi8ELi64ELi4ELi16ELi32Ej14__hip_bfloat16LNS0_11ScoringFuncE0EEEvPKT5_PKbPfiPT4_PiiiibPKf,comdat
.Lfunc_end161:
	.size	_ZN4vllm3moe10topkGatingILi8ELi64ELi4ELi16ELi32Ej14__hip_bfloat16LNS0_11ScoringFuncE0EEEvPKT5_PKbPfiPT4_PiiiibPKf, .Lfunc_end161-_ZN4vllm3moe10topkGatingILi8ELi64ELi4ELi16ELi32Ej14__hip_bfloat16LNS0_11ScoringFuncE0EEEvPKT5_PKbPfiPT4_PiiiibPKf
                                        ; -- End function
	.section	.AMDGPU.csdata,"",@progbits
; Kernel info:
; codeLenInByte = 2952
; NumSgprs: 30
; NumVgprs: 34
; NumAgprs: 0
; TotalNumVgprs: 34
; ScratchSize: 0
; MemoryBound: 0
; FloatMode: 240
; IeeeMode: 1
; LDSByteSize: 0 bytes/workgroup (compile time only)
; SGPRBlocks: 3
; VGPRBlocks: 4
; NumSGPRsForWavesPerEU: 30
; NumVGPRsForWavesPerEU: 34
; AccumOffset: 36
; Occupancy: 8
; WaveLimiterHint : 0
; COMPUTE_PGM_RSRC2:SCRATCH_EN: 0
; COMPUTE_PGM_RSRC2:USER_SGPR: 6
; COMPUTE_PGM_RSRC2:TRAP_HANDLER: 0
; COMPUTE_PGM_RSRC2:TGID_X_EN: 1
; COMPUTE_PGM_RSRC2:TGID_Y_EN: 0
; COMPUTE_PGM_RSRC2:TGID_Z_EN: 0
; COMPUTE_PGM_RSRC2:TIDIG_COMP_CNT: 1
; COMPUTE_PGM_RSRC3_GFX90A:ACCUM_OFFSET: 8
; COMPUTE_PGM_RSRC3_GFX90A:TG_SPLIT: 0
	.section	.text._ZN4vllm3moe10topkGatingILi8ELi128ELi4ELi16ELi64Ej14__hip_bfloat16LNS0_11ScoringFuncE0EEEvPKT5_PKbPfiPT4_PiiiibPKf,"axG",@progbits,_ZN4vllm3moe10topkGatingILi8ELi128ELi4ELi16ELi64Ej14__hip_bfloat16LNS0_11ScoringFuncE0EEEvPKT5_PKbPfiPT4_PiiiibPKf,comdat
	.protected	_ZN4vllm3moe10topkGatingILi8ELi128ELi4ELi16ELi64Ej14__hip_bfloat16LNS0_11ScoringFuncE0EEEvPKT5_PKbPfiPT4_PiiiibPKf ; -- Begin function _ZN4vllm3moe10topkGatingILi8ELi128ELi4ELi16ELi64Ej14__hip_bfloat16LNS0_11ScoringFuncE0EEEvPKT5_PKbPfiPT4_PiiiibPKf
	.globl	_ZN4vllm3moe10topkGatingILi8ELi128ELi4ELi16ELi64Ej14__hip_bfloat16LNS0_11ScoringFuncE0EEEvPKT5_PKbPfiPT4_PiiiibPKf
	.p2align	8
	.type	_ZN4vllm3moe10topkGatingILi8ELi128ELi4ELi16ELi64Ej14__hip_bfloat16LNS0_11ScoringFuncE0EEEvPKT5_PKbPfiPT4_PiiiibPKf,@function
_ZN4vllm3moe10topkGatingILi8ELi128ELi4ELi16ELi64Ej14__hip_bfloat16LNS0_11ScoringFuncE0EEEvPKT5_PKbPfiPT4_PiiiibPKf: ; @_ZN4vllm3moe10topkGatingILi8ELi128ELi4ELi16ELi64Ej14__hip_bfloat16LNS0_11ScoringFuncE0EEEvPKT5_PKbPfiPT4_PiiiibPKf
; %bb.0:
	s_load_dword s24, s[4:5], 0x18
	v_bfe_u32 v1, v0, 10, 10
	v_and_b32_e32 v0, 0x3ff, v0
	s_lshl_b32 s0, s6, 4
	v_lshlrev_b32_e32 v1, 2, v1
	v_lshrrev_b32_e32 v2, 4, v0
	v_add3_u32 v17, s0, v1, v2
	s_waitcnt lgkmcnt(0)
	v_cmp_gt_i32_e32 vcc, s24, v17
	s_and_saveexec_b64 s[0:1], vcc
	s_cbranch_execz .LBB162_34
; %bb.1:
	s_load_dwordx4 s[0:3], s[4:5], 0x0
	s_load_dwordx2 s[16:17], s[4:5], 0x10
	s_mov_b64 s[6:7], -1
	s_mov_b64 s[18:19], -1
	s_waitcnt lgkmcnt(0)
	s_cmp_eq_u64 s[2:3], 0
	s_cbranch_scc1 .LBB162_3
; %bb.2:
	v_ashrrev_i32_e32 v1, 31, v17
	v_mov_b32_e32 v3, s3
	v_add_co_u32_e32 v2, vcc, s2, v17
	v_addc_co_u32_e32 v3, vcc, v3, v1, vcc
	global_load_ubyte v1, v[2:3], off
	s_waitcnt vmcnt(0)
	v_and_b32_e32 v1, 1, v1
	v_cmp_eq_u32_e32 vcc, 1, v1
	s_xor_b64 s[2:3], vcc, -1
	s_orn2_b64 s[18:19], s[2:3], exec
.LBB162_3:
	v_lshlrev_b32_e32 v2, 7, v17
	v_ashrrev_i32_e32 v3, 31, v2
	v_lshlrev_b64 v[2:3], 1, v[2:3]
	v_mov_b32_e32 v1, s1
	v_add_co_u32_e32 v2, vcc, s0, v2
	v_and_b32_e32 v21, 15, v0
	v_addc_co_u32_e32 v1, vcc, v1, v3, vcc
	v_lshlrev_b32_e32 v0, 4, v21
	v_add_co_u32_e32 v0, vcc, v2, v0
	v_addc_co_u32_e32 v1, vcc, 0, v1, vcc
	global_load_dwordx4 v[0:3], v[0:1], off
	v_mbcnt_lo_u32_b32 v4, -1, 0
	v_mbcnt_hi_u32_b32 v4, -1, v4
	v_and_b32_e32 v5, 0x70, v4
	v_xor_b32_e32 v6, 8, v4
	v_add_u32_e32 v5, 16, v5
	v_cmp_lt_i32_e32 vcc, v6, v5
	v_cndmask_b32_e32 v6, v4, v6, vcc
	v_lshlrev_b32_e32 v22, 2, v6
	v_xor_b32_e32 v12, 4, v4
	v_cmp_lt_i32_e32 vcc, v12, v5
	v_cndmask_b32_e32 v12, v4, v12, vcc
	v_lshlrev_b32_e32 v23, 2, v12
	v_xor_b32_e32 v12, 2, v4
	;; [unrolled: 4-line block ×3, first 2 shown]
	v_cmp_lt_i32_e32 vcc, v12, v5
	v_cndmask_b32_e32 v4, v4, v12, vcc
	v_lshlrev_b32_e32 v25, 2, v4
	s_mov_b32 s0, 0x3fb8aa3b
	s_mov_b32 s1, 0xc2ce8ed0
	;; [unrolled: 1-line block ×3, first 2 shown]
	s_waitcnt vmcnt(0)
	v_lshlrev_b32_e32 v6, 16, v0
	v_and_b32_e32 v7, 0xffff0000, v0
	v_max_f32_e32 v10, v7, v7
	v_max_f32_e32 v11, v6, v6
	v_lshlrev_b32_e32 v8, 16, v1
	v_and_b32_e32 v0, 0xffff0000, v1
	v_max_f32_e32 v10, v11, v10
	v_lshlrev_b32_e32 v1, 16, v2
	v_and_b32_e32 v2, 0xffff0000, v2
	v_max3_f32 v10, v10, v8, v0
	v_and_b32_e32 v9, 0xffff0000, v3
	v_lshlrev_b32_e32 v3, 16, v3
	v_max3_f32 v10, v10, v1, v2
	v_max3_f32 v10, v10, v3, v9
	ds_bpermute_b32 v11, v22, v10
	s_waitcnt lgkmcnt(0)
	v_max_f32_e32 v11, v11, v11
	v_max_f32_e32 v10, v10, v11
	ds_bpermute_b32 v11, v23, v10
	s_waitcnt lgkmcnt(0)
	v_max_f32_e32 v11, v11, v11
	v_max_f32_e32 v10, v10, v11
	;; [unrolled: 4-line block ×3, first 2 shown]
	ds_bpermute_b32 v5, v25, v4
	v_mov_b32_e32 v10, 0x7f800000
	s_waitcnt lgkmcnt(0)
	v_max_f32_e32 v5, v5, v5
	v_max_f32_e32 v4, v4, v5
	v_sub_f32_e32 v5, v6, v4
	v_sub_f32_e32 v6, v7, v4
	;; [unrolled: 1-line block ×3, first 2 shown]
	v_mul_f32_e32 v8, 0x3fb8aa3b, v5
	v_mul_f32_e32 v11, 0x3fb8aa3b, v6
	v_fma_f32 v15, v5, s0, -v8
	v_rndne_f32_e32 v16, v8
	v_pk_add_f32 v[0:1], v[0:1], v[4:5] op_sel_hi:[1,0] neg_lo:[0,1] neg_hi:[0,1]
	v_mul_f32_e32 v12, 0x3fb8aa3b, v7
	v_fma_f32 v18, v6, s0, -v11
	v_rndne_f32_e32 v19, v11
	v_fmac_f32_e32 v15, 0x32a5705f, v5
	v_sub_f32_e32 v8, v8, v16
	v_mul_f32_e32 v13, 0x3fb8aa3b, v1
	v_fma_f32 v20, v7, s0, -v12
	v_rndne_f32_e32 v26, v12
	v_fmac_f32_e32 v18, 0x32a5705f, v6
	v_sub_f32_e32 v11, v11, v19
	v_add_f32_e32 v8, v8, v15
	v_fma_f32 v27, v1, s0, -v13
	v_rndne_f32_e32 v28, v13
	v_cvt_i32_f32_e32 v16, v16
	v_fmac_f32_e32 v20, 0x32a5705f, v7
	v_sub_f32_e32 v12, v12, v26
	v_add_f32_e32 v11, v11, v18
	v_exp_f32_e32 v8, v8
	v_cvt_i32_f32_e32 v19, v19
	v_fmac_f32_e32 v27, 0x32a5705f, v1
	v_sub_f32_e32 v13, v13, v28
	v_add_f32_e32 v12, v12, v20
	v_exp_f32_e32 v11, v11
	v_cvt_i32_f32_e32 v26, v26
	v_add_f32_e32 v13, v13, v27
	v_exp_f32_e32 v12, v12
	v_cvt_i32_f32_e32 v28, v28
	v_exp_f32_e32 v13, v13
	v_mul_f32_e32 v14, 0x3fb8aa3b, v0
	v_ldexp_f32 v8, v8, v16
	v_cmp_ngt_f32_e32 vcc, s1, v5
	v_fma_f32 v29, v0, s0, -v14
	v_rndne_f32_e32 v30, v14
	v_ldexp_f32 v11, v11, v19
	v_cndmask_b32_e32 v8, 0, v8, vcc
	v_cmp_ngt_f32_e32 vcc, s1, v6
	v_fmac_f32_e32 v29, 0x32a5705f, v0
	v_sub_f32_e32 v14, v14, v30
	v_ldexp_f32 v12, v12, v26
	v_cndmask_b32_e32 v11, 0, v11, vcc
	v_cmp_ngt_f32_e32 vcc, s1, v7
	v_add_f32_e32 v14, v14, v29
	v_ldexp_f32 v13, v13, v28
	v_cndmask_b32_e32 v12, 0, v12, vcc
	v_cmp_ngt_f32_e32 vcc, s1, v1
	v_cvt_i32_f32_e32 v30, v30
	v_exp_f32_e32 v14, v14
	v_cndmask_b32_e32 v13, 0, v13, vcc
	v_cmp_nlt_f32_e32 vcc, s2, v5
	v_cndmask_b32_e32 v5, v10, v8, vcc
	v_cmp_nlt_f32_e32 vcc, s2, v6
	v_cndmask_b32_e32 v6, v10, v11, vcc
	v_cmp_nlt_f32_e32 vcc, s2, v7
	v_cndmask_b32_e32 v7, v10, v12, vcc
	v_cmp_nlt_f32_e32 vcc, s2, v1
	v_pk_add_f32 v[2:3], v[2:3], v[4:5] op_sel_hi:[1,0] neg_lo:[0,1] neg_hi:[0,1]
	v_ldexp_f32 v14, v14, v30
	v_cndmask_b32_e32 v1, v10, v13, vcc
	v_cmp_ngt_f32_e32 vcc, s1, v0
	v_mul_f32_e32 v12, 0x3fb8aa3b, v3
	v_cndmask_b32_e32 v11, 0, v14, vcc
	v_fma_f32 v13, v3, s0, -v12
	v_rndne_f32_e32 v14, v12
	v_fmac_f32_e32 v13, 0x32a5705f, v3
	v_sub_f32_e32 v12, v12, v14
	v_add_f32_e32 v12, v12, v13
	v_exp_f32_e32 v12, v12
	v_cvt_i32_f32_e32 v13, v14
	v_cmp_nlt_f32_e32 vcc, s2, v0
	v_cndmask_b32_e32 v0, v10, v11, vcc
	v_cmp_ngt_f32_e32 vcc, s1, v3
	v_ldexp_f32 v11, v12, v13
	v_mul_f32_e32 v12, 0x3fb8aa3b, v2
	v_fma_f32 v13, v2, s0, -v12
	v_rndne_f32_e32 v14, v12
	v_fmac_f32_e32 v13, 0x32a5705f, v2
	v_sub_f32_e32 v12, v12, v14
	v_add_f32_e32 v12, v12, v13
	v_exp_f32_e32 v12, v12
	v_cvt_i32_f32_e32 v13, v14
	v_sub_f32_e32 v4, v9, v4
	v_cndmask_b32_e32 v11, 0, v11, vcc
	v_cmp_nlt_f32_e32 vcc, s2, v3
	v_mul_f32_e32 v9, 0x3fb8aa3b, v4
	v_cndmask_b32_e32 v3, v10, v11, vcc
	v_ldexp_f32 v11, v12, v13
	v_fma_f32 v12, v4, s0, -v9
	v_rndne_f32_e32 v13, v9
	v_fmac_f32_e32 v12, 0x32a5705f, v4
	v_sub_f32_e32 v9, v9, v13
	v_add_f32_e32 v9, v9, v12
	v_exp_f32_e32 v9, v9
	v_cvt_i32_f32_e32 v12, v13
	v_add_f32_e32 v8, v5, v6
	v_add_f32_e32 v8, v8, v7
	v_cmp_ngt_f32_e32 vcc, s1, v2
	v_add_f32_e32 v8, v8, v0
	v_cndmask_b32_e32 v11, 0, v11, vcc
	v_cmp_nlt_f32_e32 vcc, s2, v2
	v_add_f32_e32 v8, v8, v1
	v_cndmask_b32_e32 v2, v10, v11, vcc
	v_ldexp_f32 v9, v9, v12
	v_cmp_ngt_f32_e32 vcc, s1, v4
	v_add_f32_e32 v8, v8, v2
	v_cndmask_b32_e32 v9, 0, v9, vcc
	v_cmp_nlt_f32_e32 vcc, s2, v4
	v_add_f32_e32 v8, v8, v3
	v_cndmask_b32_e32 v10, v10, v9, vcc
	v_add_f32_e32 v4, v8, v10
	ds_bpermute_b32 v8, v22, v4
	s_movk_i32 s2, 0x1f8
	v_lshlrev_b32_e32 v26, 3, v21
	s_waitcnt lgkmcnt(0)
	v_add_f32_e32 v4, v4, v8
	ds_bpermute_b32 v8, v23, v4
	s_waitcnt lgkmcnt(0)
	v_add_f32_e32 v4, v4, v8
	ds_bpermute_b32 v8, v24, v4
	;; [unrolled: 3-line block ×3, first 2 shown]
	s_waitcnt lgkmcnt(0)
	v_add_f32_e32 v4, v4, v8
	v_div_scale_f32 v8, s[0:1], v4, v4, 1.0
	v_rcp_f32_e32 v9, v8
	s_load_dwordx2 s[0:1], s[4:5], 0x40
	v_fma_f32 v11, -v8, v9, 1.0
	v_fmac_f32_e32 v9, v11, v9
	v_div_scale_f32 v11, vcc, 1.0, v4, 1.0
	v_mul_f32_e32 v12, v11, v9
	v_fma_f32 v13, -v8, v12, v11
	v_fmac_f32_e32 v12, v13, v9
	v_fma_f32 v8, -v8, v12, v11
	v_div_fmas_f32 v8, v8, v9, v12
	v_div_fixup_f32 v4, v8, v4, 1.0
	v_mul_f32_e32 v5, v4, v5
	v_mul_f32_e32 v11, v4, v6
	v_cmp_class_f32_e64 vcc, v5, s2
	v_mul_f32_e32 v12, v4, v7
	v_pk_mul_f32 v[6:7], v[4:5], v[0:1] op_sel_hi:[0,1]
	v_cndmask_b32_e32 v0, 0, v5, vcc
	v_cmp_class_f32_e64 vcc, v11, s2
	v_pk_mul_f32 v[8:9], v[4:5], v[2:3] op_sel_hi:[0,1]
	v_cndmask_b32_e32 v1, 0, v11, vcc
	v_cmp_class_f32_e64 vcc, v12, s2
	v_mov_b32_e32 v5, 0x207
	v_cndmask_b32_e32 v2, 0, v12, vcc
	v_cmp_class_f32_e32 vcc, v7, v5
	v_mul_f32_e32 v10, v4, v10
	v_cndmask_b32_e64 v4, v7, 0, vcc
	v_cmp_class_f32_e32 vcc, v6, v5
	v_cndmask_b32_e64 v3, v6, 0, vcc
	v_cmp_class_f32_e32 vcc, v9, v5
	;; [unrolled: 2-line block ×3, first 2 shown]
	v_cndmask_b32_e64 v5, v8, 0, vcc
	v_cmp_class_f32_e64 vcc, v10, s2
	s_waitcnt lgkmcnt(0)
	s_cmp_eq_u64 s[0:1], 0
	v_cndmask_b32_e32 v7, 0, v10, vcc
	s_cbranch_scc1 .LBB162_23
; %bb.4:
	v_lshlrev_b32_e32 v16, 2, v26
	global_load_dwordx4 v[8:11], v16, s[0:1]
	global_load_dwordx4 v[12:15], v16, s[0:1] offset:16
	s_waitcnt vmcnt(1)
	v_pk_add_f32 v[8:9], v[8:9], v[0:1]
	v_pk_add_f32 v[10:11], v[10:11], v[2:3]
	s_waitcnt vmcnt(0)
	v_pk_add_f32 v[12:13], v[12:13], v[4:5]
	v_pk_add_f32 v[14:15], v[14:15], v[6:7]
	s_cbranch_execnz .LBB162_6
.LBB162_5:
	v_pk_mov_b32 v[14:15], v[6:7], v[6:7] op_sel:[0,1]
	v_pk_mov_b32 v[12:13], v[4:5], v[4:5] op_sel:[0,1]
	v_pk_mov_b32 v[10:11], v[2:3], v[2:3] op_sel:[0,1]
	v_pk_mov_b32 v[8:9], v[0:1], v[0:1] op_sel:[0,1]
.LBB162_6:
	s_load_dwordx4 s[8:11], s[4:5], 0x30
	s_mov_b32 s25, 0
	v_cmp_eq_u32_e64 s[0:1], 0, v21
	s_waitcnt lgkmcnt(0)
	s_bitcmp1_b32 s11, 0
	s_cselect_b64 vcc, -1, 0
	s_cmp_gt_i32 s8, 0
	s_cselect_b64 s[20:21], -1, 0
	s_cmp_lt_i32 s8, 1
	s_cbranch_scc1 .LBB162_24
; %bb.7:
	s_load_dwordx4 s[12:15], s[4:5], 0x20
	v_mul_lo_u32 v28, v17, s8
	v_mov_b32_e32 v27, 0
	v_mov_b32_e32 v29, 0x80
	;; [unrolled: 1-line block ×4, first 2 shown]
	s_branch .LBB162_10
.LBB162_8:                              ;   in Loop: Header=BB162_10 Depth=1
	s_or_b64 exec, exec, s[4:5]
.LBB162_9:                              ;   in Loop: Header=BB162_10 Depth=1
	s_cmp_eq_u32 s8, s25
	v_add_u32_e32 v31, s24, v31
	s_cbranch_scc1 .LBB162_25
.LBB162_10:                             ; =>This Inner Loop Header: Depth=1
	v_cmp_gt_f32_e64 s[2:3], v9, v8
	v_cndmask_b32_e64 v16, v8, v9, s[2:3]
	v_cndmask_b32_e64 v18, v0, v1, s[2:3]
	s_waitcnt lgkmcnt(0)
	v_cndmask_b32_e64 v19, 0, 1, s[2:3]
	v_cmp_gt_f32_e64 s[2:3], v10, v16
	v_cndmask_b32_e64 v16, v16, v10, s[2:3]
	v_cndmask_b32_e64 v18, v18, v2, s[2:3]
	v_cndmask_b32_e64 v19, v19, 2, s[2:3]
	v_cmp_gt_f32_e64 s[2:3], v11, v16
	v_cndmask_b32_e64 v16, v16, v11, s[2:3]
	v_cndmask_b32_e64 v18, v18, v3, s[2:3]
	v_cndmask_b32_e64 v19, v19, 3, s[2:3]
	v_cmp_gt_f32_e64 s[2:3], v12, v16
	v_cndmask_b32_e64 v16, v16, v12, s[2:3]
	v_cndmask_b32_e64 v18, v18, v4, s[2:3]
	v_cndmask_b32_e64 v19, v19, 4, s[2:3]
	v_cmp_gt_f32_e64 s[2:3], v13, v16
	v_cndmask_b32_e64 v16, v16, v13, s[2:3]
	v_cndmask_b32_e64 v18, v18, v5, s[2:3]
	v_cndmask_b32_e64 v19, v19, 5, s[2:3]
	v_cmp_gt_f32_e64 s[2:3], v14, v16
	v_cndmask_b32_e64 v16, v16, v14, s[2:3]
	v_cndmask_b32_e64 v18, v18, v6, s[2:3]
	v_cndmask_b32_e64 v19, v19, 6, s[2:3]
	v_cmp_gt_f32_e64 s[2:3], v15, v16
	v_cndmask_b32_e64 v19, v19, 7, s[2:3]
	v_cndmask_b32_e64 v16, v16, v15, s[2:3]
	v_or_b32_e32 v19, v26, v19
	ds_bpermute_b32 v20, v22, v16
	ds_bpermute_b32 v32, v22, v19
	v_cndmask_b32_e64 v18, v18, v7, s[2:3]
	ds_bpermute_b32 v34, v22, v18
	s_waitcnt lgkmcnt(0)
	v_cmp_eq_f32_e64 s[4:5], v16, v20
	v_cmp_lt_i32_e64 s[6:7], v32, v19
	v_cmp_lt_f32_e64 s[2:3], v16, v20
	s_and_b64 s[4:5], s[4:5], s[6:7]
	s_or_b64 s[2:3], s[2:3], s[4:5]
	v_cndmask_b32_e64 v33, v19, v32, s[2:3]
	v_cndmask_b32_e64 v32, v16, v20, s[2:3]
	;; [unrolled: 1-line block ×3, first 2 shown]
	ds_bpermute_b32 v35, v23, v32
	ds_bpermute_b32 v20, v23, v16
	;; [unrolled: 1-line block ×3, first 2 shown]
                                        ; implicit-def: $vgpr18_vgpr19
	s_waitcnt lgkmcnt(2)
	v_cmp_lt_f32_e64 s[6:7], v32, v35
	v_cmp_nlt_f32_e64 s[2:3], v32, v35
	s_and_saveexec_b64 s[22:23], s[2:3]
	s_cbranch_execz .LBB162_12
; %bb.11:                               ;   in Loop: Header=BB162_10 Depth=1
	v_cmp_eq_f32_e64 s[2:3], v32, v35
	s_waitcnt lgkmcnt(0)
	v_cmp_lt_i32_e64 s[4:5], v34, v33
	s_and_b64 s[2:3], s[2:3], s[4:5]
	s_andn2_b64 s[4:5], s[6:7], exec
	s_and_b64 s[2:3], s[2:3], exec
	s_or_b64 s[6:7], s[4:5], s[2:3]
	v_pk_mov_b32 v[18:19], v[16:17], v[16:17] op_sel:[0,1]
.LBB162_12:                             ;   in Loop: Header=BB162_10 Depth=1
	s_or_b64 exec, exec, s[22:23]
	s_and_saveexec_b64 s[2:3], s[6:7]
	s_cbranch_execz .LBB162_14
; %bb.13:                               ;   in Loop: Header=BB162_10 Depth=1
	v_mov_b32_e32 v32, v35
	s_waitcnt lgkmcnt(1)
	v_mov_b32_e32 v16, v20
	s_waitcnt lgkmcnt(0)
	v_mov_b32_e32 v33, v34
	v_pk_mov_b32 v[18:19], v[20:21], v[20:21] op_sel:[0,1]
.LBB162_14:                             ;   in Loop: Header=BB162_10 Depth=1
	s_or_b64 exec, exec, s[2:3]
	s_waitcnt lgkmcnt(0)
	ds_bpermute_b32 v34, v24, v32
	ds_bpermute_b32 v20, v24, v16
	;; [unrolled: 1-line block ×3, first 2 shown]
	s_waitcnt lgkmcnt(2)
	v_cmp_lt_f32_e64 s[6:7], v32, v34
	v_cmp_nlt_f32_e64 s[2:3], v32, v34
	s_and_saveexec_b64 s[22:23], s[2:3]
	s_cbranch_execz .LBB162_16
; %bb.15:                               ;   in Loop: Header=BB162_10 Depth=1
	v_cmp_eq_f32_e64 s[2:3], v32, v34
	s_waitcnt lgkmcnt(0)
	v_cmp_lt_i32_e64 s[4:5], v19, v33
	s_and_b64 s[2:3], s[2:3], s[4:5]
	s_andn2_b64 s[4:5], s[6:7], exec
	s_and_b64 s[2:3], s[2:3], exec
	s_or_b64 s[6:7], s[4:5], s[2:3]
.LBB162_16:                             ;   in Loop: Header=BB162_10 Depth=1
	s_or_b64 exec, exec, s[22:23]
	s_and_saveexec_b64 s[2:3], s[6:7]
	s_cbranch_execz .LBB162_18
; %bb.17:                               ;   in Loop: Header=BB162_10 Depth=1
	v_mov_b32_e32 v32, v34
	s_waitcnt lgkmcnt(1)
	v_mov_b32_e32 v16, v20
	s_waitcnt lgkmcnt(0)
	v_mov_b32_e32 v33, v19
	v_pk_mov_b32 v[18:19], v[20:21], v[20:21] op_sel:[0,1]
.LBB162_18:                             ;   in Loop: Header=BB162_10 Depth=1
	s_or_b64 exec, exec, s[2:3]
	s_waitcnt lgkmcnt(1)
	ds_bpermute_b32 v20, v25, v32
	ds_bpermute_b32 v34, v25, v33
	s_waitcnt lgkmcnt(2)
	ds_bpermute_b32 v19, v25, v16
	s_waitcnt lgkmcnt(2)
	v_cmp_eq_f32_e64 s[4:5], v32, v20
	s_waitcnt lgkmcnt(1)
	v_cmp_lt_i32_e64 s[6:7], v34, v33
	v_cmp_lt_f32_e64 s[2:3], v32, v20
	s_and_b64 s[4:5], s[4:5], s[6:7]
	s_or_b64 s[2:3], s[2:3], s[4:5]
	v_cndmask_b32_e64 v16, v33, v34, s[2:3]
	s_and_saveexec_b64 s[6:7], s[0:1]
	s_cbranch_execnz .LBB162_20
; %bb.19:                               ;   in Loop: Header=BB162_10 Depth=1
	s_or_b64 exec, exec, s[6:7]
	s_add_i32 s25, s25, 1
	s_cmp_ge_i32 s25, s8
	s_cbranch_scc1 .LBB162_9
	s_branch .LBB162_21
.LBB162_20:                             ;   in Loop: Header=BB162_10 Depth=1
	s_waitcnt lgkmcnt(0)
	v_cndmask_b32_e64 v20, v18, v19, s[2:3]
	v_add_u32_e32 v18, s25, v28
	v_ashrrev_i32_e32 v19, 31, v18
	v_cmp_le_i32_e64 s[2:3], s9, v16
	v_cmp_gt_i32_e64 s[4:5], s10, v16
	v_lshlrev_b64 v[18:19], 2, v[18:19]
	s_and_b64 s[4:5], s[2:3], s[4:5]
	v_mov_b32_e32 v33, s17
	v_add_co_u32_e64 v32, s[2:3], s16, v18
	v_addc_co_u32_e64 v33, s[2:3], v33, v19, s[2:3]
	global_store_dword v[32:33], v20, off
	v_subrev_u32_e32 v32, s9, v16
	s_and_b64 s[2:3], s[18:19], s[4:5]
	v_cndmask_b32_e64 v34, v29, v32, s[2:3]
	v_mov_b32_e32 v33, s13
	v_add_co_u32_e64 v32, s[2:3], s12, v18
	v_addc_co_u32_e64 v33, s[2:3], v33, v19, s[2:3]
	global_store_dword v[32:33], v34, off
	v_mov_b32_e32 v32, s15
	v_add_co_u32_e64 v18, s[2:3], s14, v18
	v_addc_co_u32_e64 v19, s[2:3], v32, v19, s[2:3]
	global_store_dword v[18:19], v31, off
	v_add_f32_e32 v18, v27, v20
	v_cndmask_b32_e32 v27, v27, v18, vcc
	s_or_b64 exec, exec, s[6:7]
	s_add_i32 s25, s25, 1
	s_cmp_ge_i32 s25, s8
	s_cbranch_scc1 .LBB162_9
.LBB162_21:                             ;   in Loop: Header=BB162_10 Depth=1
	s_waitcnt lgkmcnt(0)
	v_ashrrev_i32_e32 v19, 31, v16
	v_lshrrev_b32_e32 v18, 29, v19
	v_add_u32_e32 v18, v16, v18
	v_ashrrev_i32_e32 v18, 3, v18
	v_lshrrev_b32_e32 v20, 28, v18
	v_add_u32_e32 v20, v18, v20
	v_and_b32_e32 v20, -16, v20
	v_sub_u32_e32 v20, v18, v20
	v_cmp_eq_u32_e64 s[2:3], v21, v20
	s_and_saveexec_b64 s[4:5], s[2:3]
	s_cbranch_execz .LBB162_8
; %bb.22:                               ;   in Loop: Header=BB162_10 Depth=1
	v_lshrrev_b32_e32 v19, 25, v19
	v_add_u32_e32 v19, v16, v19
	v_lshlrev_b32_e32 v18, 3, v18
	v_ashrrev_i32_e32 v19, 7, v19
	v_sub_u32_e32 v16, v16, v18
	v_lshl_add_u32 v16, v19, 3, v16
	v_cmp_ne_u32_e64 s[2:3], 7, v16
	v_cndmask_b32_e64 v15, v30, v15, s[2:3]
	v_cmp_ne_u32_e64 s[2:3], 6, v16
	v_cndmask_b32_e64 v14, v30, v14, s[2:3]
	;; [unrolled: 2-line block ×8, first 2 shown]
	s_branch .LBB162_8
.LBB162_23:
                                        ; implicit-def: $vgpr8_vgpr9_vgpr10_vgpr11_vgpr12_vgpr13_vgpr14_vgpr15
	s_andn2_b64 vcc, exec, s[6:7]
	s_cbranch_vccz .LBB162_5
	s_branch .LBB162_6
.LBB162_24:
	v_mov_b32_e32 v27, 0
.LBB162_25:
	v_cmp_eq_u32_e64 s[0:1], 0, v21
	s_and_b64 s[0:1], s[0:1], vcc
	s_and_b64 exec, exec, s[0:1]
	s_cbranch_execz .LBB162_34
; %bb.26:
	s_andn2_b64 vcc, exec, s[20:21]
	s_cbranch_vccnz .LBB162_34
; %bb.27:
	v_cmp_lt_f32_e32 vcc, 0, v27
	s_mov_b32 s2, 0
	v_cndmask_b32_e32 v0, 1.0, v27, vcc
	v_mul_lo_u32 v4, v17, s8
	s_cmp_eq_u32 s8, 1
	s_mov_b64 s[0:1], -1
	s_cbranch_scc1 .LBB162_31
; %bb.28:
	s_and_b32 s2, s8, 0x7ffffffe
	v_mov_b32_e32 v1, v0
	v_mov_b32_e32 v5, s17
	s_mov_b32 s3, s2
	v_mov_b32_e32 v2, v4
.LBB162_29:                             ; =>This Inner Loop Header: Depth=1
	v_ashrrev_i32_e32 v3, 31, v2
	v_lshlrev_b64 v[6:7], 2, v[2:3]
	v_add_co_u32_e32 v6, vcc, s16, v6
	v_addc_co_u32_e32 v7, vcc, v5, v7, vcc
	global_load_dwordx2 v[8:9], v[6:7], off
	s_add_i32 s3, s3, -2
	s_cmp_lg_u32 s3, 0
	v_add_u32_e32 v2, 2, v2
	s_waitcnt vmcnt(0)
	v_div_scale_f32 v3, s[0:1], v1, v1, v9
	v_div_scale_f32 v11, s[0:1], v0, v0, v8
	v_rcp_f32_e32 v12, v3
	v_rcp_f32_e32 v13, v11
	v_div_scale_f32 v10, vcc, v9, v1, v9
	v_fma_f32 v15, -v3, v12, 1.0
	v_fma_f32 v16, -v11, v13, 1.0
	v_fmac_f32_e32 v12, v15, v12
	v_div_scale_f32 v14, s[0:1], v8, v0, v8
	v_fmac_f32_e32 v13, v16, v13
	v_mul_f32_e32 v15, v10, v12
	v_mul_f32_e32 v16, v14, v13
	v_fma_f32 v17, -v3, v15, v10
	v_fma_f32 v18, -v11, v16, v14
	v_fmac_f32_e32 v15, v17, v12
	v_fmac_f32_e32 v16, v18, v13
	v_fma_f32 v3, -v3, v15, v10
	v_fma_f32 v10, -v11, v16, v14
	v_div_fmas_f32 v3, v3, v12, v15
	s_mov_b64 vcc, s[0:1]
	v_div_fixup_f32 v9, v3, v1, v9
	v_div_fmas_f32 v3, v10, v13, v16
	v_div_fixup_f32 v8, v3, v0, v8
	global_store_dwordx2 v[6:7], v[8:9], off
	s_cbranch_scc1 .LBB162_29
; %bb.30:
	s_cmp_lg_u32 s2, s8
	s_cselect_b64 s[0:1], -1, 0
.LBB162_31:
	s_and_b64 vcc, exec, s[0:1]
	s_cbranch_vccz .LBB162_34
; %bb.32:
	v_ashrrev_i32_e32 v1, 31, v4
	v_add_co_u32_e32 v2, vcc, s2, v4
	v_addc_co_u32_e32 v3, vcc, 0, v1, vcc
	v_lshlrev_b64 v[2:3], 2, v[2:3]
	v_mov_b32_e32 v1, s17
	v_add_co_u32_e32 v2, vcc, s16, v2
	s_sub_i32 s0, s8, s2
	v_addc_co_u32_e32 v3, vcc, v1, v3, vcc
.LBB162_33:                             ; =>This Inner Loop Header: Depth=1
	global_load_dword v1, v[2:3], off
	s_add_i32 s0, s0, -1
	s_cmp_lg_u32 s0, 0
	s_waitcnt vmcnt(0)
	v_div_scale_f32 v4, s[2:3], v0, v0, v1
	v_rcp_f32_e32 v5, v4
	v_div_scale_f32 v6, vcc, v1, v0, v1
	v_fma_f32 v7, -v4, v5, 1.0
	v_fmac_f32_e32 v5, v7, v5
	v_mul_f32_e32 v7, v6, v5
	v_fma_f32 v8, -v4, v7, v6
	v_fmac_f32_e32 v7, v8, v5
	v_fma_f32 v4, -v4, v7, v6
	v_div_fmas_f32 v4, v4, v5, v7
	v_div_fixup_f32 v1, v4, v0, v1
	global_store_dword v[2:3], v1, off
	v_add_co_u32_e32 v2, vcc, 4, v2
	v_addc_co_u32_e32 v3, vcc, 0, v3, vcc
	s_cbranch_scc1 .LBB162_33
.LBB162_34:
	s_endpgm
	.section	.rodata,"a",@progbits
	.p2align	6, 0x0
	.amdhsa_kernel _ZN4vllm3moe10topkGatingILi8ELi128ELi4ELi16ELi64Ej14__hip_bfloat16LNS0_11ScoringFuncE0EEEvPKT5_PKbPfiPT4_PiiiibPKf
		.amdhsa_group_segment_fixed_size 0
		.amdhsa_private_segment_fixed_size 0
		.amdhsa_kernarg_size 72
		.amdhsa_user_sgpr_count 6
		.amdhsa_user_sgpr_private_segment_buffer 1
		.amdhsa_user_sgpr_dispatch_ptr 0
		.amdhsa_user_sgpr_queue_ptr 0
		.amdhsa_user_sgpr_kernarg_segment_ptr 1
		.amdhsa_user_sgpr_dispatch_id 0
		.amdhsa_user_sgpr_flat_scratch_init 0
		.amdhsa_user_sgpr_kernarg_preload_length 0
		.amdhsa_user_sgpr_kernarg_preload_offset 0
		.amdhsa_user_sgpr_private_segment_size 0
		.amdhsa_uses_dynamic_stack 0
		.amdhsa_system_sgpr_private_segment_wavefront_offset 0
		.amdhsa_system_sgpr_workgroup_id_x 1
		.amdhsa_system_sgpr_workgroup_id_y 0
		.amdhsa_system_sgpr_workgroup_id_z 0
		.amdhsa_system_sgpr_workgroup_info 0
		.amdhsa_system_vgpr_workitem_id 1
		.amdhsa_next_free_vgpr 36
		.amdhsa_next_free_sgpr 26
		.amdhsa_accum_offset 36
		.amdhsa_reserve_vcc 1
		.amdhsa_reserve_flat_scratch 0
		.amdhsa_float_round_mode_32 0
		.amdhsa_float_round_mode_16_64 0
		.amdhsa_float_denorm_mode_32 3
		.amdhsa_float_denorm_mode_16_64 3
		.amdhsa_dx10_clamp 1
		.amdhsa_ieee_mode 1
		.amdhsa_fp16_overflow 0
		.amdhsa_tg_split 0
		.amdhsa_exception_fp_ieee_invalid_op 0
		.amdhsa_exception_fp_denorm_src 0
		.amdhsa_exception_fp_ieee_div_zero 0
		.amdhsa_exception_fp_ieee_overflow 0
		.amdhsa_exception_fp_ieee_underflow 0
		.amdhsa_exception_fp_ieee_inexact 0
		.amdhsa_exception_int_div_zero 0
	.end_amdhsa_kernel
	.section	.text._ZN4vllm3moe10topkGatingILi8ELi128ELi4ELi16ELi64Ej14__hip_bfloat16LNS0_11ScoringFuncE0EEEvPKT5_PKbPfiPT4_PiiiibPKf,"axG",@progbits,_ZN4vllm3moe10topkGatingILi8ELi128ELi4ELi16ELi64Ej14__hip_bfloat16LNS0_11ScoringFuncE0EEEvPKT5_PKbPfiPT4_PiiiibPKf,comdat
.Lfunc_end162:
	.size	_ZN4vllm3moe10topkGatingILi8ELi128ELi4ELi16ELi64Ej14__hip_bfloat16LNS0_11ScoringFuncE0EEEvPKT5_PKbPfiPT4_PiiiibPKf, .Lfunc_end162-_ZN4vllm3moe10topkGatingILi8ELi128ELi4ELi16ELi64Ej14__hip_bfloat16LNS0_11ScoringFuncE0EEEvPKT5_PKbPfiPT4_PiiiibPKf
                                        ; -- End function
	.section	.AMDGPU.csdata,"",@progbits
; Kernel info:
; codeLenInByte = 3148
; NumSgprs: 30
; NumVgprs: 36
; NumAgprs: 0
; TotalNumVgprs: 36
; ScratchSize: 0
; MemoryBound: 0
; FloatMode: 240
; IeeeMode: 1
; LDSByteSize: 0 bytes/workgroup (compile time only)
; SGPRBlocks: 3
; VGPRBlocks: 4
; NumSGPRsForWavesPerEU: 30
; NumVGPRsForWavesPerEU: 36
; AccumOffset: 36
; Occupancy: 8
; WaveLimiterHint : 0
; COMPUTE_PGM_RSRC2:SCRATCH_EN: 0
; COMPUTE_PGM_RSRC2:USER_SGPR: 6
; COMPUTE_PGM_RSRC2:TRAP_HANDLER: 0
; COMPUTE_PGM_RSRC2:TGID_X_EN: 1
; COMPUTE_PGM_RSRC2:TGID_Y_EN: 0
; COMPUTE_PGM_RSRC2:TGID_Z_EN: 0
; COMPUTE_PGM_RSRC2:TIDIG_COMP_CNT: 1
; COMPUTE_PGM_RSRC3_GFX90A:ACCUM_OFFSET: 8
; COMPUTE_PGM_RSRC3_GFX90A:TG_SPLIT: 0
	.section	.text._ZN4vllm3moe10topkGatingILi8ELi128ELi4ELi16ELi32Ej14__hip_bfloat16LNS0_11ScoringFuncE0EEEvPKT5_PKbPfiPT4_PiiiibPKf,"axG",@progbits,_ZN4vllm3moe10topkGatingILi8ELi128ELi4ELi16ELi32Ej14__hip_bfloat16LNS0_11ScoringFuncE0EEEvPKT5_PKbPfiPT4_PiiiibPKf,comdat
	.protected	_ZN4vllm3moe10topkGatingILi8ELi128ELi4ELi16ELi32Ej14__hip_bfloat16LNS0_11ScoringFuncE0EEEvPKT5_PKbPfiPT4_PiiiibPKf ; -- Begin function _ZN4vllm3moe10topkGatingILi8ELi128ELi4ELi16ELi32Ej14__hip_bfloat16LNS0_11ScoringFuncE0EEEvPKT5_PKbPfiPT4_PiiiibPKf
	.globl	_ZN4vllm3moe10topkGatingILi8ELi128ELi4ELi16ELi32Ej14__hip_bfloat16LNS0_11ScoringFuncE0EEEvPKT5_PKbPfiPT4_PiiiibPKf
	.p2align	8
	.type	_ZN4vllm3moe10topkGatingILi8ELi128ELi4ELi16ELi32Ej14__hip_bfloat16LNS0_11ScoringFuncE0EEEvPKT5_PKbPfiPT4_PiiiibPKf,@function
_ZN4vllm3moe10topkGatingILi8ELi128ELi4ELi16ELi32Ej14__hip_bfloat16LNS0_11ScoringFuncE0EEEvPKT5_PKbPfiPT4_PiiiibPKf: ; @_ZN4vllm3moe10topkGatingILi8ELi128ELi4ELi16ELi32Ej14__hip_bfloat16LNS0_11ScoringFuncE0EEEvPKT5_PKbPfiPT4_PiiiibPKf
; %bb.0:
	s_load_dword s24, s[4:5], 0x18
	v_bfe_u32 v1, v0, 10, 10
	v_and_b32_e32 v0, 0x3ff, v0
	s_lshl_b32 s0, s6, 3
	v_lshlrev_b32_e32 v1, 1, v1
	v_lshrrev_b32_e32 v2, 4, v0
	v_add3_u32 v17, s0, v1, v2
	s_waitcnt lgkmcnt(0)
	v_cmp_gt_i32_e32 vcc, s24, v17
	s_and_saveexec_b64 s[0:1], vcc
	s_cbranch_execz .LBB163_34
; %bb.1:
	s_load_dwordx4 s[0:3], s[4:5], 0x0
	s_load_dwordx2 s[16:17], s[4:5], 0x10
	s_mov_b64 s[6:7], -1
	s_mov_b64 s[18:19], -1
	s_waitcnt lgkmcnt(0)
	s_cmp_eq_u64 s[2:3], 0
	s_cbranch_scc1 .LBB163_3
; %bb.2:
	v_ashrrev_i32_e32 v1, 31, v17
	v_mov_b32_e32 v3, s3
	v_add_co_u32_e32 v2, vcc, s2, v17
	v_addc_co_u32_e32 v3, vcc, v3, v1, vcc
	global_load_ubyte v1, v[2:3], off
	s_waitcnt vmcnt(0)
	v_and_b32_e32 v1, 1, v1
	v_cmp_eq_u32_e32 vcc, 1, v1
	s_xor_b64 s[2:3], vcc, -1
	s_orn2_b64 s[18:19], s[2:3], exec
.LBB163_3:
	v_lshlrev_b32_e32 v2, 7, v17
	v_ashrrev_i32_e32 v3, 31, v2
	v_lshlrev_b64 v[2:3], 1, v[2:3]
	v_mov_b32_e32 v1, s1
	v_add_co_u32_e32 v2, vcc, s0, v2
	v_and_b32_e32 v21, 15, v0
	v_addc_co_u32_e32 v1, vcc, v1, v3, vcc
	v_lshlrev_b32_e32 v0, 4, v21
	v_add_co_u32_e32 v0, vcc, v2, v0
	v_addc_co_u32_e32 v1, vcc, 0, v1, vcc
	global_load_dwordx4 v[0:3], v[0:1], off
	v_mbcnt_lo_u32_b32 v4, -1, 0
	v_mbcnt_hi_u32_b32 v4, -1, v4
	v_and_b32_e32 v5, 0x70, v4
	v_xor_b32_e32 v6, 8, v4
	v_add_u32_e32 v5, 16, v5
	v_cmp_lt_i32_e32 vcc, v6, v5
	v_cndmask_b32_e32 v6, v4, v6, vcc
	v_lshlrev_b32_e32 v22, 2, v6
	v_xor_b32_e32 v12, 4, v4
	v_cmp_lt_i32_e32 vcc, v12, v5
	v_cndmask_b32_e32 v12, v4, v12, vcc
	v_lshlrev_b32_e32 v23, 2, v12
	v_xor_b32_e32 v12, 2, v4
	v_cmp_lt_i32_e32 vcc, v12, v5
	v_cndmask_b32_e32 v12, v4, v12, vcc
	v_lshlrev_b32_e32 v24, 2, v12
	v_xor_b32_e32 v12, 1, v4
	v_cmp_lt_i32_e32 vcc, v12, v5
	v_cndmask_b32_e32 v4, v4, v12, vcc
	v_lshlrev_b32_e32 v25, 2, v4
	s_mov_b32 s0, 0x3fb8aa3b
	s_mov_b32 s1, 0xc2ce8ed0
	;; [unrolled: 1-line block ×3, first 2 shown]
	s_waitcnt vmcnt(0)
	v_lshlrev_b32_e32 v6, 16, v0
	v_and_b32_e32 v7, 0xffff0000, v0
	v_max_f32_e32 v10, v7, v7
	v_max_f32_e32 v11, v6, v6
	v_lshlrev_b32_e32 v8, 16, v1
	v_and_b32_e32 v0, 0xffff0000, v1
	v_max_f32_e32 v10, v11, v10
	v_lshlrev_b32_e32 v1, 16, v2
	v_and_b32_e32 v2, 0xffff0000, v2
	v_max3_f32 v10, v10, v8, v0
	v_and_b32_e32 v9, 0xffff0000, v3
	v_lshlrev_b32_e32 v3, 16, v3
	v_max3_f32 v10, v10, v1, v2
	v_max3_f32 v10, v10, v3, v9
	ds_bpermute_b32 v11, v22, v10
	s_waitcnt lgkmcnt(0)
	v_max_f32_e32 v11, v11, v11
	v_max_f32_e32 v10, v10, v11
	ds_bpermute_b32 v11, v23, v10
	s_waitcnt lgkmcnt(0)
	v_max_f32_e32 v11, v11, v11
	v_max_f32_e32 v10, v10, v11
	;; [unrolled: 4-line block ×3, first 2 shown]
	ds_bpermute_b32 v5, v25, v4
	v_mov_b32_e32 v10, 0x7f800000
	s_waitcnt lgkmcnt(0)
	v_max_f32_e32 v5, v5, v5
	v_max_f32_e32 v4, v4, v5
	v_sub_f32_e32 v5, v6, v4
	v_sub_f32_e32 v6, v7, v4
	;; [unrolled: 1-line block ×3, first 2 shown]
	v_mul_f32_e32 v8, 0x3fb8aa3b, v5
	v_mul_f32_e32 v11, 0x3fb8aa3b, v6
	v_fma_f32 v15, v5, s0, -v8
	v_rndne_f32_e32 v16, v8
	v_pk_add_f32 v[0:1], v[0:1], v[4:5] op_sel_hi:[1,0] neg_lo:[0,1] neg_hi:[0,1]
	v_mul_f32_e32 v12, 0x3fb8aa3b, v7
	v_fma_f32 v18, v6, s0, -v11
	v_rndne_f32_e32 v19, v11
	v_fmac_f32_e32 v15, 0x32a5705f, v5
	v_sub_f32_e32 v8, v8, v16
	v_mul_f32_e32 v13, 0x3fb8aa3b, v1
	v_fma_f32 v20, v7, s0, -v12
	v_rndne_f32_e32 v26, v12
	v_fmac_f32_e32 v18, 0x32a5705f, v6
	v_sub_f32_e32 v11, v11, v19
	v_add_f32_e32 v8, v8, v15
	v_fma_f32 v27, v1, s0, -v13
	v_rndne_f32_e32 v28, v13
	v_cvt_i32_f32_e32 v16, v16
	v_fmac_f32_e32 v20, 0x32a5705f, v7
	v_sub_f32_e32 v12, v12, v26
	v_add_f32_e32 v11, v11, v18
	v_exp_f32_e32 v8, v8
	v_cvt_i32_f32_e32 v19, v19
	v_fmac_f32_e32 v27, 0x32a5705f, v1
	v_sub_f32_e32 v13, v13, v28
	v_add_f32_e32 v12, v12, v20
	v_exp_f32_e32 v11, v11
	v_cvt_i32_f32_e32 v26, v26
	v_add_f32_e32 v13, v13, v27
	v_exp_f32_e32 v12, v12
	v_cvt_i32_f32_e32 v28, v28
	v_exp_f32_e32 v13, v13
	v_mul_f32_e32 v14, 0x3fb8aa3b, v0
	v_ldexp_f32 v8, v8, v16
	v_cmp_ngt_f32_e32 vcc, s1, v5
	v_fma_f32 v29, v0, s0, -v14
	v_rndne_f32_e32 v30, v14
	v_ldexp_f32 v11, v11, v19
	v_cndmask_b32_e32 v8, 0, v8, vcc
	v_cmp_ngt_f32_e32 vcc, s1, v6
	v_fmac_f32_e32 v29, 0x32a5705f, v0
	v_sub_f32_e32 v14, v14, v30
	v_ldexp_f32 v12, v12, v26
	v_cndmask_b32_e32 v11, 0, v11, vcc
	v_cmp_ngt_f32_e32 vcc, s1, v7
	v_add_f32_e32 v14, v14, v29
	v_ldexp_f32 v13, v13, v28
	v_cndmask_b32_e32 v12, 0, v12, vcc
	v_cmp_ngt_f32_e32 vcc, s1, v1
	v_cvt_i32_f32_e32 v30, v30
	v_exp_f32_e32 v14, v14
	v_cndmask_b32_e32 v13, 0, v13, vcc
	v_cmp_nlt_f32_e32 vcc, s2, v5
	v_cndmask_b32_e32 v5, v10, v8, vcc
	v_cmp_nlt_f32_e32 vcc, s2, v6
	;; [unrolled: 2-line block ×4, first 2 shown]
	v_pk_add_f32 v[2:3], v[2:3], v[4:5] op_sel_hi:[1,0] neg_lo:[0,1] neg_hi:[0,1]
	v_ldexp_f32 v14, v14, v30
	v_cndmask_b32_e32 v1, v10, v13, vcc
	v_cmp_ngt_f32_e32 vcc, s1, v0
	v_mul_f32_e32 v12, 0x3fb8aa3b, v3
	v_cndmask_b32_e32 v11, 0, v14, vcc
	v_fma_f32 v13, v3, s0, -v12
	v_rndne_f32_e32 v14, v12
	v_fmac_f32_e32 v13, 0x32a5705f, v3
	v_sub_f32_e32 v12, v12, v14
	v_add_f32_e32 v12, v12, v13
	v_exp_f32_e32 v12, v12
	v_cvt_i32_f32_e32 v13, v14
	v_cmp_nlt_f32_e32 vcc, s2, v0
	v_cndmask_b32_e32 v0, v10, v11, vcc
	v_cmp_ngt_f32_e32 vcc, s1, v3
	v_ldexp_f32 v11, v12, v13
	v_mul_f32_e32 v12, 0x3fb8aa3b, v2
	v_fma_f32 v13, v2, s0, -v12
	v_rndne_f32_e32 v14, v12
	v_fmac_f32_e32 v13, 0x32a5705f, v2
	v_sub_f32_e32 v12, v12, v14
	v_add_f32_e32 v12, v12, v13
	v_exp_f32_e32 v12, v12
	v_cvt_i32_f32_e32 v13, v14
	v_sub_f32_e32 v4, v9, v4
	v_cndmask_b32_e32 v11, 0, v11, vcc
	v_cmp_nlt_f32_e32 vcc, s2, v3
	v_mul_f32_e32 v9, 0x3fb8aa3b, v4
	v_cndmask_b32_e32 v3, v10, v11, vcc
	v_ldexp_f32 v11, v12, v13
	v_fma_f32 v12, v4, s0, -v9
	v_rndne_f32_e32 v13, v9
	v_fmac_f32_e32 v12, 0x32a5705f, v4
	v_sub_f32_e32 v9, v9, v13
	v_add_f32_e32 v9, v9, v12
	v_exp_f32_e32 v9, v9
	v_cvt_i32_f32_e32 v12, v13
	v_add_f32_e32 v8, v5, v6
	v_add_f32_e32 v8, v8, v7
	v_cmp_ngt_f32_e32 vcc, s1, v2
	v_add_f32_e32 v8, v8, v0
	v_cndmask_b32_e32 v11, 0, v11, vcc
	v_cmp_nlt_f32_e32 vcc, s2, v2
	v_add_f32_e32 v8, v8, v1
	v_cndmask_b32_e32 v2, v10, v11, vcc
	v_ldexp_f32 v9, v9, v12
	v_cmp_ngt_f32_e32 vcc, s1, v4
	v_add_f32_e32 v8, v8, v2
	v_cndmask_b32_e32 v9, 0, v9, vcc
	v_cmp_nlt_f32_e32 vcc, s2, v4
	v_add_f32_e32 v8, v8, v3
	v_cndmask_b32_e32 v10, v10, v9, vcc
	v_add_f32_e32 v4, v8, v10
	ds_bpermute_b32 v8, v22, v4
	s_movk_i32 s2, 0x1f8
	v_lshlrev_b32_e32 v26, 3, v21
	s_waitcnt lgkmcnt(0)
	v_add_f32_e32 v4, v4, v8
	ds_bpermute_b32 v8, v23, v4
	s_waitcnt lgkmcnt(0)
	v_add_f32_e32 v4, v4, v8
	ds_bpermute_b32 v8, v24, v4
	;; [unrolled: 3-line block ×3, first 2 shown]
	s_waitcnt lgkmcnt(0)
	v_add_f32_e32 v4, v4, v8
	v_div_scale_f32 v8, s[0:1], v4, v4, 1.0
	v_rcp_f32_e32 v9, v8
	s_load_dwordx2 s[0:1], s[4:5], 0x40
	v_fma_f32 v11, -v8, v9, 1.0
	v_fmac_f32_e32 v9, v11, v9
	v_div_scale_f32 v11, vcc, 1.0, v4, 1.0
	v_mul_f32_e32 v12, v11, v9
	v_fma_f32 v13, -v8, v12, v11
	v_fmac_f32_e32 v12, v13, v9
	v_fma_f32 v8, -v8, v12, v11
	v_div_fmas_f32 v8, v8, v9, v12
	v_div_fixup_f32 v4, v8, v4, 1.0
	v_mul_f32_e32 v5, v4, v5
	v_mul_f32_e32 v11, v4, v6
	v_cmp_class_f32_e64 vcc, v5, s2
	v_mul_f32_e32 v12, v4, v7
	v_pk_mul_f32 v[6:7], v[4:5], v[0:1] op_sel_hi:[0,1]
	v_cndmask_b32_e32 v0, 0, v5, vcc
	v_cmp_class_f32_e64 vcc, v11, s2
	v_pk_mul_f32 v[8:9], v[4:5], v[2:3] op_sel_hi:[0,1]
	v_cndmask_b32_e32 v1, 0, v11, vcc
	v_cmp_class_f32_e64 vcc, v12, s2
	v_mov_b32_e32 v5, 0x207
	v_cndmask_b32_e32 v2, 0, v12, vcc
	v_cmp_class_f32_e32 vcc, v7, v5
	v_mul_f32_e32 v10, v4, v10
	v_cndmask_b32_e64 v4, v7, 0, vcc
	v_cmp_class_f32_e32 vcc, v6, v5
	v_cndmask_b32_e64 v3, v6, 0, vcc
	v_cmp_class_f32_e32 vcc, v9, v5
	;; [unrolled: 2-line block ×3, first 2 shown]
	v_cndmask_b32_e64 v5, v8, 0, vcc
	v_cmp_class_f32_e64 vcc, v10, s2
	s_waitcnt lgkmcnt(0)
	s_cmp_eq_u64 s[0:1], 0
	v_cndmask_b32_e32 v7, 0, v10, vcc
	s_cbranch_scc1 .LBB163_23
; %bb.4:
	v_lshlrev_b32_e32 v16, 2, v26
	global_load_dwordx4 v[8:11], v16, s[0:1]
	global_load_dwordx4 v[12:15], v16, s[0:1] offset:16
	s_waitcnt vmcnt(1)
	v_pk_add_f32 v[8:9], v[8:9], v[0:1]
	v_pk_add_f32 v[10:11], v[10:11], v[2:3]
	s_waitcnt vmcnt(0)
	v_pk_add_f32 v[12:13], v[12:13], v[4:5]
	v_pk_add_f32 v[14:15], v[14:15], v[6:7]
	s_cbranch_execnz .LBB163_6
.LBB163_5:
	v_pk_mov_b32 v[14:15], v[6:7], v[6:7] op_sel:[0,1]
	v_pk_mov_b32 v[12:13], v[4:5], v[4:5] op_sel:[0,1]
	;; [unrolled: 1-line block ×4, first 2 shown]
.LBB163_6:
	s_load_dwordx4 s[8:11], s[4:5], 0x30
	s_mov_b32 s25, 0
	v_cmp_eq_u32_e64 s[0:1], 0, v21
	s_waitcnt lgkmcnt(0)
	s_bitcmp1_b32 s11, 0
	s_cselect_b64 vcc, -1, 0
	s_cmp_gt_i32 s8, 0
	s_cselect_b64 s[20:21], -1, 0
	s_cmp_lt_i32 s8, 1
	s_cbranch_scc1 .LBB163_24
; %bb.7:
	s_load_dwordx4 s[12:15], s[4:5], 0x20
	v_mul_lo_u32 v28, v17, s8
	v_mov_b32_e32 v27, 0
	v_mov_b32_e32 v29, 0x80
	;; [unrolled: 1-line block ×4, first 2 shown]
	s_branch .LBB163_10
.LBB163_8:                              ;   in Loop: Header=BB163_10 Depth=1
	s_or_b64 exec, exec, s[4:5]
.LBB163_9:                              ;   in Loop: Header=BB163_10 Depth=1
	s_cmp_eq_u32 s8, s25
	v_add_u32_e32 v31, s24, v31
	s_cbranch_scc1 .LBB163_25
.LBB163_10:                             ; =>This Inner Loop Header: Depth=1
	v_cmp_gt_f32_e64 s[2:3], v9, v8
	v_cndmask_b32_e64 v16, v8, v9, s[2:3]
	v_cndmask_b32_e64 v18, v0, v1, s[2:3]
	s_waitcnt lgkmcnt(0)
	v_cndmask_b32_e64 v19, 0, 1, s[2:3]
	v_cmp_gt_f32_e64 s[2:3], v10, v16
	v_cndmask_b32_e64 v16, v16, v10, s[2:3]
	v_cndmask_b32_e64 v18, v18, v2, s[2:3]
	v_cndmask_b32_e64 v19, v19, 2, s[2:3]
	v_cmp_gt_f32_e64 s[2:3], v11, v16
	v_cndmask_b32_e64 v16, v16, v11, s[2:3]
	v_cndmask_b32_e64 v18, v18, v3, s[2:3]
	;; [unrolled: 4-line block ×6, first 2 shown]
	v_or_b32_e32 v19, v26, v19
	ds_bpermute_b32 v20, v22, v16
	ds_bpermute_b32 v32, v22, v19
	v_cndmask_b32_e64 v18, v18, v7, s[2:3]
	ds_bpermute_b32 v34, v22, v18
	s_waitcnt lgkmcnt(0)
	v_cmp_eq_f32_e64 s[4:5], v16, v20
	v_cmp_lt_i32_e64 s[6:7], v32, v19
	v_cmp_lt_f32_e64 s[2:3], v16, v20
	s_and_b64 s[4:5], s[4:5], s[6:7]
	s_or_b64 s[2:3], s[2:3], s[4:5]
	v_cndmask_b32_e64 v33, v19, v32, s[2:3]
	v_cndmask_b32_e64 v32, v16, v20, s[2:3]
	;; [unrolled: 1-line block ×3, first 2 shown]
	ds_bpermute_b32 v35, v23, v32
	ds_bpermute_b32 v20, v23, v16
	;; [unrolled: 1-line block ×3, first 2 shown]
                                        ; implicit-def: $vgpr18_vgpr19
	s_waitcnt lgkmcnt(2)
	v_cmp_lt_f32_e64 s[6:7], v32, v35
	v_cmp_nlt_f32_e64 s[2:3], v32, v35
	s_and_saveexec_b64 s[22:23], s[2:3]
	s_cbranch_execz .LBB163_12
; %bb.11:                               ;   in Loop: Header=BB163_10 Depth=1
	v_cmp_eq_f32_e64 s[2:3], v32, v35
	s_waitcnt lgkmcnt(0)
	v_cmp_lt_i32_e64 s[4:5], v34, v33
	s_and_b64 s[2:3], s[2:3], s[4:5]
	s_andn2_b64 s[4:5], s[6:7], exec
	s_and_b64 s[2:3], s[2:3], exec
	s_or_b64 s[6:7], s[4:5], s[2:3]
	v_pk_mov_b32 v[18:19], v[16:17], v[16:17] op_sel:[0,1]
.LBB163_12:                             ;   in Loop: Header=BB163_10 Depth=1
	s_or_b64 exec, exec, s[22:23]
	s_and_saveexec_b64 s[2:3], s[6:7]
	s_cbranch_execz .LBB163_14
; %bb.13:                               ;   in Loop: Header=BB163_10 Depth=1
	v_mov_b32_e32 v32, v35
	s_waitcnt lgkmcnt(1)
	v_mov_b32_e32 v16, v20
	s_waitcnt lgkmcnt(0)
	v_mov_b32_e32 v33, v34
	v_pk_mov_b32 v[18:19], v[20:21], v[20:21] op_sel:[0,1]
.LBB163_14:                             ;   in Loop: Header=BB163_10 Depth=1
	s_or_b64 exec, exec, s[2:3]
	s_waitcnt lgkmcnt(0)
	ds_bpermute_b32 v34, v24, v32
	ds_bpermute_b32 v20, v24, v16
	;; [unrolled: 1-line block ×3, first 2 shown]
	s_waitcnt lgkmcnt(2)
	v_cmp_lt_f32_e64 s[6:7], v32, v34
	v_cmp_nlt_f32_e64 s[2:3], v32, v34
	s_and_saveexec_b64 s[22:23], s[2:3]
	s_cbranch_execz .LBB163_16
; %bb.15:                               ;   in Loop: Header=BB163_10 Depth=1
	v_cmp_eq_f32_e64 s[2:3], v32, v34
	s_waitcnt lgkmcnt(0)
	v_cmp_lt_i32_e64 s[4:5], v19, v33
	s_and_b64 s[2:3], s[2:3], s[4:5]
	s_andn2_b64 s[4:5], s[6:7], exec
	s_and_b64 s[2:3], s[2:3], exec
	s_or_b64 s[6:7], s[4:5], s[2:3]
.LBB163_16:                             ;   in Loop: Header=BB163_10 Depth=1
	s_or_b64 exec, exec, s[22:23]
	s_and_saveexec_b64 s[2:3], s[6:7]
	s_cbranch_execz .LBB163_18
; %bb.17:                               ;   in Loop: Header=BB163_10 Depth=1
	v_mov_b32_e32 v32, v34
	s_waitcnt lgkmcnt(1)
	v_mov_b32_e32 v16, v20
	s_waitcnt lgkmcnt(0)
	v_mov_b32_e32 v33, v19
	v_pk_mov_b32 v[18:19], v[20:21], v[20:21] op_sel:[0,1]
.LBB163_18:                             ;   in Loop: Header=BB163_10 Depth=1
	s_or_b64 exec, exec, s[2:3]
	s_waitcnt lgkmcnt(1)
	ds_bpermute_b32 v20, v25, v32
	ds_bpermute_b32 v34, v25, v33
	s_waitcnt lgkmcnt(2)
	ds_bpermute_b32 v19, v25, v16
	s_waitcnt lgkmcnt(2)
	v_cmp_eq_f32_e64 s[4:5], v32, v20
	s_waitcnt lgkmcnt(1)
	v_cmp_lt_i32_e64 s[6:7], v34, v33
	v_cmp_lt_f32_e64 s[2:3], v32, v20
	s_and_b64 s[4:5], s[4:5], s[6:7]
	s_or_b64 s[2:3], s[2:3], s[4:5]
	v_cndmask_b32_e64 v16, v33, v34, s[2:3]
	s_and_saveexec_b64 s[6:7], s[0:1]
	s_cbranch_execnz .LBB163_20
; %bb.19:                               ;   in Loop: Header=BB163_10 Depth=1
	s_or_b64 exec, exec, s[6:7]
	s_add_i32 s25, s25, 1
	s_cmp_ge_i32 s25, s8
	s_cbranch_scc1 .LBB163_9
	s_branch .LBB163_21
.LBB163_20:                             ;   in Loop: Header=BB163_10 Depth=1
	s_waitcnt lgkmcnt(0)
	v_cndmask_b32_e64 v20, v18, v19, s[2:3]
	v_add_u32_e32 v18, s25, v28
	v_ashrrev_i32_e32 v19, 31, v18
	v_cmp_le_i32_e64 s[2:3], s9, v16
	v_cmp_gt_i32_e64 s[4:5], s10, v16
	v_lshlrev_b64 v[18:19], 2, v[18:19]
	s_and_b64 s[4:5], s[2:3], s[4:5]
	v_mov_b32_e32 v33, s17
	v_add_co_u32_e64 v32, s[2:3], s16, v18
	v_addc_co_u32_e64 v33, s[2:3], v33, v19, s[2:3]
	global_store_dword v[32:33], v20, off
	v_subrev_u32_e32 v32, s9, v16
	s_and_b64 s[2:3], s[18:19], s[4:5]
	v_cndmask_b32_e64 v34, v29, v32, s[2:3]
	v_mov_b32_e32 v33, s13
	v_add_co_u32_e64 v32, s[2:3], s12, v18
	v_addc_co_u32_e64 v33, s[2:3], v33, v19, s[2:3]
	global_store_dword v[32:33], v34, off
	v_mov_b32_e32 v32, s15
	v_add_co_u32_e64 v18, s[2:3], s14, v18
	v_addc_co_u32_e64 v19, s[2:3], v32, v19, s[2:3]
	global_store_dword v[18:19], v31, off
	v_add_f32_e32 v18, v27, v20
	v_cndmask_b32_e32 v27, v27, v18, vcc
	s_or_b64 exec, exec, s[6:7]
	s_add_i32 s25, s25, 1
	s_cmp_ge_i32 s25, s8
	s_cbranch_scc1 .LBB163_9
.LBB163_21:                             ;   in Loop: Header=BB163_10 Depth=1
	s_waitcnt lgkmcnt(0)
	v_ashrrev_i32_e32 v19, 31, v16
	v_lshrrev_b32_e32 v18, 29, v19
	v_add_u32_e32 v18, v16, v18
	v_ashrrev_i32_e32 v18, 3, v18
	v_lshrrev_b32_e32 v20, 28, v18
	v_add_u32_e32 v20, v18, v20
	v_and_b32_e32 v20, -16, v20
	v_sub_u32_e32 v20, v18, v20
	v_cmp_eq_u32_e64 s[2:3], v21, v20
	s_and_saveexec_b64 s[4:5], s[2:3]
	s_cbranch_execz .LBB163_8
; %bb.22:                               ;   in Loop: Header=BB163_10 Depth=1
	v_lshrrev_b32_e32 v19, 25, v19
	v_add_u32_e32 v19, v16, v19
	v_lshlrev_b32_e32 v18, 3, v18
	v_ashrrev_i32_e32 v19, 7, v19
	v_sub_u32_e32 v16, v16, v18
	v_lshl_add_u32 v16, v19, 3, v16
	v_cmp_ne_u32_e64 s[2:3], 7, v16
	v_cndmask_b32_e64 v15, v30, v15, s[2:3]
	v_cmp_ne_u32_e64 s[2:3], 6, v16
	v_cndmask_b32_e64 v14, v30, v14, s[2:3]
	;; [unrolled: 2-line block ×8, first 2 shown]
	s_branch .LBB163_8
.LBB163_23:
                                        ; implicit-def: $vgpr8_vgpr9_vgpr10_vgpr11_vgpr12_vgpr13_vgpr14_vgpr15
	s_andn2_b64 vcc, exec, s[6:7]
	s_cbranch_vccz .LBB163_5
	s_branch .LBB163_6
.LBB163_24:
	v_mov_b32_e32 v27, 0
.LBB163_25:
	v_cmp_eq_u32_e64 s[0:1], 0, v21
	s_and_b64 s[0:1], s[0:1], vcc
	s_and_b64 exec, exec, s[0:1]
	s_cbranch_execz .LBB163_34
; %bb.26:
	s_andn2_b64 vcc, exec, s[20:21]
	s_cbranch_vccnz .LBB163_34
; %bb.27:
	v_cmp_lt_f32_e32 vcc, 0, v27
	s_mov_b32 s2, 0
	v_cndmask_b32_e32 v0, 1.0, v27, vcc
	v_mul_lo_u32 v4, v17, s8
	s_cmp_eq_u32 s8, 1
	s_mov_b64 s[0:1], -1
	s_cbranch_scc1 .LBB163_31
; %bb.28:
	s_and_b32 s2, s8, 0x7ffffffe
	v_mov_b32_e32 v1, v0
	v_mov_b32_e32 v5, s17
	s_mov_b32 s3, s2
	v_mov_b32_e32 v2, v4
.LBB163_29:                             ; =>This Inner Loop Header: Depth=1
	v_ashrrev_i32_e32 v3, 31, v2
	v_lshlrev_b64 v[6:7], 2, v[2:3]
	v_add_co_u32_e32 v6, vcc, s16, v6
	v_addc_co_u32_e32 v7, vcc, v5, v7, vcc
	global_load_dwordx2 v[8:9], v[6:7], off
	s_add_i32 s3, s3, -2
	s_cmp_lg_u32 s3, 0
	v_add_u32_e32 v2, 2, v2
	s_waitcnt vmcnt(0)
	v_div_scale_f32 v3, s[0:1], v1, v1, v9
	v_div_scale_f32 v11, s[0:1], v0, v0, v8
	v_rcp_f32_e32 v12, v3
	v_rcp_f32_e32 v13, v11
	v_div_scale_f32 v10, vcc, v9, v1, v9
	v_fma_f32 v15, -v3, v12, 1.0
	v_fma_f32 v16, -v11, v13, 1.0
	v_fmac_f32_e32 v12, v15, v12
	v_div_scale_f32 v14, s[0:1], v8, v0, v8
	v_fmac_f32_e32 v13, v16, v13
	v_mul_f32_e32 v15, v10, v12
	v_mul_f32_e32 v16, v14, v13
	v_fma_f32 v17, -v3, v15, v10
	v_fma_f32 v18, -v11, v16, v14
	v_fmac_f32_e32 v15, v17, v12
	v_fmac_f32_e32 v16, v18, v13
	v_fma_f32 v3, -v3, v15, v10
	v_fma_f32 v10, -v11, v16, v14
	v_div_fmas_f32 v3, v3, v12, v15
	s_mov_b64 vcc, s[0:1]
	v_div_fixup_f32 v9, v3, v1, v9
	v_div_fmas_f32 v3, v10, v13, v16
	v_div_fixup_f32 v8, v3, v0, v8
	global_store_dwordx2 v[6:7], v[8:9], off
	s_cbranch_scc1 .LBB163_29
; %bb.30:
	s_cmp_lg_u32 s2, s8
	s_cselect_b64 s[0:1], -1, 0
.LBB163_31:
	s_and_b64 vcc, exec, s[0:1]
	s_cbranch_vccz .LBB163_34
; %bb.32:
	v_ashrrev_i32_e32 v1, 31, v4
	v_add_co_u32_e32 v2, vcc, s2, v4
	v_addc_co_u32_e32 v3, vcc, 0, v1, vcc
	v_lshlrev_b64 v[2:3], 2, v[2:3]
	v_mov_b32_e32 v1, s17
	v_add_co_u32_e32 v2, vcc, s16, v2
	s_sub_i32 s0, s8, s2
	v_addc_co_u32_e32 v3, vcc, v1, v3, vcc
.LBB163_33:                             ; =>This Inner Loop Header: Depth=1
	global_load_dword v1, v[2:3], off
	s_add_i32 s0, s0, -1
	s_cmp_lg_u32 s0, 0
	s_waitcnt vmcnt(0)
	v_div_scale_f32 v4, s[2:3], v0, v0, v1
	v_rcp_f32_e32 v5, v4
	v_div_scale_f32 v6, vcc, v1, v0, v1
	v_fma_f32 v7, -v4, v5, 1.0
	v_fmac_f32_e32 v5, v7, v5
	v_mul_f32_e32 v7, v6, v5
	v_fma_f32 v8, -v4, v7, v6
	v_fmac_f32_e32 v7, v8, v5
	v_fma_f32 v4, -v4, v7, v6
	v_div_fmas_f32 v4, v4, v5, v7
	v_div_fixup_f32 v1, v4, v0, v1
	global_store_dword v[2:3], v1, off
	v_add_co_u32_e32 v2, vcc, 4, v2
	v_addc_co_u32_e32 v3, vcc, 0, v3, vcc
	s_cbranch_scc1 .LBB163_33
.LBB163_34:
	s_endpgm
	.section	.rodata,"a",@progbits
	.p2align	6, 0x0
	.amdhsa_kernel _ZN4vllm3moe10topkGatingILi8ELi128ELi4ELi16ELi32Ej14__hip_bfloat16LNS0_11ScoringFuncE0EEEvPKT5_PKbPfiPT4_PiiiibPKf
		.amdhsa_group_segment_fixed_size 0
		.amdhsa_private_segment_fixed_size 0
		.amdhsa_kernarg_size 72
		.amdhsa_user_sgpr_count 6
		.amdhsa_user_sgpr_private_segment_buffer 1
		.amdhsa_user_sgpr_dispatch_ptr 0
		.amdhsa_user_sgpr_queue_ptr 0
		.amdhsa_user_sgpr_kernarg_segment_ptr 1
		.amdhsa_user_sgpr_dispatch_id 0
		.amdhsa_user_sgpr_flat_scratch_init 0
		.amdhsa_user_sgpr_kernarg_preload_length 0
		.amdhsa_user_sgpr_kernarg_preload_offset 0
		.amdhsa_user_sgpr_private_segment_size 0
		.amdhsa_uses_dynamic_stack 0
		.amdhsa_system_sgpr_private_segment_wavefront_offset 0
		.amdhsa_system_sgpr_workgroup_id_x 1
		.amdhsa_system_sgpr_workgroup_id_y 0
		.amdhsa_system_sgpr_workgroup_id_z 0
		.amdhsa_system_sgpr_workgroup_info 0
		.amdhsa_system_vgpr_workitem_id 1
		.amdhsa_next_free_vgpr 36
		.amdhsa_next_free_sgpr 26
		.amdhsa_accum_offset 36
		.amdhsa_reserve_vcc 1
		.amdhsa_reserve_flat_scratch 0
		.amdhsa_float_round_mode_32 0
		.amdhsa_float_round_mode_16_64 0
		.amdhsa_float_denorm_mode_32 3
		.amdhsa_float_denorm_mode_16_64 3
		.amdhsa_dx10_clamp 1
		.amdhsa_ieee_mode 1
		.amdhsa_fp16_overflow 0
		.amdhsa_tg_split 0
		.amdhsa_exception_fp_ieee_invalid_op 0
		.amdhsa_exception_fp_denorm_src 0
		.amdhsa_exception_fp_ieee_div_zero 0
		.amdhsa_exception_fp_ieee_overflow 0
		.amdhsa_exception_fp_ieee_underflow 0
		.amdhsa_exception_fp_ieee_inexact 0
		.amdhsa_exception_int_div_zero 0
	.end_amdhsa_kernel
	.section	.text._ZN4vllm3moe10topkGatingILi8ELi128ELi4ELi16ELi32Ej14__hip_bfloat16LNS0_11ScoringFuncE0EEEvPKT5_PKbPfiPT4_PiiiibPKf,"axG",@progbits,_ZN4vllm3moe10topkGatingILi8ELi128ELi4ELi16ELi32Ej14__hip_bfloat16LNS0_11ScoringFuncE0EEEvPKT5_PKbPfiPT4_PiiiibPKf,comdat
.Lfunc_end163:
	.size	_ZN4vllm3moe10topkGatingILi8ELi128ELi4ELi16ELi32Ej14__hip_bfloat16LNS0_11ScoringFuncE0EEEvPKT5_PKbPfiPT4_PiiiibPKf, .Lfunc_end163-_ZN4vllm3moe10topkGatingILi8ELi128ELi4ELi16ELi32Ej14__hip_bfloat16LNS0_11ScoringFuncE0EEEvPKT5_PKbPfiPT4_PiiiibPKf
                                        ; -- End function
	.section	.AMDGPU.csdata,"",@progbits
; Kernel info:
; codeLenInByte = 3148
; NumSgprs: 30
; NumVgprs: 36
; NumAgprs: 0
; TotalNumVgprs: 36
; ScratchSize: 0
; MemoryBound: 0
; FloatMode: 240
; IeeeMode: 1
; LDSByteSize: 0 bytes/workgroup (compile time only)
; SGPRBlocks: 3
; VGPRBlocks: 4
; NumSGPRsForWavesPerEU: 30
; NumVGPRsForWavesPerEU: 36
; AccumOffset: 36
; Occupancy: 8
; WaveLimiterHint : 0
; COMPUTE_PGM_RSRC2:SCRATCH_EN: 0
; COMPUTE_PGM_RSRC2:USER_SGPR: 6
; COMPUTE_PGM_RSRC2:TRAP_HANDLER: 0
; COMPUTE_PGM_RSRC2:TGID_X_EN: 1
; COMPUTE_PGM_RSRC2:TGID_Y_EN: 0
; COMPUTE_PGM_RSRC2:TGID_Z_EN: 0
; COMPUTE_PGM_RSRC2:TIDIG_COMP_CNT: 1
; COMPUTE_PGM_RSRC3_GFX90A:ACCUM_OFFSET: 8
; COMPUTE_PGM_RSRC3_GFX90A:TG_SPLIT: 0
	.section	.text._ZN4vllm3moe10topkGatingILi8ELi256ELi4ELi16ELi64Ej14__hip_bfloat16LNS0_11ScoringFuncE0EEEvPKT5_PKbPfiPT4_PiiiibPKf,"axG",@progbits,_ZN4vllm3moe10topkGatingILi8ELi256ELi4ELi16ELi64Ej14__hip_bfloat16LNS0_11ScoringFuncE0EEEvPKT5_PKbPfiPT4_PiiiibPKf,comdat
	.protected	_ZN4vllm3moe10topkGatingILi8ELi256ELi4ELi16ELi64Ej14__hip_bfloat16LNS0_11ScoringFuncE0EEEvPKT5_PKbPfiPT4_PiiiibPKf ; -- Begin function _ZN4vllm3moe10topkGatingILi8ELi256ELi4ELi16ELi64Ej14__hip_bfloat16LNS0_11ScoringFuncE0EEEvPKT5_PKbPfiPT4_PiiiibPKf
	.globl	_ZN4vllm3moe10topkGatingILi8ELi256ELi4ELi16ELi64Ej14__hip_bfloat16LNS0_11ScoringFuncE0EEEvPKT5_PKbPfiPT4_PiiiibPKf
	.p2align	8
	.type	_ZN4vllm3moe10topkGatingILi8ELi256ELi4ELi16ELi64Ej14__hip_bfloat16LNS0_11ScoringFuncE0EEEvPKT5_PKbPfiPT4_PiiiibPKf,@function
_ZN4vllm3moe10topkGatingILi8ELi256ELi4ELi16ELi64Ej14__hip_bfloat16LNS0_11ScoringFuncE0EEEvPKT5_PKbPfiPT4_PiiiibPKf: ; @_ZN4vllm3moe10topkGatingILi8ELi256ELi4ELi16ELi64Ej14__hip_bfloat16LNS0_11ScoringFuncE0EEEvPKT5_PKbPfiPT4_PiiiibPKf
; %bb.0:
	s_load_dword s24, s[4:5], 0x18
	v_bfe_u32 v1, v0, 10, 10
	v_and_b32_e32 v0, 0x3ff, v0
	s_lshl_b32 s0, s6, 3
	v_lshlrev_b32_e32 v1, 1, v1
	v_lshrrev_b32_e32 v2, 5, v0
	v_add3_u32 v17, s0, v1, v2
	s_waitcnt lgkmcnt(0)
	v_cmp_gt_i32_e32 vcc, s24, v17
	s_and_saveexec_b64 s[0:1], vcc
	s_cbranch_execz .LBB164_38
; %bb.1:
	s_load_dwordx4 s[0:3], s[4:5], 0x0
	s_load_dwordx2 s[16:17], s[4:5], 0x10
	s_mov_b64 s[6:7], -1
	s_mov_b64 s[18:19], -1
	s_waitcnt lgkmcnt(0)
	s_cmp_eq_u64 s[2:3], 0
	s_cbranch_scc1 .LBB164_3
; %bb.2:
	v_ashrrev_i32_e32 v1, 31, v17
	v_mov_b32_e32 v3, s3
	v_add_co_u32_e32 v2, vcc, s2, v17
	v_addc_co_u32_e32 v3, vcc, v3, v1, vcc
	global_load_ubyte v1, v[2:3], off
	s_waitcnt vmcnt(0)
	v_and_b32_e32 v1, 1, v1
	v_cmp_eq_u32_e32 vcc, 1, v1
	s_xor_b64 s[2:3], vcc, -1
	s_orn2_b64 s[18:19], s[2:3], exec
.LBB164_3:
	v_lshlrev_b32_e32 v2, 8, v17
	v_ashrrev_i32_e32 v3, 31, v2
	v_lshlrev_b64 v[2:3], 1, v[2:3]
	v_mov_b32_e32 v1, s1
	v_add_co_u32_e32 v2, vcc, s0, v2
	v_and_b32_e32 v21, 31, v0
	v_addc_co_u32_e32 v1, vcc, v1, v3, vcc
	v_lshlrev_b32_e32 v0, 4, v21
	v_add_co_u32_e32 v0, vcc, v2, v0
	v_addc_co_u32_e32 v1, vcc, 0, v1, vcc
	global_load_dwordx4 v[0:3], v[0:1], off
	v_mbcnt_lo_u32_b32 v4, -1, 0
	v_mbcnt_hi_u32_b32 v4, -1, v4
	v_and_b32_e32 v5, 0x60, v4
	v_xor_b32_e32 v6, 16, v4
	v_add_u32_e32 v5, 32, v5
	v_cmp_lt_i32_e32 vcc, v6, v5
	v_cndmask_b32_e32 v6, v4, v6, vcc
	v_lshlrev_b32_e32 v22, 2, v6
	v_xor_b32_e32 v12, 8, v4
	v_cmp_lt_i32_e32 vcc, v12, v5
	v_cndmask_b32_e32 v12, v4, v12, vcc
	v_lshlrev_b32_e32 v23, 2, v12
	v_xor_b32_e32 v12, 4, v4
	;; [unrolled: 4-line block ×4, first 2 shown]
	v_cmp_lt_i32_e32 vcc, v12, v5
	v_cndmask_b32_e32 v4, v4, v12, vcc
	v_lshlrev_b32_e32 v26, 2, v4
	s_mov_b32 s0, 0x3fb8aa3b
	s_mov_b32 s1, 0xc2ce8ed0
	;; [unrolled: 1-line block ×3, first 2 shown]
	s_waitcnt vmcnt(0)
	v_lshlrev_b32_e32 v6, 16, v0
	v_and_b32_e32 v7, 0xffff0000, v0
	v_max_f32_e32 v10, v7, v7
	v_max_f32_e32 v11, v6, v6
	v_lshlrev_b32_e32 v8, 16, v1
	v_and_b32_e32 v0, 0xffff0000, v1
	v_max_f32_e32 v10, v11, v10
	v_lshlrev_b32_e32 v1, 16, v2
	v_and_b32_e32 v2, 0xffff0000, v2
	v_max3_f32 v10, v10, v8, v0
	v_and_b32_e32 v9, 0xffff0000, v3
	v_lshlrev_b32_e32 v3, 16, v3
	v_max3_f32 v10, v10, v1, v2
	v_max3_f32 v10, v10, v3, v9
	ds_bpermute_b32 v11, v22, v10
	s_waitcnt lgkmcnt(0)
	v_max_f32_e32 v11, v11, v11
	v_max_f32_e32 v10, v10, v11
	ds_bpermute_b32 v11, v23, v10
	s_waitcnt lgkmcnt(0)
	v_max_f32_e32 v11, v11, v11
	v_max_f32_e32 v10, v10, v11
	;; [unrolled: 4-line block ×4, first 2 shown]
	ds_bpermute_b32 v5, v26, v4
	v_mov_b32_e32 v10, 0x7f800000
	s_waitcnt lgkmcnt(0)
	v_max_f32_e32 v5, v5, v5
	v_max_f32_e32 v4, v4, v5
	v_sub_f32_e32 v5, v6, v4
	v_sub_f32_e32 v6, v7, v4
	;; [unrolled: 1-line block ×3, first 2 shown]
	v_mul_f32_e32 v8, 0x3fb8aa3b, v5
	v_mul_f32_e32 v11, 0x3fb8aa3b, v6
	v_fma_f32 v15, v5, s0, -v8
	v_rndne_f32_e32 v16, v8
	v_pk_add_f32 v[0:1], v[0:1], v[4:5] op_sel_hi:[1,0] neg_lo:[0,1] neg_hi:[0,1]
	v_mul_f32_e32 v12, 0x3fb8aa3b, v7
	v_fma_f32 v18, v6, s0, -v11
	v_rndne_f32_e32 v19, v11
	v_fmac_f32_e32 v15, 0x32a5705f, v5
	v_sub_f32_e32 v8, v8, v16
	v_mul_f32_e32 v13, 0x3fb8aa3b, v1
	v_fma_f32 v20, v7, s0, -v12
	v_rndne_f32_e32 v27, v12
	v_fmac_f32_e32 v18, 0x32a5705f, v6
	v_sub_f32_e32 v11, v11, v19
	v_add_f32_e32 v8, v8, v15
	v_fma_f32 v28, v1, s0, -v13
	v_rndne_f32_e32 v29, v13
	v_cvt_i32_f32_e32 v16, v16
	v_fmac_f32_e32 v20, 0x32a5705f, v7
	v_sub_f32_e32 v12, v12, v27
	v_add_f32_e32 v11, v11, v18
	v_exp_f32_e32 v8, v8
	v_cvt_i32_f32_e32 v19, v19
	v_fmac_f32_e32 v28, 0x32a5705f, v1
	v_sub_f32_e32 v13, v13, v29
	v_add_f32_e32 v12, v12, v20
	v_exp_f32_e32 v11, v11
	v_cvt_i32_f32_e32 v27, v27
	v_add_f32_e32 v13, v13, v28
	v_exp_f32_e32 v12, v12
	v_cvt_i32_f32_e32 v29, v29
	v_exp_f32_e32 v13, v13
	v_mul_f32_e32 v14, 0x3fb8aa3b, v0
	v_ldexp_f32 v8, v8, v16
	v_cmp_ngt_f32_e32 vcc, s1, v5
	v_fma_f32 v30, v0, s0, -v14
	v_rndne_f32_e32 v31, v14
	v_ldexp_f32 v11, v11, v19
	v_cndmask_b32_e32 v8, 0, v8, vcc
	v_cmp_ngt_f32_e32 vcc, s1, v6
	v_fmac_f32_e32 v30, 0x32a5705f, v0
	v_sub_f32_e32 v14, v14, v31
	v_ldexp_f32 v12, v12, v27
	v_cndmask_b32_e32 v11, 0, v11, vcc
	v_cmp_ngt_f32_e32 vcc, s1, v7
	v_add_f32_e32 v14, v14, v30
	v_ldexp_f32 v13, v13, v29
	v_cndmask_b32_e32 v12, 0, v12, vcc
	v_cmp_ngt_f32_e32 vcc, s1, v1
	v_cvt_i32_f32_e32 v31, v31
	v_exp_f32_e32 v14, v14
	v_cndmask_b32_e32 v13, 0, v13, vcc
	v_cmp_nlt_f32_e32 vcc, s2, v5
	v_cndmask_b32_e32 v5, v10, v8, vcc
	v_cmp_nlt_f32_e32 vcc, s2, v6
	;; [unrolled: 2-line block ×4, first 2 shown]
	v_pk_add_f32 v[2:3], v[2:3], v[4:5] op_sel_hi:[1,0] neg_lo:[0,1] neg_hi:[0,1]
	v_ldexp_f32 v14, v14, v31
	v_cndmask_b32_e32 v1, v10, v13, vcc
	v_cmp_ngt_f32_e32 vcc, s1, v0
	v_mul_f32_e32 v12, 0x3fb8aa3b, v3
	v_cndmask_b32_e32 v11, 0, v14, vcc
	v_fma_f32 v13, v3, s0, -v12
	v_rndne_f32_e32 v14, v12
	v_fmac_f32_e32 v13, 0x32a5705f, v3
	v_sub_f32_e32 v12, v12, v14
	v_add_f32_e32 v12, v12, v13
	v_exp_f32_e32 v12, v12
	v_cvt_i32_f32_e32 v13, v14
	v_cmp_nlt_f32_e32 vcc, s2, v0
	v_cndmask_b32_e32 v0, v10, v11, vcc
	v_cmp_ngt_f32_e32 vcc, s1, v3
	v_ldexp_f32 v11, v12, v13
	v_mul_f32_e32 v12, 0x3fb8aa3b, v2
	v_fma_f32 v13, v2, s0, -v12
	v_rndne_f32_e32 v14, v12
	v_fmac_f32_e32 v13, 0x32a5705f, v2
	v_sub_f32_e32 v12, v12, v14
	v_add_f32_e32 v12, v12, v13
	v_exp_f32_e32 v12, v12
	v_cvt_i32_f32_e32 v13, v14
	v_sub_f32_e32 v4, v9, v4
	v_cndmask_b32_e32 v11, 0, v11, vcc
	v_cmp_nlt_f32_e32 vcc, s2, v3
	v_mul_f32_e32 v9, 0x3fb8aa3b, v4
	v_cndmask_b32_e32 v3, v10, v11, vcc
	v_ldexp_f32 v11, v12, v13
	v_fma_f32 v12, v4, s0, -v9
	v_rndne_f32_e32 v13, v9
	v_fmac_f32_e32 v12, 0x32a5705f, v4
	v_sub_f32_e32 v9, v9, v13
	v_add_f32_e32 v9, v9, v12
	v_exp_f32_e32 v9, v9
	v_cvt_i32_f32_e32 v12, v13
	v_add_f32_e32 v8, v5, v6
	v_add_f32_e32 v8, v8, v7
	v_cmp_ngt_f32_e32 vcc, s1, v2
	v_add_f32_e32 v8, v8, v0
	v_cndmask_b32_e32 v11, 0, v11, vcc
	v_cmp_nlt_f32_e32 vcc, s2, v2
	v_add_f32_e32 v8, v8, v1
	v_cndmask_b32_e32 v2, v10, v11, vcc
	v_ldexp_f32 v9, v9, v12
	v_cmp_ngt_f32_e32 vcc, s1, v4
	v_add_f32_e32 v8, v8, v2
	v_cndmask_b32_e32 v9, 0, v9, vcc
	v_cmp_nlt_f32_e32 vcc, s2, v4
	v_add_f32_e32 v8, v8, v3
	v_cndmask_b32_e32 v10, v10, v9, vcc
	v_add_f32_e32 v4, v8, v10
	ds_bpermute_b32 v8, v22, v4
	s_movk_i32 s2, 0x1f8
	v_lshlrev_b32_e32 v27, 3, v21
	s_waitcnt lgkmcnt(0)
	v_add_f32_e32 v4, v4, v8
	ds_bpermute_b32 v8, v23, v4
	s_waitcnt lgkmcnt(0)
	v_add_f32_e32 v4, v4, v8
	ds_bpermute_b32 v8, v24, v4
	;; [unrolled: 3-line block ×4, first 2 shown]
	s_waitcnt lgkmcnt(0)
	v_add_f32_e32 v4, v4, v8
	v_div_scale_f32 v8, s[0:1], v4, v4, 1.0
	v_rcp_f32_e32 v9, v8
	s_load_dwordx2 s[0:1], s[4:5], 0x40
	v_fma_f32 v11, -v8, v9, 1.0
	v_fmac_f32_e32 v9, v11, v9
	v_div_scale_f32 v11, vcc, 1.0, v4, 1.0
	v_mul_f32_e32 v12, v11, v9
	v_fma_f32 v13, -v8, v12, v11
	v_fmac_f32_e32 v12, v13, v9
	v_fma_f32 v8, -v8, v12, v11
	v_div_fmas_f32 v8, v8, v9, v12
	v_div_fixup_f32 v4, v8, v4, 1.0
	v_mul_f32_e32 v5, v4, v5
	v_mul_f32_e32 v11, v4, v6
	v_cmp_class_f32_e64 vcc, v5, s2
	v_mul_f32_e32 v12, v4, v7
	v_pk_mul_f32 v[6:7], v[4:5], v[0:1] op_sel_hi:[0,1]
	v_cndmask_b32_e32 v0, 0, v5, vcc
	v_cmp_class_f32_e64 vcc, v11, s2
	v_pk_mul_f32 v[8:9], v[4:5], v[2:3] op_sel_hi:[0,1]
	v_cndmask_b32_e32 v1, 0, v11, vcc
	v_cmp_class_f32_e64 vcc, v12, s2
	v_mov_b32_e32 v5, 0x207
	v_cndmask_b32_e32 v2, 0, v12, vcc
	v_cmp_class_f32_e32 vcc, v7, v5
	v_mul_f32_e32 v10, v4, v10
	v_cndmask_b32_e64 v4, v7, 0, vcc
	v_cmp_class_f32_e32 vcc, v6, v5
	v_cndmask_b32_e64 v3, v6, 0, vcc
	v_cmp_class_f32_e32 vcc, v9, v5
	;; [unrolled: 2-line block ×3, first 2 shown]
	v_cndmask_b32_e64 v5, v8, 0, vcc
	v_cmp_class_f32_e64 vcc, v10, s2
	s_waitcnt lgkmcnt(0)
	s_cmp_eq_u64 s[0:1], 0
	v_cndmask_b32_e32 v7, 0, v10, vcc
	s_cbranch_scc1 .LBB164_27
; %bb.4:
	v_lshlrev_b32_e32 v16, 2, v27
	global_load_dwordx4 v[8:11], v16, s[0:1]
	global_load_dwordx4 v[12:15], v16, s[0:1] offset:16
	s_waitcnt vmcnt(1)
	v_pk_add_f32 v[8:9], v[8:9], v[0:1]
	v_pk_add_f32 v[10:11], v[10:11], v[2:3]
	s_waitcnt vmcnt(0)
	v_pk_add_f32 v[12:13], v[12:13], v[4:5]
	v_pk_add_f32 v[14:15], v[14:15], v[6:7]
	s_cbranch_execnz .LBB164_6
.LBB164_5:
	v_pk_mov_b32 v[14:15], v[6:7], v[6:7] op_sel:[0,1]
	v_pk_mov_b32 v[12:13], v[4:5], v[4:5] op_sel:[0,1]
	;; [unrolled: 1-line block ×4, first 2 shown]
.LBB164_6:
	s_load_dwordx4 s[8:11], s[4:5], 0x30
	s_mov_b32 s25, 0
	v_cmp_eq_u32_e64 s[0:1], 0, v21
	s_waitcnt lgkmcnt(0)
	s_bitcmp1_b32 s11, 0
	s_cselect_b64 vcc, -1, 0
	s_cmp_gt_i32 s8, 0
	s_cselect_b64 s[20:21], -1, 0
	s_cmp_lt_i32 s8, 1
	s_cbranch_scc1 .LBB164_28
; %bb.7:
	s_load_dwordx4 s[12:15], s[4:5], 0x20
	v_mul_lo_u32 v29, v17, s8
	v_mov_b32_e32 v28, 0
	v_mov_b32_e32 v30, 0x100
	;; [unrolled: 1-line block ×4, first 2 shown]
	s_branch .LBB164_10
.LBB164_8:                              ;   in Loop: Header=BB164_10 Depth=1
	s_or_b64 exec, exec, s[4:5]
.LBB164_9:                              ;   in Loop: Header=BB164_10 Depth=1
	s_cmp_eq_u32 s8, s25
	v_add_u32_e32 v32, s24, v32
	s_cbranch_scc1 .LBB164_29
.LBB164_10:                             ; =>This Inner Loop Header: Depth=1
	v_cmp_gt_f32_e64 s[2:3], v9, v8
	v_cndmask_b32_e64 v16, v8, v9, s[2:3]
	v_cndmask_b32_e64 v18, v0, v1, s[2:3]
	s_waitcnt lgkmcnt(0)
	v_cndmask_b32_e64 v19, 0, 1, s[2:3]
	v_cmp_gt_f32_e64 s[2:3], v10, v16
	v_cndmask_b32_e64 v16, v16, v10, s[2:3]
	v_cndmask_b32_e64 v18, v18, v2, s[2:3]
	v_cndmask_b32_e64 v19, v19, 2, s[2:3]
	v_cmp_gt_f32_e64 s[2:3], v11, v16
	v_cndmask_b32_e64 v16, v16, v11, s[2:3]
	v_cndmask_b32_e64 v18, v18, v3, s[2:3]
	;; [unrolled: 4-line block ×6, first 2 shown]
	v_or_b32_e32 v19, v27, v19
	ds_bpermute_b32 v20, v22, v16
	ds_bpermute_b32 v33, v22, v19
	v_cndmask_b32_e64 v18, v18, v7, s[2:3]
	ds_bpermute_b32 v35, v22, v18
	s_waitcnt lgkmcnt(0)
	v_cmp_eq_f32_e64 s[4:5], v16, v20
	v_cmp_lt_i32_e64 s[6:7], v33, v19
	v_cmp_lt_f32_e64 s[2:3], v16, v20
	s_and_b64 s[4:5], s[4:5], s[6:7]
	s_or_b64 s[2:3], s[2:3], s[4:5]
	v_cndmask_b32_e64 v34, v19, v33, s[2:3]
	v_cndmask_b32_e64 v33, v16, v20, s[2:3]
	;; [unrolled: 1-line block ×3, first 2 shown]
	ds_bpermute_b32 v36, v23, v33
	ds_bpermute_b32 v20, v23, v16
	;; [unrolled: 1-line block ×3, first 2 shown]
                                        ; implicit-def: $vgpr18_vgpr19
	s_waitcnt lgkmcnt(2)
	v_cmp_lt_f32_e64 s[6:7], v33, v36
	v_cmp_nlt_f32_e64 s[2:3], v33, v36
	s_and_saveexec_b64 s[22:23], s[2:3]
	s_cbranch_execz .LBB164_12
; %bb.11:                               ;   in Loop: Header=BB164_10 Depth=1
	v_cmp_eq_f32_e64 s[2:3], v33, v36
	s_waitcnt lgkmcnt(0)
	v_cmp_lt_i32_e64 s[4:5], v35, v34
	s_and_b64 s[2:3], s[2:3], s[4:5]
	s_andn2_b64 s[4:5], s[6:7], exec
	s_and_b64 s[2:3], s[2:3], exec
	s_or_b64 s[6:7], s[4:5], s[2:3]
	v_pk_mov_b32 v[18:19], v[16:17], v[16:17] op_sel:[0,1]
.LBB164_12:                             ;   in Loop: Header=BB164_10 Depth=1
	s_or_b64 exec, exec, s[22:23]
	s_and_saveexec_b64 s[2:3], s[6:7]
	s_cbranch_execz .LBB164_14
; %bb.13:                               ;   in Loop: Header=BB164_10 Depth=1
	v_mov_b32_e32 v33, v36
	s_waitcnt lgkmcnt(1)
	v_mov_b32_e32 v16, v20
	s_waitcnt lgkmcnt(0)
	v_mov_b32_e32 v34, v35
	v_pk_mov_b32 v[18:19], v[20:21], v[20:21] op_sel:[0,1]
.LBB164_14:                             ;   in Loop: Header=BB164_10 Depth=1
	s_or_b64 exec, exec, s[2:3]
	s_waitcnt lgkmcnt(0)
	ds_bpermute_b32 v35, v24, v33
	ds_bpermute_b32 v20, v24, v16
	;; [unrolled: 1-line block ×3, first 2 shown]
	s_waitcnt lgkmcnt(2)
	v_cmp_lt_f32_e64 s[6:7], v33, v35
	v_cmp_nlt_f32_e64 s[2:3], v33, v35
	s_and_saveexec_b64 s[22:23], s[2:3]
	s_cbranch_execz .LBB164_16
; %bb.15:                               ;   in Loop: Header=BB164_10 Depth=1
	v_cmp_eq_f32_e64 s[2:3], v33, v35
	s_waitcnt lgkmcnt(0)
	v_cmp_lt_i32_e64 s[4:5], v19, v34
	s_and_b64 s[2:3], s[2:3], s[4:5]
	s_andn2_b64 s[4:5], s[6:7], exec
	s_and_b64 s[2:3], s[2:3], exec
	s_or_b64 s[6:7], s[4:5], s[2:3]
.LBB164_16:                             ;   in Loop: Header=BB164_10 Depth=1
	s_or_b64 exec, exec, s[22:23]
	s_and_saveexec_b64 s[2:3], s[6:7]
	s_cbranch_execz .LBB164_18
; %bb.17:                               ;   in Loop: Header=BB164_10 Depth=1
	v_mov_b32_e32 v33, v35
	s_waitcnt lgkmcnt(1)
	v_mov_b32_e32 v16, v20
	s_waitcnt lgkmcnt(0)
	v_mov_b32_e32 v34, v19
	v_pk_mov_b32 v[18:19], v[20:21], v[20:21] op_sel:[0,1]
.LBB164_18:                             ;   in Loop: Header=BB164_10 Depth=1
	s_or_b64 exec, exec, s[2:3]
	ds_bpermute_b32 v35, v25, v33
	s_waitcnt lgkmcnt(2)
	ds_bpermute_b32 v20, v25, v16
	s_waitcnt lgkmcnt(2)
	;; [unrolled: 2-line block ×3, first 2 shown]
	v_cmp_lt_f32_e64 s[6:7], v33, v35
	v_cmp_nlt_f32_e64 s[2:3], v33, v35
	s_and_saveexec_b64 s[22:23], s[2:3]
	s_cbranch_execz .LBB164_20
; %bb.19:                               ;   in Loop: Header=BB164_10 Depth=1
	v_cmp_eq_f32_e64 s[2:3], v33, v35
	s_waitcnt lgkmcnt(0)
	v_cmp_lt_i32_e64 s[4:5], v19, v34
	s_and_b64 s[2:3], s[2:3], s[4:5]
	s_andn2_b64 s[4:5], s[6:7], exec
	s_and_b64 s[2:3], s[2:3], exec
	s_or_b64 s[6:7], s[4:5], s[2:3]
.LBB164_20:                             ;   in Loop: Header=BB164_10 Depth=1
	s_or_b64 exec, exec, s[22:23]
	s_and_saveexec_b64 s[2:3], s[6:7]
	s_cbranch_execz .LBB164_22
; %bb.21:                               ;   in Loop: Header=BB164_10 Depth=1
	v_mov_b32_e32 v33, v35
	s_waitcnt lgkmcnt(1)
	v_mov_b32_e32 v16, v20
	s_waitcnt lgkmcnt(0)
	v_mov_b32_e32 v34, v19
	v_pk_mov_b32 v[18:19], v[20:21], v[20:21] op_sel:[0,1]
.LBB164_22:                             ;   in Loop: Header=BB164_10 Depth=1
	s_or_b64 exec, exec, s[2:3]
	s_waitcnt lgkmcnt(1)
	ds_bpermute_b32 v20, v26, v33
	ds_bpermute_b32 v35, v26, v34
	s_waitcnt lgkmcnt(2)
	ds_bpermute_b32 v19, v26, v16
	s_waitcnt lgkmcnt(2)
	v_cmp_eq_f32_e64 s[4:5], v33, v20
	s_waitcnt lgkmcnt(1)
	v_cmp_lt_i32_e64 s[6:7], v35, v34
	v_cmp_lt_f32_e64 s[2:3], v33, v20
	s_and_b64 s[4:5], s[4:5], s[6:7]
	s_or_b64 s[2:3], s[2:3], s[4:5]
	v_cndmask_b32_e64 v16, v34, v35, s[2:3]
	s_and_saveexec_b64 s[6:7], s[0:1]
	s_cbranch_execnz .LBB164_24
; %bb.23:                               ;   in Loop: Header=BB164_10 Depth=1
	s_or_b64 exec, exec, s[6:7]
	s_add_i32 s25, s25, 1
	s_cmp_ge_i32 s25, s8
	s_cbranch_scc1 .LBB164_9
	s_branch .LBB164_25
.LBB164_24:                             ;   in Loop: Header=BB164_10 Depth=1
	s_waitcnt lgkmcnt(0)
	v_cndmask_b32_e64 v20, v18, v19, s[2:3]
	v_add_u32_e32 v18, s25, v29
	v_ashrrev_i32_e32 v19, 31, v18
	v_cmp_le_i32_e64 s[2:3], s9, v16
	v_cmp_gt_i32_e64 s[4:5], s10, v16
	v_lshlrev_b64 v[18:19], 2, v[18:19]
	s_and_b64 s[4:5], s[2:3], s[4:5]
	v_mov_b32_e32 v33, s17
	v_add_co_u32_e64 v34, s[2:3], s16, v18
	v_addc_co_u32_e64 v35, s[2:3], v33, v19, s[2:3]
	v_subrev_u32_e32 v33, s9, v16
	s_and_b64 s[2:3], s[18:19], s[4:5]
	global_store_dword v[34:35], v20, off
	v_cndmask_b32_e64 v33, v30, v33, s[2:3]
	v_mov_b32_e32 v35, s13
	v_add_co_u32_e64 v34, s[2:3], s12, v18
	v_addc_co_u32_e64 v35, s[2:3], v35, v19, s[2:3]
	global_store_dword v[34:35], v33, off
	v_mov_b32_e32 v33, s15
	v_add_co_u32_e64 v18, s[2:3], s14, v18
	v_addc_co_u32_e64 v19, s[2:3], v33, v19, s[2:3]
	global_store_dword v[18:19], v32, off
	v_add_f32_e32 v18, v28, v20
	v_cndmask_b32_e32 v28, v28, v18, vcc
	s_or_b64 exec, exec, s[6:7]
	s_add_i32 s25, s25, 1
	s_cmp_ge_i32 s25, s8
	s_cbranch_scc1 .LBB164_9
.LBB164_25:                             ;   in Loop: Header=BB164_10 Depth=1
	v_ashrrev_i32_e32 v18, 31, v16
	s_waitcnt lgkmcnt(0)
	v_lshrrev_b32_e32 v19, 29, v18
	v_add_u32_e32 v20, v16, v19
	v_ashrrev_i32_e32 v19, 3, v20
	v_ashrrev_i32_e32 v20, 31, v20
	v_lshrrev_b32_e32 v20, 27, v20
	v_add_u32_e32 v20, v19, v20
	v_and_b32_e32 v20, 0xffffffe0, v20
	v_sub_u32_e32 v20, v19, v20
	v_cmp_eq_u32_e64 s[2:3], v21, v20
	s_and_saveexec_b64 s[4:5], s[2:3]
	s_cbranch_execz .LBB164_8
; %bb.26:                               ;   in Loop: Header=BB164_10 Depth=1
	v_add_u32_sdwa v18, v16, v18 dst_sel:DWORD dst_unused:UNUSED_PAD src0_sel:DWORD src1_sel:BYTE_3
	v_lshlrev_b32_e32 v19, 3, v19
	v_ashrrev_i32_e32 v18, 8, v18
	v_sub_u32_e32 v16, v16, v19
	v_lshl_add_u32 v16, v18, 3, v16
	v_cmp_ne_u32_e64 s[2:3], 7, v16
	v_cndmask_b32_e64 v15, v31, v15, s[2:3]
	v_cmp_ne_u32_e64 s[2:3], 6, v16
	v_cndmask_b32_e64 v14, v31, v14, s[2:3]
	;; [unrolled: 2-line block ×8, first 2 shown]
	s_branch .LBB164_8
.LBB164_27:
                                        ; implicit-def: $vgpr8_vgpr9_vgpr10_vgpr11_vgpr12_vgpr13_vgpr14_vgpr15
	s_andn2_b64 vcc, exec, s[6:7]
	s_cbranch_vccz .LBB164_5
	s_branch .LBB164_6
.LBB164_28:
	v_mov_b32_e32 v28, 0
.LBB164_29:
	v_cmp_eq_u32_e64 s[0:1], 0, v21
	s_and_b64 s[0:1], s[0:1], vcc
	s_and_b64 exec, exec, s[0:1]
	s_cbranch_execz .LBB164_38
; %bb.30:
	s_andn2_b64 vcc, exec, s[20:21]
	s_cbranch_vccnz .LBB164_38
; %bb.31:
	v_cmp_lt_f32_e32 vcc, 0, v28
	s_mov_b32 s2, 0
	v_cndmask_b32_e32 v0, 1.0, v28, vcc
	v_mul_lo_u32 v4, v17, s8
	s_cmp_eq_u32 s8, 1
	s_mov_b64 s[0:1], -1
	s_cbranch_scc1 .LBB164_35
; %bb.32:
	s_and_b32 s2, s8, 0x7ffffffe
	v_mov_b32_e32 v1, v0
	v_mov_b32_e32 v5, s17
	s_mov_b32 s3, s2
	v_mov_b32_e32 v2, v4
.LBB164_33:                             ; =>This Inner Loop Header: Depth=1
	v_ashrrev_i32_e32 v3, 31, v2
	v_lshlrev_b64 v[6:7], 2, v[2:3]
	v_add_co_u32_e32 v6, vcc, s16, v6
	v_addc_co_u32_e32 v7, vcc, v5, v7, vcc
	global_load_dwordx2 v[8:9], v[6:7], off
	s_add_i32 s3, s3, -2
	s_cmp_lg_u32 s3, 0
	v_add_u32_e32 v2, 2, v2
	s_waitcnt vmcnt(0)
	v_div_scale_f32 v3, s[0:1], v1, v1, v9
	v_div_scale_f32 v11, s[0:1], v0, v0, v8
	v_rcp_f32_e32 v12, v3
	v_rcp_f32_e32 v13, v11
	v_div_scale_f32 v10, vcc, v9, v1, v9
	v_fma_f32 v15, -v3, v12, 1.0
	v_fma_f32 v16, -v11, v13, 1.0
	v_fmac_f32_e32 v12, v15, v12
	v_div_scale_f32 v14, s[0:1], v8, v0, v8
	v_fmac_f32_e32 v13, v16, v13
	v_mul_f32_e32 v15, v10, v12
	v_mul_f32_e32 v16, v14, v13
	v_fma_f32 v17, -v3, v15, v10
	v_fma_f32 v18, -v11, v16, v14
	v_fmac_f32_e32 v15, v17, v12
	v_fmac_f32_e32 v16, v18, v13
	v_fma_f32 v3, -v3, v15, v10
	v_fma_f32 v10, -v11, v16, v14
	v_div_fmas_f32 v3, v3, v12, v15
	s_mov_b64 vcc, s[0:1]
	v_div_fixup_f32 v9, v3, v1, v9
	v_div_fmas_f32 v3, v10, v13, v16
	v_div_fixup_f32 v8, v3, v0, v8
	global_store_dwordx2 v[6:7], v[8:9], off
	s_cbranch_scc1 .LBB164_33
; %bb.34:
	s_cmp_lg_u32 s2, s8
	s_cselect_b64 s[0:1], -1, 0
.LBB164_35:
	s_and_b64 vcc, exec, s[0:1]
	s_cbranch_vccz .LBB164_38
; %bb.36:
	v_ashrrev_i32_e32 v1, 31, v4
	v_add_co_u32_e32 v2, vcc, s2, v4
	v_addc_co_u32_e32 v3, vcc, 0, v1, vcc
	v_lshlrev_b64 v[2:3], 2, v[2:3]
	v_mov_b32_e32 v1, s17
	v_add_co_u32_e32 v2, vcc, s16, v2
	s_sub_i32 s0, s8, s2
	v_addc_co_u32_e32 v3, vcc, v1, v3, vcc
.LBB164_37:                             ; =>This Inner Loop Header: Depth=1
	global_load_dword v1, v[2:3], off
	s_add_i32 s0, s0, -1
	s_cmp_lg_u32 s0, 0
	s_waitcnt vmcnt(0)
	v_div_scale_f32 v4, s[2:3], v0, v0, v1
	v_rcp_f32_e32 v5, v4
	v_div_scale_f32 v6, vcc, v1, v0, v1
	v_fma_f32 v7, -v4, v5, 1.0
	v_fmac_f32_e32 v5, v7, v5
	v_mul_f32_e32 v7, v6, v5
	v_fma_f32 v8, -v4, v7, v6
	v_fmac_f32_e32 v7, v8, v5
	v_fma_f32 v4, -v4, v7, v6
	v_div_fmas_f32 v4, v4, v5, v7
	v_div_fixup_f32 v1, v4, v0, v1
	global_store_dword v[2:3], v1, off
	v_add_co_u32_e32 v2, vcc, 4, v2
	v_addc_co_u32_e32 v3, vcc, 0, v3, vcc
	s_cbranch_scc1 .LBB164_37
.LBB164_38:
	s_endpgm
	.section	.rodata,"a",@progbits
	.p2align	6, 0x0
	.amdhsa_kernel _ZN4vllm3moe10topkGatingILi8ELi256ELi4ELi16ELi64Ej14__hip_bfloat16LNS0_11ScoringFuncE0EEEvPKT5_PKbPfiPT4_PiiiibPKf
		.amdhsa_group_segment_fixed_size 0
		.amdhsa_private_segment_fixed_size 0
		.amdhsa_kernarg_size 72
		.amdhsa_user_sgpr_count 6
		.amdhsa_user_sgpr_private_segment_buffer 1
		.amdhsa_user_sgpr_dispatch_ptr 0
		.amdhsa_user_sgpr_queue_ptr 0
		.amdhsa_user_sgpr_kernarg_segment_ptr 1
		.amdhsa_user_sgpr_dispatch_id 0
		.amdhsa_user_sgpr_flat_scratch_init 0
		.amdhsa_user_sgpr_kernarg_preload_length 0
		.amdhsa_user_sgpr_kernarg_preload_offset 0
		.amdhsa_user_sgpr_private_segment_size 0
		.amdhsa_uses_dynamic_stack 0
		.amdhsa_system_sgpr_private_segment_wavefront_offset 0
		.amdhsa_system_sgpr_workgroup_id_x 1
		.amdhsa_system_sgpr_workgroup_id_y 0
		.amdhsa_system_sgpr_workgroup_id_z 0
		.amdhsa_system_sgpr_workgroup_info 0
		.amdhsa_system_vgpr_workitem_id 1
		.amdhsa_next_free_vgpr 37
		.amdhsa_next_free_sgpr 26
		.amdhsa_accum_offset 40
		.amdhsa_reserve_vcc 1
		.amdhsa_reserve_flat_scratch 0
		.amdhsa_float_round_mode_32 0
		.amdhsa_float_round_mode_16_64 0
		.amdhsa_float_denorm_mode_32 3
		.amdhsa_float_denorm_mode_16_64 3
		.amdhsa_dx10_clamp 1
		.amdhsa_ieee_mode 1
		.amdhsa_fp16_overflow 0
		.amdhsa_tg_split 0
		.amdhsa_exception_fp_ieee_invalid_op 0
		.amdhsa_exception_fp_denorm_src 0
		.amdhsa_exception_fp_ieee_div_zero 0
		.amdhsa_exception_fp_ieee_overflow 0
		.amdhsa_exception_fp_ieee_underflow 0
		.amdhsa_exception_fp_ieee_inexact 0
		.amdhsa_exception_int_div_zero 0
	.end_amdhsa_kernel
	.section	.text._ZN4vllm3moe10topkGatingILi8ELi256ELi4ELi16ELi64Ej14__hip_bfloat16LNS0_11ScoringFuncE0EEEvPKT5_PKbPfiPT4_PiiiibPKf,"axG",@progbits,_ZN4vllm3moe10topkGatingILi8ELi256ELi4ELi16ELi64Ej14__hip_bfloat16LNS0_11ScoringFuncE0EEEvPKT5_PKbPfiPT4_PiiiibPKf,comdat
.Lfunc_end164:
	.size	_ZN4vllm3moe10topkGatingILi8ELi256ELi4ELi16ELi64Ej14__hip_bfloat16LNS0_11ScoringFuncE0EEEvPKT5_PKbPfiPT4_PiiiibPKf, .Lfunc_end164-_ZN4vllm3moe10topkGatingILi8ELi256ELi4ELi16ELi64Ej14__hip_bfloat16LNS0_11ScoringFuncE0EEEvPKT5_PKbPfiPT4_PiiiibPKf
                                        ; -- End function
	.section	.AMDGPU.csdata,"",@progbits
; Kernel info:
; codeLenInByte = 3348
; NumSgprs: 30
; NumVgprs: 37
; NumAgprs: 0
; TotalNumVgprs: 37
; ScratchSize: 0
; MemoryBound: 0
; FloatMode: 240
; IeeeMode: 1
; LDSByteSize: 0 bytes/workgroup (compile time only)
; SGPRBlocks: 3
; VGPRBlocks: 4
; NumSGPRsForWavesPerEU: 30
; NumVGPRsForWavesPerEU: 37
; AccumOffset: 40
; Occupancy: 8
; WaveLimiterHint : 0
; COMPUTE_PGM_RSRC2:SCRATCH_EN: 0
; COMPUTE_PGM_RSRC2:USER_SGPR: 6
; COMPUTE_PGM_RSRC2:TRAP_HANDLER: 0
; COMPUTE_PGM_RSRC2:TGID_X_EN: 1
; COMPUTE_PGM_RSRC2:TGID_Y_EN: 0
; COMPUTE_PGM_RSRC2:TGID_Z_EN: 0
; COMPUTE_PGM_RSRC2:TIDIG_COMP_CNT: 1
; COMPUTE_PGM_RSRC3_GFX90A:ACCUM_OFFSET: 9
; COMPUTE_PGM_RSRC3_GFX90A:TG_SPLIT: 0
	.section	.text._ZN4vllm3moe10topkGatingILi8ELi256ELi4ELi16ELi32Ej14__hip_bfloat16LNS0_11ScoringFuncE0EEEvPKT5_PKbPfiPT4_PiiiibPKf,"axG",@progbits,_ZN4vllm3moe10topkGatingILi8ELi256ELi4ELi16ELi32Ej14__hip_bfloat16LNS0_11ScoringFuncE0EEEvPKT5_PKbPfiPT4_PiiiibPKf,comdat
	.protected	_ZN4vllm3moe10topkGatingILi8ELi256ELi4ELi16ELi32Ej14__hip_bfloat16LNS0_11ScoringFuncE0EEEvPKT5_PKbPfiPT4_PiiiibPKf ; -- Begin function _ZN4vllm3moe10topkGatingILi8ELi256ELi4ELi16ELi32Ej14__hip_bfloat16LNS0_11ScoringFuncE0EEEvPKT5_PKbPfiPT4_PiiiibPKf
	.globl	_ZN4vllm3moe10topkGatingILi8ELi256ELi4ELi16ELi32Ej14__hip_bfloat16LNS0_11ScoringFuncE0EEEvPKT5_PKbPfiPT4_PiiiibPKf
	.p2align	8
	.type	_ZN4vllm3moe10topkGatingILi8ELi256ELi4ELi16ELi32Ej14__hip_bfloat16LNS0_11ScoringFuncE0EEEvPKT5_PKbPfiPT4_PiiiibPKf,@function
_ZN4vllm3moe10topkGatingILi8ELi256ELi4ELi16ELi32Ej14__hip_bfloat16LNS0_11ScoringFuncE0EEEvPKT5_PKbPfiPT4_PiiiibPKf: ; @_ZN4vllm3moe10topkGatingILi8ELi256ELi4ELi16ELi32Ej14__hip_bfloat16LNS0_11ScoringFuncE0EEEvPKT5_PKbPfiPT4_PiiiibPKf
; %bb.0:
	s_load_dword s24, s[4:5], 0x18
	v_and_b32_e32 v1, 0x3ff, v0
	s_lshl_b32 s0, s6, 2
	v_lshrrev_b32_e32 v2, 5, v1
	v_bfe_u32 v0, v0, 10, 10
	v_add3_u32 v17, s0, v0, v2
	s_waitcnt lgkmcnt(0)
	v_cmp_gt_i32_e32 vcc, s24, v17
	s_and_saveexec_b64 s[0:1], vcc
	s_cbranch_execz .LBB165_38
; %bb.1:
	s_load_dwordx4 s[0:3], s[4:5], 0x0
	s_load_dwordx2 s[16:17], s[4:5], 0x10
	s_mov_b64 s[6:7], -1
	s_mov_b64 s[18:19], -1
	s_waitcnt lgkmcnt(0)
	s_cmp_eq_u64 s[2:3], 0
	s_cbranch_scc1 .LBB165_3
; %bb.2:
	v_ashrrev_i32_e32 v0, 31, v17
	v_mov_b32_e32 v3, s3
	v_add_co_u32_e32 v2, vcc, s2, v17
	v_addc_co_u32_e32 v3, vcc, v3, v0, vcc
	global_load_ubyte v0, v[2:3], off
	s_waitcnt vmcnt(0)
	v_and_b32_e32 v0, 1, v0
	v_cmp_eq_u32_e32 vcc, 1, v0
	s_xor_b64 s[2:3], vcc, -1
	s_orn2_b64 s[18:19], s[2:3], exec
.LBB165_3:
	v_lshlrev_b32_e32 v2, 8, v17
	v_ashrrev_i32_e32 v3, 31, v2
	v_lshlrev_b64 v[2:3], 1, v[2:3]
	v_mov_b32_e32 v0, s1
	v_add_co_u32_e32 v2, vcc, s0, v2
	v_and_b32_e32 v21, 31, v1
	v_addc_co_u32_e32 v3, vcc, v0, v3, vcc
	v_lshlrev_b32_e32 v0, 4, v21
	v_add_co_u32_e32 v0, vcc, v2, v0
	v_addc_co_u32_e32 v1, vcc, 0, v3, vcc
	global_load_dwordx4 v[0:3], v[0:1], off
	v_mbcnt_lo_u32_b32 v4, -1, 0
	v_mbcnt_hi_u32_b32 v4, -1, v4
	v_and_b32_e32 v5, 0x60, v4
	v_xor_b32_e32 v6, 16, v4
	v_add_u32_e32 v5, 32, v5
	v_cmp_lt_i32_e32 vcc, v6, v5
	v_cndmask_b32_e32 v6, v4, v6, vcc
	v_lshlrev_b32_e32 v22, 2, v6
	v_xor_b32_e32 v12, 8, v4
	v_cmp_lt_i32_e32 vcc, v12, v5
	v_cndmask_b32_e32 v12, v4, v12, vcc
	v_lshlrev_b32_e32 v23, 2, v12
	v_xor_b32_e32 v12, 4, v4
	;; [unrolled: 4-line block ×4, first 2 shown]
	v_cmp_lt_i32_e32 vcc, v12, v5
	v_cndmask_b32_e32 v4, v4, v12, vcc
	v_lshlrev_b32_e32 v26, 2, v4
	s_mov_b32 s0, 0x3fb8aa3b
	s_mov_b32 s1, 0xc2ce8ed0
	;; [unrolled: 1-line block ×3, first 2 shown]
	s_waitcnt vmcnt(0)
	v_lshlrev_b32_e32 v6, 16, v0
	v_and_b32_e32 v7, 0xffff0000, v0
	v_max_f32_e32 v10, v7, v7
	v_max_f32_e32 v11, v6, v6
	v_lshlrev_b32_e32 v8, 16, v1
	v_and_b32_e32 v0, 0xffff0000, v1
	v_max_f32_e32 v10, v11, v10
	v_lshlrev_b32_e32 v1, 16, v2
	v_and_b32_e32 v2, 0xffff0000, v2
	v_max3_f32 v10, v10, v8, v0
	v_and_b32_e32 v9, 0xffff0000, v3
	v_lshlrev_b32_e32 v3, 16, v3
	v_max3_f32 v10, v10, v1, v2
	v_max3_f32 v10, v10, v3, v9
	ds_bpermute_b32 v11, v22, v10
	s_waitcnt lgkmcnt(0)
	v_max_f32_e32 v11, v11, v11
	v_max_f32_e32 v10, v10, v11
	ds_bpermute_b32 v11, v23, v10
	s_waitcnt lgkmcnt(0)
	v_max_f32_e32 v11, v11, v11
	v_max_f32_e32 v10, v10, v11
	;; [unrolled: 4-line block ×4, first 2 shown]
	ds_bpermute_b32 v5, v26, v4
	v_mov_b32_e32 v10, 0x7f800000
	s_waitcnt lgkmcnt(0)
	v_max_f32_e32 v5, v5, v5
	v_max_f32_e32 v4, v4, v5
	v_sub_f32_e32 v5, v6, v4
	v_sub_f32_e32 v6, v7, v4
	v_sub_f32_e32 v7, v8, v4
	v_mul_f32_e32 v8, 0x3fb8aa3b, v5
	v_mul_f32_e32 v11, 0x3fb8aa3b, v6
	v_fma_f32 v15, v5, s0, -v8
	v_rndne_f32_e32 v16, v8
	v_pk_add_f32 v[0:1], v[0:1], v[4:5] op_sel_hi:[1,0] neg_lo:[0,1] neg_hi:[0,1]
	v_mul_f32_e32 v12, 0x3fb8aa3b, v7
	v_fma_f32 v18, v6, s0, -v11
	v_rndne_f32_e32 v19, v11
	v_fmac_f32_e32 v15, 0x32a5705f, v5
	v_sub_f32_e32 v8, v8, v16
	v_mul_f32_e32 v13, 0x3fb8aa3b, v1
	v_fma_f32 v20, v7, s0, -v12
	v_rndne_f32_e32 v27, v12
	v_fmac_f32_e32 v18, 0x32a5705f, v6
	v_sub_f32_e32 v11, v11, v19
	v_add_f32_e32 v8, v8, v15
	v_fma_f32 v28, v1, s0, -v13
	v_rndne_f32_e32 v29, v13
	v_cvt_i32_f32_e32 v16, v16
	v_fmac_f32_e32 v20, 0x32a5705f, v7
	v_sub_f32_e32 v12, v12, v27
	v_add_f32_e32 v11, v11, v18
	v_exp_f32_e32 v8, v8
	v_cvt_i32_f32_e32 v19, v19
	v_fmac_f32_e32 v28, 0x32a5705f, v1
	v_sub_f32_e32 v13, v13, v29
	v_add_f32_e32 v12, v12, v20
	v_exp_f32_e32 v11, v11
	v_cvt_i32_f32_e32 v27, v27
	v_add_f32_e32 v13, v13, v28
	v_exp_f32_e32 v12, v12
	v_cvt_i32_f32_e32 v29, v29
	v_exp_f32_e32 v13, v13
	v_mul_f32_e32 v14, 0x3fb8aa3b, v0
	v_ldexp_f32 v8, v8, v16
	v_cmp_ngt_f32_e32 vcc, s1, v5
	v_fma_f32 v30, v0, s0, -v14
	v_rndne_f32_e32 v31, v14
	v_ldexp_f32 v11, v11, v19
	v_cndmask_b32_e32 v8, 0, v8, vcc
	v_cmp_ngt_f32_e32 vcc, s1, v6
	v_fmac_f32_e32 v30, 0x32a5705f, v0
	v_sub_f32_e32 v14, v14, v31
	v_ldexp_f32 v12, v12, v27
	v_cndmask_b32_e32 v11, 0, v11, vcc
	v_cmp_ngt_f32_e32 vcc, s1, v7
	v_add_f32_e32 v14, v14, v30
	v_ldexp_f32 v13, v13, v29
	v_cndmask_b32_e32 v12, 0, v12, vcc
	v_cmp_ngt_f32_e32 vcc, s1, v1
	v_cvt_i32_f32_e32 v31, v31
	v_exp_f32_e32 v14, v14
	v_cndmask_b32_e32 v13, 0, v13, vcc
	v_cmp_nlt_f32_e32 vcc, s2, v5
	v_cndmask_b32_e32 v5, v10, v8, vcc
	v_cmp_nlt_f32_e32 vcc, s2, v6
	;; [unrolled: 2-line block ×4, first 2 shown]
	v_pk_add_f32 v[2:3], v[2:3], v[4:5] op_sel_hi:[1,0] neg_lo:[0,1] neg_hi:[0,1]
	v_ldexp_f32 v14, v14, v31
	v_cndmask_b32_e32 v1, v10, v13, vcc
	v_cmp_ngt_f32_e32 vcc, s1, v0
	v_mul_f32_e32 v12, 0x3fb8aa3b, v3
	v_cndmask_b32_e32 v11, 0, v14, vcc
	v_fma_f32 v13, v3, s0, -v12
	v_rndne_f32_e32 v14, v12
	v_fmac_f32_e32 v13, 0x32a5705f, v3
	v_sub_f32_e32 v12, v12, v14
	v_add_f32_e32 v12, v12, v13
	v_exp_f32_e32 v12, v12
	v_cvt_i32_f32_e32 v13, v14
	v_cmp_nlt_f32_e32 vcc, s2, v0
	v_cndmask_b32_e32 v0, v10, v11, vcc
	v_cmp_ngt_f32_e32 vcc, s1, v3
	v_ldexp_f32 v11, v12, v13
	v_mul_f32_e32 v12, 0x3fb8aa3b, v2
	v_fma_f32 v13, v2, s0, -v12
	v_rndne_f32_e32 v14, v12
	v_fmac_f32_e32 v13, 0x32a5705f, v2
	v_sub_f32_e32 v12, v12, v14
	v_add_f32_e32 v12, v12, v13
	v_exp_f32_e32 v12, v12
	v_cvt_i32_f32_e32 v13, v14
	v_sub_f32_e32 v4, v9, v4
	v_cndmask_b32_e32 v11, 0, v11, vcc
	v_cmp_nlt_f32_e32 vcc, s2, v3
	v_mul_f32_e32 v9, 0x3fb8aa3b, v4
	v_cndmask_b32_e32 v3, v10, v11, vcc
	v_ldexp_f32 v11, v12, v13
	v_fma_f32 v12, v4, s0, -v9
	v_rndne_f32_e32 v13, v9
	v_fmac_f32_e32 v12, 0x32a5705f, v4
	v_sub_f32_e32 v9, v9, v13
	v_add_f32_e32 v9, v9, v12
	v_exp_f32_e32 v9, v9
	v_cvt_i32_f32_e32 v12, v13
	v_add_f32_e32 v8, v5, v6
	v_add_f32_e32 v8, v8, v7
	v_cmp_ngt_f32_e32 vcc, s1, v2
	v_add_f32_e32 v8, v8, v0
	v_cndmask_b32_e32 v11, 0, v11, vcc
	v_cmp_nlt_f32_e32 vcc, s2, v2
	v_add_f32_e32 v8, v8, v1
	v_cndmask_b32_e32 v2, v10, v11, vcc
	v_ldexp_f32 v9, v9, v12
	v_cmp_ngt_f32_e32 vcc, s1, v4
	v_add_f32_e32 v8, v8, v2
	v_cndmask_b32_e32 v9, 0, v9, vcc
	v_cmp_nlt_f32_e32 vcc, s2, v4
	v_add_f32_e32 v8, v8, v3
	v_cndmask_b32_e32 v10, v10, v9, vcc
	v_add_f32_e32 v4, v8, v10
	ds_bpermute_b32 v8, v22, v4
	s_movk_i32 s2, 0x1f8
	v_lshlrev_b32_e32 v27, 3, v21
	s_waitcnt lgkmcnt(0)
	v_add_f32_e32 v4, v4, v8
	ds_bpermute_b32 v8, v23, v4
	s_waitcnt lgkmcnt(0)
	v_add_f32_e32 v4, v4, v8
	ds_bpermute_b32 v8, v24, v4
	;; [unrolled: 3-line block ×4, first 2 shown]
	s_waitcnt lgkmcnt(0)
	v_add_f32_e32 v4, v4, v8
	v_div_scale_f32 v8, s[0:1], v4, v4, 1.0
	v_rcp_f32_e32 v9, v8
	s_load_dwordx2 s[0:1], s[4:5], 0x40
	v_fma_f32 v11, -v8, v9, 1.0
	v_fmac_f32_e32 v9, v11, v9
	v_div_scale_f32 v11, vcc, 1.0, v4, 1.0
	v_mul_f32_e32 v12, v11, v9
	v_fma_f32 v13, -v8, v12, v11
	v_fmac_f32_e32 v12, v13, v9
	v_fma_f32 v8, -v8, v12, v11
	v_div_fmas_f32 v8, v8, v9, v12
	v_div_fixup_f32 v4, v8, v4, 1.0
	v_mul_f32_e32 v5, v4, v5
	v_mul_f32_e32 v11, v4, v6
	v_cmp_class_f32_e64 vcc, v5, s2
	v_mul_f32_e32 v12, v4, v7
	v_pk_mul_f32 v[6:7], v[4:5], v[0:1] op_sel_hi:[0,1]
	v_cndmask_b32_e32 v0, 0, v5, vcc
	v_cmp_class_f32_e64 vcc, v11, s2
	v_pk_mul_f32 v[8:9], v[4:5], v[2:3] op_sel_hi:[0,1]
	v_cndmask_b32_e32 v1, 0, v11, vcc
	v_cmp_class_f32_e64 vcc, v12, s2
	v_mov_b32_e32 v5, 0x207
	v_cndmask_b32_e32 v2, 0, v12, vcc
	v_cmp_class_f32_e32 vcc, v7, v5
	v_mul_f32_e32 v10, v4, v10
	v_cndmask_b32_e64 v4, v7, 0, vcc
	v_cmp_class_f32_e32 vcc, v6, v5
	v_cndmask_b32_e64 v3, v6, 0, vcc
	v_cmp_class_f32_e32 vcc, v9, v5
	;; [unrolled: 2-line block ×3, first 2 shown]
	v_cndmask_b32_e64 v5, v8, 0, vcc
	v_cmp_class_f32_e64 vcc, v10, s2
	s_waitcnt lgkmcnt(0)
	s_cmp_eq_u64 s[0:1], 0
	v_cndmask_b32_e32 v7, 0, v10, vcc
	s_cbranch_scc1 .LBB165_27
; %bb.4:
	v_lshlrev_b32_e32 v16, 2, v27
	global_load_dwordx4 v[8:11], v16, s[0:1]
	global_load_dwordx4 v[12:15], v16, s[0:1] offset:16
	s_waitcnt vmcnt(1)
	v_pk_add_f32 v[8:9], v[8:9], v[0:1]
	v_pk_add_f32 v[10:11], v[10:11], v[2:3]
	s_waitcnt vmcnt(0)
	v_pk_add_f32 v[12:13], v[12:13], v[4:5]
	v_pk_add_f32 v[14:15], v[14:15], v[6:7]
	s_cbranch_execnz .LBB165_6
.LBB165_5:
	v_pk_mov_b32 v[14:15], v[6:7], v[6:7] op_sel:[0,1]
	v_pk_mov_b32 v[12:13], v[4:5], v[4:5] op_sel:[0,1]
	;; [unrolled: 1-line block ×4, first 2 shown]
.LBB165_6:
	s_load_dwordx4 s[8:11], s[4:5], 0x30
	s_mov_b32 s25, 0
	v_cmp_eq_u32_e64 s[0:1], 0, v21
	s_waitcnt lgkmcnt(0)
	s_bitcmp1_b32 s11, 0
	s_cselect_b64 vcc, -1, 0
	s_cmp_gt_i32 s8, 0
	s_cselect_b64 s[20:21], -1, 0
	s_cmp_lt_i32 s8, 1
	s_cbranch_scc1 .LBB165_28
; %bb.7:
	s_load_dwordx4 s[12:15], s[4:5], 0x20
	v_mul_lo_u32 v29, v17, s8
	v_mov_b32_e32 v28, 0
	v_mov_b32_e32 v30, 0x100
	;; [unrolled: 1-line block ×4, first 2 shown]
	s_branch .LBB165_10
.LBB165_8:                              ;   in Loop: Header=BB165_10 Depth=1
	s_or_b64 exec, exec, s[4:5]
.LBB165_9:                              ;   in Loop: Header=BB165_10 Depth=1
	s_cmp_eq_u32 s8, s25
	v_add_u32_e32 v32, s24, v32
	s_cbranch_scc1 .LBB165_29
.LBB165_10:                             ; =>This Inner Loop Header: Depth=1
	v_cmp_gt_f32_e64 s[2:3], v9, v8
	v_cndmask_b32_e64 v16, v8, v9, s[2:3]
	v_cndmask_b32_e64 v18, v0, v1, s[2:3]
	s_waitcnt lgkmcnt(0)
	v_cndmask_b32_e64 v19, 0, 1, s[2:3]
	v_cmp_gt_f32_e64 s[2:3], v10, v16
	v_cndmask_b32_e64 v16, v16, v10, s[2:3]
	v_cndmask_b32_e64 v18, v18, v2, s[2:3]
	v_cndmask_b32_e64 v19, v19, 2, s[2:3]
	v_cmp_gt_f32_e64 s[2:3], v11, v16
	v_cndmask_b32_e64 v16, v16, v11, s[2:3]
	v_cndmask_b32_e64 v18, v18, v3, s[2:3]
	;; [unrolled: 4-line block ×6, first 2 shown]
	v_or_b32_e32 v19, v27, v19
	ds_bpermute_b32 v20, v22, v16
	ds_bpermute_b32 v33, v22, v19
	v_cndmask_b32_e64 v18, v18, v7, s[2:3]
	ds_bpermute_b32 v35, v22, v18
	s_waitcnt lgkmcnt(0)
	v_cmp_eq_f32_e64 s[4:5], v16, v20
	v_cmp_lt_i32_e64 s[6:7], v33, v19
	v_cmp_lt_f32_e64 s[2:3], v16, v20
	s_and_b64 s[4:5], s[4:5], s[6:7]
	s_or_b64 s[2:3], s[2:3], s[4:5]
	v_cndmask_b32_e64 v34, v19, v33, s[2:3]
	v_cndmask_b32_e64 v33, v16, v20, s[2:3]
	;; [unrolled: 1-line block ×3, first 2 shown]
	ds_bpermute_b32 v36, v23, v33
	ds_bpermute_b32 v20, v23, v16
	;; [unrolled: 1-line block ×3, first 2 shown]
                                        ; implicit-def: $vgpr18_vgpr19
	s_waitcnt lgkmcnt(2)
	v_cmp_lt_f32_e64 s[6:7], v33, v36
	v_cmp_nlt_f32_e64 s[2:3], v33, v36
	s_and_saveexec_b64 s[22:23], s[2:3]
	s_cbranch_execz .LBB165_12
; %bb.11:                               ;   in Loop: Header=BB165_10 Depth=1
	v_cmp_eq_f32_e64 s[2:3], v33, v36
	s_waitcnt lgkmcnt(0)
	v_cmp_lt_i32_e64 s[4:5], v35, v34
	s_and_b64 s[2:3], s[2:3], s[4:5]
	s_andn2_b64 s[4:5], s[6:7], exec
	s_and_b64 s[2:3], s[2:3], exec
	s_or_b64 s[6:7], s[4:5], s[2:3]
	v_pk_mov_b32 v[18:19], v[16:17], v[16:17] op_sel:[0,1]
.LBB165_12:                             ;   in Loop: Header=BB165_10 Depth=1
	s_or_b64 exec, exec, s[22:23]
	s_and_saveexec_b64 s[2:3], s[6:7]
	s_cbranch_execz .LBB165_14
; %bb.13:                               ;   in Loop: Header=BB165_10 Depth=1
	v_mov_b32_e32 v33, v36
	s_waitcnt lgkmcnt(1)
	v_mov_b32_e32 v16, v20
	s_waitcnt lgkmcnt(0)
	v_mov_b32_e32 v34, v35
	v_pk_mov_b32 v[18:19], v[20:21], v[20:21] op_sel:[0,1]
.LBB165_14:                             ;   in Loop: Header=BB165_10 Depth=1
	s_or_b64 exec, exec, s[2:3]
	s_waitcnt lgkmcnt(0)
	ds_bpermute_b32 v35, v24, v33
	ds_bpermute_b32 v20, v24, v16
	;; [unrolled: 1-line block ×3, first 2 shown]
	s_waitcnt lgkmcnt(2)
	v_cmp_lt_f32_e64 s[6:7], v33, v35
	v_cmp_nlt_f32_e64 s[2:3], v33, v35
	s_and_saveexec_b64 s[22:23], s[2:3]
	s_cbranch_execz .LBB165_16
; %bb.15:                               ;   in Loop: Header=BB165_10 Depth=1
	v_cmp_eq_f32_e64 s[2:3], v33, v35
	s_waitcnt lgkmcnt(0)
	v_cmp_lt_i32_e64 s[4:5], v19, v34
	s_and_b64 s[2:3], s[2:3], s[4:5]
	s_andn2_b64 s[4:5], s[6:7], exec
	s_and_b64 s[2:3], s[2:3], exec
	s_or_b64 s[6:7], s[4:5], s[2:3]
.LBB165_16:                             ;   in Loop: Header=BB165_10 Depth=1
	s_or_b64 exec, exec, s[22:23]
	s_and_saveexec_b64 s[2:3], s[6:7]
	s_cbranch_execz .LBB165_18
; %bb.17:                               ;   in Loop: Header=BB165_10 Depth=1
	v_mov_b32_e32 v33, v35
	s_waitcnt lgkmcnt(1)
	v_mov_b32_e32 v16, v20
	s_waitcnt lgkmcnt(0)
	v_mov_b32_e32 v34, v19
	v_pk_mov_b32 v[18:19], v[20:21], v[20:21] op_sel:[0,1]
.LBB165_18:                             ;   in Loop: Header=BB165_10 Depth=1
	s_or_b64 exec, exec, s[2:3]
	ds_bpermute_b32 v35, v25, v33
	s_waitcnt lgkmcnt(2)
	ds_bpermute_b32 v20, v25, v16
	s_waitcnt lgkmcnt(2)
	;; [unrolled: 2-line block ×3, first 2 shown]
	v_cmp_lt_f32_e64 s[6:7], v33, v35
	v_cmp_nlt_f32_e64 s[2:3], v33, v35
	s_and_saveexec_b64 s[22:23], s[2:3]
	s_cbranch_execz .LBB165_20
; %bb.19:                               ;   in Loop: Header=BB165_10 Depth=1
	v_cmp_eq_f32_e64 s[2:3], v33, v35
	s_waitcnt lgkmcnt(0)
	v_cmp_lt_i32_e64 s[4:5], v19, v34
	s_and_b64 s[2:3], s[2:3], s[4:5]
	s_andn2_b64 s[4:5], s[6:7], exec
	s_and_b64 s[2:3], s[2:3], exec
	s_or_b64 s[6:7], s[4:5], s[2:3]
.LBB165_20:                             ;   in Loop: Header=BB165_10 Depth=1
	s_or_b64 exec, exec, s[22:23]
	s_and_saveexec_b64 s[2:3], s[6:7]
	s_cbranch_execz .LBB165_22
; %bb.21:                               ;   in Loop: Header=BB165_10 Depth=1
	v_mov_b32_e32 v33, v35
	s_waitcnt lgkmcnt(1)
	v_mov_b32_e32 v16, v20
	s_waitcnt lgkmcnt(0)
	v_mov_b32_e32 v34, v19
	v_pk_mov_b32 v[18:19], v[20:21], v[20:21] op_sel:[0,1]
.LBB165_22:                             ;   in Loop: Header=BB165_10 Depth=1
	s_or_b64 exec, exec, s[2:3]
	s_waitcnt lgkmcnt(1)
	ds_bpermute_b32 v20, v26, v33
	ds_bpermute_b32 v35, v26, v34
	s_waitcnt lgkmcnt(2)
	ds_bpermute_b32 v19, v26, v16
	s_waitcnt lgkmcnt(2)
	v_cmp_eq_f32_e64 s[4:5], v33, v20
	s_waitcnt lgkmcnt(1)
	v_cmp_lt_i32_e64 s[6:7], v35, v34
	v_cmp_lt_f32_e64 s[2:3], v33, v20
	s_and_b64 s[4:5], s[4:5], s[6:7]
	s_or_b64 s[2:3], s[2:3], s[4:5]
	v_cndmask_b32_e64 v16, v34, v35, s[2:3]
	s_and_saveexec_b64 s[6:7], s[0:1]
	s_cbranch_execnz .LBB165_24
; %bb.23:                               ;   in Loop: Header=BB165_10 Depth=1
	s_or_b64 exec, exec, s[6:7]
	s_add_i32 s25, s25, 1
	s_cmp_ge_i32 s25, s8
	s_cbranch_scc1 .LBB165_9
	s_branch .LBB165_25
.LBB165_24:                             ;   in Loop: Header=BB165_10 Depth=1
	s_waitcnt lgkmcnt(0)
	v_cndmask_b32_e64 v20, v18, v19, s[2:3]
	v_add_u32_e32 v18, s25, v29
	v_ashrrev_i32_e32 v19, 31, v18
	v_cmp_le_i32_e64 s[2:3], s9, v16
	v_cmp_gt_i32_e64 s[4:5], s10, v16
	v_lshlrev_b64 v[18:19], 2, v[18:19]
	s_and_b64 s[4:5], s[2:3], s[4:5]
	v_mov_b32_e32 v33, s17
	v_add_co_u32_e64 v34, s[2:3], s16, v18
	v_addc_co_u32_e64 v35, s[2:3], v33, v19, s[2:3]
	v_subrev_u32_e32 v33, s9, v16
	s_and_b64 s[2:3], s[18:19], s[4:5]
	global_store_dword v[34:35], v20, off
	v_cndmask_b32_e64 v33, v30, v33, s[2:3]
	v_mov_b32_e32 v35, s13
	v_add_co_u32_e64 v34, s[2:3], s12, v18
	v_addc_co_u32_e64 v35, s[2:3], v35, v19, s[2:3]
	global_store_dword v[34:35], v33, off
	v_mov_b32_e32 v33, s15
	v_add_co_u32_e64 v18, s[2:3], s14, v18
	v_addc_co_u32_e64 v19, s[2:3], v33, v19, s[2:3]
	global_store_dword v[18:19], v32, off
	v_add_f32_e32 v18, v28, v20
	v_cndmask_b32_e32 v28, v28, v18, vcc
	s_or_b64 exec, exec, s[6:7]
	s_add_i32 s25, s25, 1
	s_cmp_ge_i32 s25, s8
	s_cbranch_scc1 .LBB165_9
.LBB165_25:                             ;   in Loop: Header=BB165_10 Depth=1
	v_ashrrev_i32_e32 v18, 31, v16
	s_waitcnt lgkmcnt(0)
	v_lshrrev_b32_e32 v19, 29, v18
	v_add_u32_e32 v20, v16, v19
	v_ashrrev_i32_e32 v19, 3, v20
	v_ashrrev_i32_e32 v20, 31, v20
	v_lshrrev_b32_e32 v20, 27, v20
	v_add_u32_e32 v20, v19, v20
	v_and_b32_e32 v20, 0xffffffe0, v20
	v_sub_u32_e32 v20, v19, v20
	v_cmp_eq_u32_e64 s[2:3], v21, v20
	s_and_saveexec_b64 s[4:5], s[2:3]
	s_cbranch_execz .LBB165_8
; %bb.26:                               ;   in Loop: Header=BB165_10 Depth=1
	v_add_u32_sdwa v18, v16, v18 dst_sel:DWORD dst_unused:UNUSED_PAD src0_sel:DWORD src1_sel:BYTE_3
	v_lshlrev_b32_e32 v19, 3, v19
	v_ashrrev_i32_e32 v18, 8, v18
	v_sub_u32_e32 v16, v16, v19
	v_lshl_add_u32 v16, v18, 3, v16
	v_cmp_ne_u32_e64 s[2:3], 7, v16
	v_cndmask_b32_e64 v15, v31, v15, s[2:3]
	v_cmp_ne_u32_e64 s[2:3], 6, v16
	v_cndmask_b32_e64 v14, v31, v14, s[2:3]
	;; [unrolled: 2-line block ×8, first 2 shown]
	s_branch .LBB165_8
.LBB165_27:
                                        ; implicit-def: $vgpr8_vgpr9_vgpr10_vgpr11_vgpr12_vgpr13_vgpr14_vgpr15
	s_andn2_b64 vcc, exec, s[6:7]
	s_cbranch_vccz .LBB165_5
	s_branch .LBB165_6
.LBB165_28:
	v_mov_b32_e32 v28, 0
.LBB165_29:
	v_cmp_eq_u32_e64 s[0:1], 0, v21
	s_and_b64 s[0:1], s[0:1], vcc
	s_and_b64 exec, exec, s[0:1]
	s_cbranch_execz .LBB165_38
; %bb.30:
	s_andn2_b64 vcc, exec, s[20:21]
	s_cbranch_vccnz .LBB165_38
; %bb.31:
	v_cmp_lt_f32_e32 vcc, 0, v28
	s_mov_b32 s2, 0
	v_cndmask_b32_e32 v0, 1.0, v28, vcc
	v_mul_lo_u32 v4, v17, s8
	s_cmp_eq_u32 s8, 1
	s_mov_b64 s[0:1], -1
	s_cbranch_scc1 .LBB165_35
; %bb.32:
	s_and_b32 s2, s8, 0x7ffffffe
	v_mov_b32_e32 v1, v0
	v_mov_b32_e32 v5, s17
	s_mov_b32 s3, s2
	v_mov_b32_e32 v2, v4
.LBB165_33:                             ; =>This Inner Loop Header: Depth=1
	v_ashrrev_i32_e32 v3, 31, v2
	v_lshlrev_b64 v[6:7], 2, v[2:3]
	v_add_co_u32_e32 v6, vcc, s16, v6
	v_addc_co_u32_e32 v7, vcc, v5, v7, vcc
	global_load_dwordx2 v[8:9], v[6:7], off
	s_add_i32 s3, s3, -2
	s_cmp_lg_u32 s3, 0
	v_add_u32_e32 v2, 2, v2
	s_waitcnt vmcnt(0)
	v_div_scale_f32 v3, s[0:1], v1, v1, v9
	v_div_scale_f32 v11, s[0:1], v0, v0, v8
	v_rcp_f32_e32 v12, v3
	v_rcp_f32_e32 v13, v11
	v_div_scale_f32 v10, vcc, v9, v1, v9
	v_fma_f32 v15, -v3, v12, 1.0
	v_fma_f32 v16, -v11, v13, 1.0
	v_fmac_f32_e32 v12, v15, v12
	v_div_scale_f32 v14, s[0:1], v8, v0, v8
	v_fmac_f32_e32 v13, v16, v13
	v_mul_f32_e32 v15, v10, v12
	v_mul_f32_e32 v16, v14, v13
	v_fma_f32 v17, -v3, v15, v10
	v_fma_f32 v18, -v11, v16, v14
	v_fmac_f32_e32 v15, v17, v12
	v_fmac_f32_e32 v16, v18, v13
	v_fma_f32 v3, -v3, v15, v10
	v_fma_f32 v10, -v11, v16, v14
	v_div_fmas_f32 v3, v3, v12, v15
	s_mov_b64 vcc, s[0:1]
	v_div_fixup_f32 v9, v3, v1, v9
	v_div_fmas_f32 v3, v10, v13, v16
	v_div_fixup_f32 v8, v3, v0, v8
	global_store_dwordx2 v[6:7], v[8:9], off
	s_cbranch_scc1 .LBB165_33
; %bb.34:
	s_cmp_lg_u32 s2, s8
	s_cselect_b64 s[0:1], -1, 0
.LBB165_35:
	s_and_b64 vcc, exec, s[0:1]
	s_cbranch_vccz .LBB165_38
; %bb.36:
	v_ashrrev_i32_e32 v1, 31, v4
	v_add_co_u32_e32 v2, vcc, s2, v4
	v_addc_co_u32_e32 v3, vcc, 0, v1, vcc
	v_lshlrev_b64 v[2:3], 2, v[2:3]
	v_mov_b32_e32 v1, s17
	v_add_co_u32_e32 v2, vcc, s16, v2
	s_sub_i32 s0, s8, s2
	v_addc_co_u32_e32 v3, vcc, v1, v3, vcc
.LBB165_37:                             ; =>This Inner Loop Header: Depth=1
	global_load_dword v1, v[2:3], off
	s_add_i32 s0, s0, -1
	s_cmp_lg_u32 s0, 0
	s_waitcnt vmcnt(0)
	v_div_scale_f32 v4, s[2:3], v0, v0, v1
	v_rcp_f32_e32 v5, v4
	v_div_scale_f32 v6, vcc, v1, v0, v1
	v_fma_f32 v7, -v4, v5, 1.0
	v_fmac_f32_e32 v5, v7, v5
	v_mul_f32_e32 v7, v6, v5
	v_fma_f32 v8, -v4, v7, v6
	v_fmac_f32_e32 v7, v8, v5
	v_fma_f32 v4, -v4, v7, v6
	v_div_fmas_f32 v4, v4, v5, v7
	v_div_fixup_f32 v1, v4, v0, v1
	global_store_dword v[2:3], v1, off
	v_add_co_u32_e32 v2, vcc, 4, v2
	v_addc_co_u32_e32 v3, vcc, 0, v3, vcc
	s_cbranch_scc1 .LBB165_37
.LBB165_38:
	s_endpgm
	.section	.rodata,"a",@progbits
	.p2align	6, 0x0
	.amdhsa_kernel _ZN4vllm3moe10topkGatingILi8ELi256ELi4ELi16ELi32Ej14__hip_bfloat16LNS0_11ScoringFuncE0EEEvPKT5_PKbPfiPT4_PiiiibPKf
		.amdhsa_group_segment_fixed_size 0
		.amdhsa_private_segment_fixed_size 0
		.amdhsa_kernarg_size 72
		.amdhsa_user_sgpr_count 6
		.amdhsa_user_sgpr_private_segment_buffer 1
		.amdhsa_user_sgpr_dispatch_ptr 0
		.amdhsa_user_sgpr_queue_ptr 0
		.amdhsa_user_sgpr_kernarg_segment_ptr 1
		.amdhsa_user_sgpr_dispatch_id 0
		.amdhsa_user_sgpr_flat_scratch_init 0
		.amdhsa_user_sgpr_kernarg_preload_length 0
		.amdhsa_user_sgpr_kernarg_preload_offset 0
		.amdhsa_user_sgpr_private_segment_size 0
		.amdhsa_uses_dynamic_stack 0
		.amdhsa_system_sgpr_private_segment_wavefront_offset 0
		.amdhsa_system_sgpr_workgroup_id_x 1
		.amdhsa_system_sgpr_workgroup_id_y 0
		.amdhsa_system_sgpr_workgroup_id_z 0
		.amdhsa_system_sgpr_workgroup_info 0
		.amdhsa_system_vgpr_workitem_id 1
		.amdhsa_next_free_vgpr 37
		.amdhsa_next_free_sgpr 26
		.amdhsa_accum_offset 40
		.amdhsa_reserve_vcc 1
		.amdhsa_reserve_flat_scratch 0
		.amdhsa_float_round_mode_32 0
		.amdhsa_float_round_mode_16_64 0
		.amdhsa_float_denorm_mode_32 3
		.amdhsa_float_denorm_mode_16_64 3
		.amdhsa_dx10_clamp 1
		.amdhsa_ieee_mode 1
		.amdhsa_fp16_overflow 0
		.amdhsa_tg_split 0
		.amdhsa_exception_fp_ieee_invalid_op 0
		.amdhsa_exception_fp_denorm_src 0
		.amdhsa_exception_fp_ieee_div_zero 0
		.amdhsa_exception_fp_ieee_overflow 0
		.amdhsa_exception_fp_ieee_underflow 0
		.amdhsa_exception_fp_ieee_inexact 0
		.amdhsa_exception_int_div_zero 0
	.end_amdhsa_kernel
	.section	.text._ZN4vllm3moe10topkGatingILi8ELi256ELi4ELi16ELi32Ej14__hip_bfloat16LNS0_11ScoringFuncE0EEEvPKT5_PKbPfiPT4_PiiiibPKf,"axG",@progbits,_ZN4vllm3moe10topkGatingILi8ELi256ELi4ELi16ELi32Ej14__hip_bfloat16LNS0_11ScoringFuncE0EEEvPKT5_PKbPfiPT4_PiiiibPKf,comdat
.Lfunc_end165:
	.size	_ZN4vllm3moe10topkGatingILi8ELi256ELi4ELi16ELi32Ej14__hip_bfloat16LNS0_11ScoringFuncE0EEEvPKT5_PKbPfiPT4_PiiiibPKf, .Lfunc_end165-_ZN4vllm3moe10topkGatingILi8ELi256ELi4ELi16ELi32Ej14__hip_bfloat16LNS0_11ScoringFuncE0EEEvPKT5_PKbPfiPT4_PiiiibPKf
                                        ; -- End function
	.section	.AMDGPU.csdata,"",@progbits
; Kernel info:
; codeLenInByte = 3344
; NumSgprs: 30
; NumVgprs: 37
; NumAgprs: 0
; TotalNumVgprs: 37
; ScratchSize: 0
; MemoryBound: 0
; FloatMode: 240
; IeeeMode: 1
; LDSByteSize: 0 bytes/workgroup (compile time only)
; SGPRBlocks: 3
; VGPRBlocks: 4
; NumSGPRsForWavesPerEU: 30
; NumVGPRsForWavesPerEU: 37
; AccumOffset: 40
; Occupancy: 8
; WaveLimiterHint : 0
; COMPUTE_PGM_RSRC2:SCRATCH_EN: 0
; COMPUTE_PGM_RSRC2:USER_SGPR: 6
; COMPUTE_PGM_RSRC2:TRAP_HANDLER: 0
; COMPUTE_PGM_RSRC2:TGID_X_EN: 1
; COMPUTE_PGM_RSRC2:TGID_Y_EN: 0
; COMPUTE_PGM_RSRC2:TGID_Z_EN: 0
; COMPUTE_PGM_RSRC2:TIDIG_COMP_CNT: 1
; COMPUTE_PGM_RSRC3_GFX90A:ACCUM_OFFSET: 9
; COMPUTE_PGM_RSRC3_GFX90A:TG_SPLIT: 0
	.section	.text._ZN4vllm3moe10topkGatingILi8ELi512ELi4ELi16ELi64Ej14__hip_bfloat16LNS0_11ScoringFuncE0EEEvPKT5_PKbPfiPT4_PiiiibPKf,"axG",@progbits,_ZN4vllm3moe10topkGatingILi8ELi512ELi4ELi16ELi64Ej14__hip_bfloat16LNS0_11ScoringFuncE0EEEvPKT5_PKbPfiPT4_PiiiibPKf,comdat
	.protected	_ZN4vllm3moe10topkGatingILi8ELi512ELi4ELi16ELi64Ej14__hip_bfloat16LNS0_11ScoringFuncE0EEEvPKT5_PKbPfiPT4_PiiiibPKf ; -- Begin function _ZN4vllm3moe10topkGatingILi8ELi512ELi4ELi16ELi64Ej14__hip_bfloat16LNS0_11ScoringFuncE0EEEvPKT5_PKbPfiPT4_PiiiibPKf
	.globl	_ZN4vllm3moe10topkGatingILi8ELi512ELi4ELi16ELi64Ej14__hip_bfloat16LNS0_11ScoringFuncE0EEEvPKT5_PKbPfiPT4_PiiiibPKf
	.p2align	8
	.type	_ZN4vllm3moe10topkGatingILi8ELi512ELi4ELi16ELi64Ej14__hip_bfloat16LNS0_11ScoringFuncE0EEEvPKT5_PKbPfiPT4_PiiiibPKf,@function
_ZN4vllm3moe10topkGatingILi8ELi512ELi4ELi16ELi64Ej14__hip_bfloat16LNS0_11ScoringFuncE0EEEvPKT5_PKbPfiPT4_PiiiibPKf: ; @_ZN4vllm3moe10topkGatingILi8ELi512ELi4ELi16ELi64Ej14__hip_bfloat16LNS0_11ScoringFuncE0EEEvPKT5_PKbPfiPT4_PiiiibPKf
; %bb.0:
	s_load_dword s24, s[4:5], 0x18
	v_and_b32_e32 v1, 0x3ff, v0
	s_lshl_b32 s0, s6, 2
	v_lshrrev_b32_e32 v2, 6, v1
	v_bfe_u32 v0, v0, 10, 10
	v_add3_u32 v17, s0, v0, v2
	s_waitcnt lgkmcnt(0)
	v_cmp_gt_i32_e32 vcc, s24, v17
	s_and_saveexec_b64 s[0:1], vcc
	s_cbranch_execz .LBB166_42
; %bb.1:
	s_load_dwordx4 s[0:3], s[4:5], 0x0
	s_load_dwordx2 s[16:17], s[4:5], 0x10
	s_mov_b64 s[6:7], -1
	s_mov_b64 s[18:19], -1
	s_waitcnt lgkmcnt(0)
	s_cmp_eq_u64 s[2:3], 0
	s_cbranch_scc1 .LBB166_3
; %bb.2:
	v_ashrrev_i32_e32 v0, 31, v17
	v_mov_b32_e32 v3, s3
	v_add_co_u32_e32 v2, vcc, s2, v17
	v_addc_co_u32_e32 v3, vcc, v3, v0, vcc
	global_load_ubyte v0, v[2:3], off
	s_waitcnt vmcnt(0)
	v_and_b32_e32 v0, 1, v0
	v_cmp_eq_u32_e32 vcc, 1, v0
	s_xor_b64 s[2:3], vcc, -1
	s_orn2_b64 s[18:19], s[2:3], exec
.LBB166_3:
	v_lshlrev_b32_e32 v2, 9, v17
	v_ashrrev_i32_e32 v3, 31, v2
	v_lshlrev_b64 v[2:3], 1, v[2:3]
	v_mov_b32_e32 v0, s1
	v_add_co_u32_e32 v2, vcc, s0, v2
	v_and_b32_e32 v21, 63, v1
	v_addc_co_u32_e32 v3, vcc, v0, v3, vcc
	v_lshlrev_b32_e32 v0, 4, v21
	v_add_co_u32_e32 v0, vcc, v2, v0
	v_addc_co_u32_e32 v1, vcc, 0, v3, vcc
	global_load_dwordx4 v[0:3], v[0:1], off
	v_mbcnt_lo_u32_b32 v4, -1, 0
	v_mbcnt_hi_u32_b32 v4, -1, v4
	v_and_b32_e32 v5, 64, v4
	v_xor_b32_e32 v6, 32, v4
	v_add_u32_e32 v5, 64, v5
	v_cmp_lt_i32_e32 vcc, v6, v5
	v_cndmask_b32_e32 v6, v4, v6, vcc
	v_lshlrev_b32_e32 v22, 2, v6
	v_xor_b32_e32 v12, 16, v4
	v_cmp_lt_i32_e32 vcc, v12, v5
	v_cndmask_b32_e32 v12, v4, v12, vcc
	v_lshlrev_b32_e32 v23, 2, v12
	v_xor_b32_e32 v12, 8, v4
	;; [unrolled: 4-line block ×5, first 2 shown]
	v_cmp_lt_i32_e32 vcc, v12, v5
	v_cndmask_b32_e32 v4, v4, v12, vcc
	v_lshlrev_b32_e32 v27, 2, v4
	s_mov_b32 s0, 0x3fb8aa3b
	s_mov_b32 s1, 0xc2ce8ed0
	;; [unrolled: 1-line block ×3, first 2 shown]
	s_waitcnt vmcnt(0)
	v_lshlrev_b32_e32 v6, 16, v0
	v_and_b32_e32 v7, 0xffff0000, v0
	v_max_f32_e32 v10, v7, v7
	v_max_f32_e32 v11, v6, v6
	v_lshlrev_b32_e32 v8, 16, v1
	v_and_b32_e32 v0, 0xffff0000, v1
	v_max_f32_e32 v10, v11, v10
	v_lshlrev_b32_e32 v1, 16, v2
	v_and_b32_e32 v2, 0xffff0000, v2
	v_max3_f32 v10, v10, v8, v0
	v_and_b32_e32 v9, 0xffff0000, v3
	v_lshlrev_b32_e32 v3, 16, v3
	v_max3_f32 v10, v10, v1, v2
	v_max3_f32 v10, v10, v3, v9
	ds_bpermute_b32 v11, v22, v10
	s_waitcnt lgkmcnt(0)
	v_max_f32_e32 v11, v11, v11
	v_max_f32_e32 v10, v10, v11
	ds_bpermute_b32 v11, v23, v10
	s_waitcnt lgkmcnt(0)
	v_max_f32_e32 v11, v11, v11
	v_max_f32_e32 v10, v10, v11
	ds_bpermute_b32 v11, v24, v10
	s_waitcnt lgkmcnt(0)
	v_max_f32_e32 v11, v11, v11
	v_max_f32_e32 v10, v10, v11
	ds_bpermute_b32 v11, v25, v10
	s_waitcnt lgkmcnt(0)
	v_max_f32_e32 v11, v11, v11
	v_max_f32_e32 v10, v10, v11
	ds_bpermute_b32 v11, v26, v10
	s_waitcnt lgkmcnt(0)
	v_max_f32_e32 v4, v11, v11
	v_max_f32_e32 v4, v10, v4
	ds_bpermute_b32 v5, v27, v4
	v_mov_b32_e32 v10, 0x7f800000
	s_waitcnt lgkmcnt(0)
	v_max_f32_e32 v5, v5, v5
	v_max_f32_e32 v4, v4, v5
	v_sub_f32_e32 v5, v6, v4
	v_sub_f32_e32 v6, v7, v4
	;; [unrolled: 1-line block ×3, first 2 shown]
	v_mul_f32_e32 v8, 0x3fb8aa3b, v5
	v_mul_f32_e32 v11, 0x3fb8aa3b, v6
	v_fma_f32 v15, v5, s0, -v8
	v_rndne_f32_e32 v16, v8
	v_pk_add_f32 v[0:1], v[0:1], v[4:5] op_sel_hi:[1,0] neg_lo:[0,1] neg_hi:[0,1]
	v_mul_f32_e32 v12, 0x3fb8aa3b, v7
	v_fma_f32 v18, v6, s0, -v11
	v_rndne_f32_e32 v19, v11
	v_fmac_f32_e32 v15, 0x32a5705f, v5
	v_sub_f32_e32 v8, v8, v16
	v_mul_f32_e32 v13, 0x3fb8aa3b, v1
	v_fma_f32 v20, v7, s0, -v12
	v_rndne_f32_e32 v28, v12
	v_fmac_f32_e32 v18, 0x32a5705f, v6
	v_sub_f32_e32 v11, v11, v19
	v_add_f32_e32 v8, v8, v15
	v_fma_f32 v29, v1, s0, -v13
	v_rndne_f32_e32 v30, v13
	v_cvt_i32_f32_e32 v16, v16
	v_fmac_f32_e32 v20, 0x32a5705f, v7
	v_sub_f32_e32 v12, v12, v28
	v_add_f32_e32 v11, v11, v18
	v_exp_f32_e32 v8, v8
	v_cvt_i32_f32_e32 v19, v19
	v_fmac_f32_e32 v29, 0x32a5705f, v1
	v_sub_f32_e32 v13, v13, v30
	v_add_f32_e32 v12, v12, v20
	v_exp_f32_e32 v11, v11
	v_cvt_i32_f32_e32 v28, v28
	v_add_f32_e32 v13, v13, v29
	v_exp_f32_e32 v12, v12
	v_cvt_i32_f32_e32 v30, v30
	v_exp_f32_e32 v13, v13
	v_mul_f32_e32 v14, 0x3fb8aa3b, v0
	v_ldexp_f32 v8, v8, v16
	v_cmp_ngt_f32_e32 vcc, s1, v5
	v_fma_f32 v31, v0, s0, -v14
	v_rndne_f32_e32 v32, v14
	v_ldexp_f32 v11, v11, v19
	v_cndmask_b32_e32 v8, 0, v8, vcc
	v_cmp_ngt_f32_e32 vcc, s1, v6
	v_fmac_f32_e32 v31, 0x32a5705f, v0
	v_sub_f32_e32 v14, v14, v32
	v_ldexp_f32 v12, v12, v28
	v_cndmask_b32_e32 v11, 0, v11, vcc
	v_cmp_ngt_f32_e32 vcc, s1, v7
	v_add_f32_e32 v14, v14, v31
	v_ldexp_f32 v13, v13, v30
	v_cndmask_b32_e32 v12, 0, v12, vcc
	v_cmp_ngt_f32_e32 vcc, s1, v1
	v_cvt_i32_f32_e32 v32, v32
	v_exp_f32_e32 v14, v14
	v_cndmask_b32_e32 v13, 0, v13, vcc
	v_cmp_nlt_f32_e32 vcc, s2, v5
	v_cndmask_b32_e32 v5, v10, v8, vcc
	v_cmp_nlt_f32_e32 vcc, s2, v6
	;; [unrolled: 2-line block ×4, first 2 shown]
	v_pk_add_f32 v[2:3], v[2:3], v[4:5] op_sel_hi:[1,0] neg_lo:[0,1] neg_hi:[0,1]
	v_ldexp_f32 v14, v14, v32
	v_cndmask_b32_e32 v1, v10, v13, vcc
	v_cmp_ngt_f32_e32 vcc, s1, v0
	v_mul_f32_e32 v12, 0x3fb8aa3b, v3
	v_cndmask_b32_e32 v11, 0, v14, vcc
	v_fma_f32 v13, v3, s0, -v12
	v_rndne_f32_e32 v14, v12
	v_fmac_f32_e32 v13, 0x32a5705f, v3
	v_sub_f32_e32 v12, v12, v14
	v_add_f32_e32 v12, v12, v13
	v_exp_f32_e32 v12, v12
	v_cvt_i32_f32_e32 v13, v14
	v_cmp_nlt_f32_e32 vcc, s2, v0
	v_cndmask_b32_e32 v0, v10, v11, vcc
	v_cmp_ngt_f32_e32 vcc, s1, v3
	v_ldexp_f32 v11, v12, v13
	v_mul_f32_e32 v12, 0x3fb8aa3b, v2
	v_fma_f32 v13, v2, s0, -v12
	v_rndne_f32_e32 v14, v12
	v_fmac_f32_e32 v13, 0x32a5705f, v2
	v_sub_f32_e32 v12, v12, v14
	v_add_f32_e32 v12, v12, v13
	v_exp_f32_e32 v12, v12
	v_cvt_i32_f32_e32 v13, v14
	v_sub_f32_e32 v4, v9, v4
	v_cndmask_b32_e32 v11, 0, v11, vcc
	v_cmp_nlt_f32_e32 vcc, s2, v3
	v_mul_f32_e32 v9, 0x3fb8aa3b, v4
	v_cndmask_b32_e32 v3, v10, v11, vcc
	v_ldexp_f32 v11, v12, v13
	v_fma_f32 v12, v4, s0, -v9
	v_rndne_f32_e32 v13, v9
	v_fmac_f32_e32 v12, 0x32a5705f, v4
	v_sub_f32_e32 v9, v9, v13
	v_add_f32_e32 v9, v9, v12
	v_exp_f32_e32 v9, v9
	v_cvt_i32_f32_e32 v12, v13
	v_add_f32_e32 v8, v5, v6
	v_add_f32_e32 v8, v8, v7
	v_cmp_ngt_f32_e32 vcc, s1, v2
	v_add_f32_e32 v8, v8, v0
	v_cndmask_b32_e32 v11, 0, v11, vcc
	v_cmp_nlt_f32_e32 vcc, s2, v2
	v_add_f32_e32 v8, v8, v1
	v_cndmask_b32_e32 v2, v10, v11, vcc
	v_ldexp_f32 v9, v9, v12
	v_cmp_ngt_f32_e32 vcc, s1, v4
	v_add_f32_e32 v8, v8, v2
	v_cndmask_b32_e32 v9, 0, v9, vcc
	v_cmp_nlt_f32_e32 vcc, s2, v4
	v_add_f32_e32 v8, v8, v3
	v_cndmask_b32_e32 v10, v10, v9, vcc
	v_add_f32_e32 v4, v8, v10
	ds_bpermute_b32 v8, v22, v4
	s_movk_i32 s2, 0x1f8
	v_lshlrev_b32_e32 v28, 3, v21
	s_waitcnt lgkmcnt(0)
	v_add_f32_e32 v4, v4, v8
	ds_bpermute_b32 v8, v23, v4
	s_waitcnt lgkmcnt(0)
	v_add_f32_e32 v4, v4, v8
	ds_bpermute_b32 v8, v24, v4
	;; [unrolled: 3-line block ×5, first 2 shown]
	s_waitcnt lgkmcnt(0)
	v_add_f32_e32 v4, v4, v8
	v_div_scale_f32 v8, s[0:1], v4, v4, 1.0
	v_rcp_f32_e32 v9, v8
	s_load_dwordx2 s[0:1], s[4:5], 0x40
	v_fma_f32 v11, -v8, v9, 1.0
	v_fmac_f32_e32 v9, v11, v9
	v_div_scale_f32 v11, vcc, 1.0, v4, 1.0
	v_mul_f32_e32 v12, v11, v9
	v_fma_f32 v13, -v8, v12, v11
	v_fmac_f32_e32 v12, v13, v9
	v_fma_f32 v8, -v8, v12, v11
	v_div_fmas_f32 v8, v8, v9, v12
	v_div_fixup_f32 v4, v8, v4, 1.0
	v_mul_f32_e32 v5, v4, v5
	v_mul_f32_e32 v11, v4, v6
	v_cmp_class_f32_e64 vcc, v5, s2
	v_mul_f32_e32 v12, v4, v7
	v_pk_mul_f32 v[6:7], v[4:5], v[0:1] op_sel_hi:[0,1]
	v_cndmask_b32_e32 v0, 0, v5, vcc
	v_cmp_class_f32_e64 vcc, v11, s2
	v_pk_mul_f32 v[8:9], v[4:5], v[2:3] op_sel_hi:[0,1]
	v_cndmask_b32_e32 v1, 0, v11, vcc
	v_cmp_class_f32_e64 vcc, v12, s2
	v_mov_b32_e32 v5, 0x207
	v_cndmask_b32_e32 v2, 0, v12, vcc
	v_cmp_class_f32_e32 vcc, v7, v5
	v_mul_f32_e32 v10, v4, v10
	v_cndmask_b32_e64 v4, v7, 0, vcc
	v_cmp_class_f32_e32 vcc, v6, v5
	v_cndmask_b32_e64 v3, v6, 0, vcc
	v_cmp_class_f32_e32 vcc, v9, v5
	;; [unrolled: 2-line block ×3, first 2 shown]
	v_cndmask_b32_e64 v5, v8, 0, vcc
	v_cmp_class_f32_e64 vcc, v10, s2
	s_waitcnt lgkmcnt(0)
	s_cmp_eq_u64 s[0:1], 0
	v_cndmask_b32_e32 v7, 0, v10, vcc
	s_cbranch_scc1 .LBB166_31
; %bb.4:
	v_lshlrev_b32_e32 v16, 2, v28
	global_load_dwordx4 v[8:11], v16, s[0:1]
	global_load_dwordx4 v[12:15], v16, s[0:1] offset:16
	s_waitcnt vmcnt(1)
	v_pk_add_f32 v[8:9], v[8:9], v[0:1]
	v_pk_add_f32 v[10:11], v[10:11], v[2:3]
	s_waitcnt vmcnt(0)
	v_pk_add_f32 v[12:13], v[12:13], v[4:5]
	v_pk_add_f32 v[14:15], v[14:15], v[6:7]
	s_cbranch_execnz .LBB166_6
.LBB166_5:
	v_pk_mov_b32 v[14:15], v[6:7], v[6:7] op_sel:[0,1]
	v_pk_mov_b32 v[12:13], v[4:5], v[4:5] op_sel:[0,1]
	;; [unrolled: 1-line block ×4, first 2 shown]
.LBB166_6:
	s_load_dwordx4 s[8:11], s[4:5], 0x30
	s_mov_b32 s25, 0
	v_cmp_eq_u32_e64 s[0:1], 0, v21
	s_waitcnt lgkmcnt(0)
	s_bitcmp1_b32 s11, 0
	s_cselect_b64 vcc, -1, 0
	s_cmp_gt_i32 s8, 0
	s_cselect_b64 s[20:21], -1, 0
	s_cmp_lt_i32 s8, 1
	s_cbranch_scc1 .LBB166_32
; %bb.7:
	s_load_dwordx4 s[12:15], s[4:5], 0x20
	v_mul_lo_u32 v30, v17, s8
	v_mov_b32_e32 v29, 0
	v_mov_b32_e32 v31, 0x200
	;; [unrolled: 1-line block ×4, first 2 shown]
	s_branch .LBB166_10
.LBB166_8:                              ;   in Loop: Header=BB166_10 Depth=1
	s_or_b64 exec, exec, s[4:5]
.LBB166_9:                              ;   in Loop: Header=BB166_10 Depth=1
	s_cmp_eq_u32 s8, s25
	v_add_u32_e32 v33, s24, v33
	s_cbranch_scc1 .LBB166_33
.LBB166_10:                             ; =>This Inner Loop Header: Depth=1
	v_cmp_gt_f32_e64 s[2:3], v9, v8
	v_cndmask_b32_e64 v16, v8, v9, s[2:3]
	v_cndmask_b32_e64 v18, v0, v1, s[2:3]
	s_waitcnt lgkmcnt(0)
	v_cndmask_b32_e64 v19, 0, 1, s[2:3]
	v_cmp_gt_f32_e64 s[2:3], v10, v16
	v_cndmask_b32_e64 v16, v16, v10, s[2:3]
	v_cndmask_b32_e64 v18, v18, v2, s[2:3]
	v_cndmask_b32_e64 v19, v19, 2, s[2:3]
	v_cmp_gt_f32_e64 s[2:3], v11, v16
	v_cndmask_b32_e64 v16, v16, v11, s[2:3]
	v_cndmask_b32_e64 v18, v18, v3, s[2:3]
	;; [unrolled: 4-line block ×6, first 2 shown]
	v_or_b32_e32 v19, v28, v19
	ds_bpermute_b32 v20, v22, v16
	ds_bpermute_b32 v34, v22, v19
	v_cndmask_b32_e64 v18, v18, v7, s[2:3]
	ds_bpermute_b32 v36, v22, v18
	s_waitcnt lgkmcnt(0)
	v_cmp_eq_f32_e64 s[4:5], v16, v20
	v_cmp_lt_i32_e64 s[6:7], v34, v19
	v_cmp_lt_f32_e64 s[2:3], v16, v20
	s_and_b64 s[4:5], s[4:5], s[6:7]
	s_or_b64 s[2:3], s[2:3], s[4:5]
	v_cndmask_b32_e64 v35, v19, v34, s[2:3]
	v_cndmask_b32_e64 v34, v16, v20, s[2:3]
	;; [unrolled: 1-line block ×3, first 2 shown]
	ds_bpermute_b32 v37, v23, v34
	ds_bpermute_b32 v20, v23, v16
	ds_bpermute_b32 v36, v23, v35
                                        ; implicit-def: $vgpr18_vgpr19
	s_waitcnt lgkmcnt(2)
	v_cmp_lt_f32_e64 s[6:7], v34, v37
	v_cmp_nlt_f32_e64 s[2:3], v34, v37
	s_and_saveexec_b64 s[22:23], s[2:3]
	s_cbranch_execz .LBB166_12
; %bb.11:                               ;   in Loop: Header=BB166_10 Depth=1
	v_cmp_eq_f32_e64 s[2:3], v34, v37
	s_waitcnt lgkmcnt(0)
	v_cmp_lt_i32_e64 s[4:5], v36, v35
	s_and_b64 s[2:3], s[2:3], s[4:5]
	s_andn2_b64 s[4:5], s[6:7], exec
	s_and_b64 s[2:3], s[2:3], exec
	s_or_b64 s[6:7], s[4:5], s[2:3]
	v_pk_mov_b32 v[18:19], v[16:17], v[16:17] op_sel:[0,1]
.LBB166_12:                             ;   in Loop: Header=BB166_10 Depth=1
	s_or_b64 exec, exec, s[22:23]
	s_and_saveexec_b64 s[2:3], s[6:7]
	s_cbranch_execz .LBB166_14
; %bb.13:                               ;   in Loop: Header=BB166_10 Depth=1
	v_mov_b32_e32 v34, v37
	s_waitcnt lgkmcnt(1)
	v_mov_b32_e32 v16, v20
	s_waitcnt lgkmcnt(0)
	v_mov_b32_e32 v35, v36
	v_pk_mov_b32 v[18:19], v[20:21], v[20:21] op_sel:[0,1]
.LBB166_14:                             ;   in Loop: Header=BB166_10 Depth=1
	s_or_b64 exec, exec, s[2:3]
	s_waitcnt lgkmcnt(0)
	ds_bpermute_b32 v36, v24, v34
	ds_bpermute_b32 v20, v24, v16
	;; [unrolled: 1-line block ×3, first 2 shown]
	s_waitcnt lgkmcnt(2)
	v_cmp_lt_f32_e64 s[6:7], v34, v36
	v_cmp_nlt_f32_e64 s[2:3], v34, v36
	s_and_saveexec_b64 s[22:23], s[2:3]
	s_cbranch_execz .LBB166_16
; %bb.15:                               ;   in Loop: Header=BB166_10 Depth=1
	v_cmp_eq_f32_e64 s[2:3], v34, v36
	s_waitcnt lgkmcnt(0)
	v_cmp_lt_i32_e64 s[4:5], v19, v35
	s_and_b64 s[2:3], s[2:3], s[4:5]
	s_andn2_b64 s[4:5], s[6:7], exec
	s_and_b64 s[2:3], s[2:3], exec
	s_or_b64 s[6:7], s[4:5], s[2:3]
.LBB166_16:                             ;   in Loop: Header=BB166_10 Depth=1
	s_or_b64 exec, exec, s[22:23]
	s_and_saveexec_b64 s[2:3], s[6:7]
	s_cbranch_execz .LBB166_18
; %bb.17:                               ;   in Loop: Header=BB166_10 Depth=1
	v_mov_b32_e32 v34, v36
	s_waitcnt lgkmcnt(1)
	v_mov_b32_e32 v16, v20
	s_waitcnt lgkmcnt(0)
	v_mov_b32_e32 v35, v19
	v_pk_mov_b32 v[18:19], v[20:21], v[20:21] op_sel:[0,1]
.LBB166_18:                             ;   in Loop: Header=BB166_10 Depth=1
	s_or_b64 exec, exec, s[2:3]
	ds_bpermute_b32 v36, v25, v34
	s_waitcnt lgkmcnt(2)
	ds_bpermute_b32 v20, v25, v16
	s_waitcnt lgkmcnt(2)
	;; [unrolled: 2-line block ×3, first 2 shown]
	v_cmp_lt_f32_e64 s[6:7], v34, v36
	v_cmp_nlt_f32_e64 s[2:3], v34, v36
	s_and_saveexec_b64 s[22:23], s[2:3]
	s_cbranch_execz .LBB166_20
; %bb.19:                               ;   in Loop: Header=BB166_10 Depth=1
	v_cmp_eq_f32_e64 s[2:3], v34, v36
	s_waitcnt lgkmcnt(0)
	v_cmp_lt_i32_e64 s[4:5], v19, v35
	s_and_b64 s[2:3], s[2:3], s[4:5]
	s_andn2_b64 s[4:5], s[6:7], exec
	s_and_b64 s[2:3], s[2:3], exec
	s_or_b64 s[6:7], s[4:5], s[2:3]
.LBB166_20:                             ;   in Loop: Header=BB166_10 Depth=1
	s_or_b64 exec, exec, s[22:23]
	s_and_saveexec_b64 s[2:3], s[6:7]
	s_cbranch_execz .LBB166_22
; %bb.21:                               ;   in Loop: Header=BB166_10 Depth=1
	v_mov_b32_e32 v34, v36
	s_waitcnt lgkmcnt(1)
	v_mov_b32_e32 v16, v20
	s_waitcnt lgkmcnt(0)
	v_mov_b32_e32 v35, v19
	v_pk_mov_b32 v[18:19], v[20:21], v[20:21] op_sel:[0,1]
.LBB166_22:                             ;   in Loop: Header=BB166_10 Depth=1
	s_or_b64 exec, exec, s[2:3]
	ds_bpermute_b32 v36, v26, v34
	s_waitcnt lgkmcnt(2)
	ds_bpermute_b32 v20, v26, v16
	s_waitcnt lgkmcnt(2)
	;; [unrolled: 2-line block ×3, first 2 shown]
	v_cmp_lt_f32_e64 s[6:7], v34, v36
	v_cmp_nlt_f32_e64 s[2:3], v34, v36
	s_and_saveexec_b64 s[22:23], s[2:3]
	s_cbranch_execz .LBB166_24
; %bb.23:                               ;   in Loop: Header=BB166_10 Depth=1
	v_cmp_eq_f32_e64 s[2:3], v34, v36
	s_waitcnt lgkmcnt(0)
	v_cmp_lt_i32_e64 s[4:5], v19, v35
	s_and_b64 s[2:3], s[2:3], s[4:5]
	s_andn2_b64 s[4:5], s[6:7], exec
	s_and_b64 s[2:3], s[2:3], exec
	s_or_b64 s[6:7], s[4:5], s[2:3]
.LBB166_24:                             ;   in Loop: Header=BB166_10 Depth=1
	s_or_b64 exec, exec, s[22:23]
	s_and_saveexec_b64 s[2:3], s[6:7]
	s_cbranch_execz .LBB166_26
; %bb.25:                               ;   in Loop: Header=BB166_10 Depth=1
	v_mov_b32_e32 v34, v36
	s_waitcnt lgkmcnt(1)
	v_mov_b32_e32 v16, v20
	s_waitcnt lgkmcnt(0)
	v_mov_b32_e32 v35, v19
	v_pk_mov_b32 v[18:19], v[20:21], v[20:21] op_sel:[0,1]
.LBB166_26:                             ;   in Loop: Header=BB166_10 Depth=1
	s_or_b64 exec, exec, s[2:3]
	s_waitcnt lgkmcnt(1)
	ds_bpermute_b32 v20, v27, v34
	ds_bpermute_b32 v36, v27, v35
	s_waitcnt lgkmcnt(2)
	ds_bpermute_b32 v19, v27, v16
	s_waitcnt lgkmcnt(2)
	v_cmp_eq_f32_e64 s[4:5], v34, v20
	s_waitcnt lgkmcnt(1)
	v_cmp_lt_i32_e64 s[6:7], v36, v35
	v_cmp_lt_f32_e64 s[2:3], v34, v20
	s_and_b64 s[4:5], s[4:5], s[6:7]
	s_or_b64 s[2:3], s[2:3], s[4:5]
	v_cndmask_b32_e64 v16, v35, v36, s[2:3]
	s_and_saveexec_b64 s[6:7], s[0:1]
	s_cbranch_execnz .LBB166_28
; %bb.27:                               ;   in Loop: Header=BB166_10 Depth=1
	s_or_b64 exec, exec, s[6:7]
	s_add_i32 s25, s25, 1
	s_cmp_ge_i32 s25, s8
	s_cbranch_scc1 .LBB166_9
	s_branch .LBB166_29
.LBB166_28:                             ;   in Loop: Header=BB166_10 Depth=1
	s_waitcnt lgkmcnt(0)
	v_cndmask_b32_e64 v20, v18, v19, s[2:3]
	v_add_u32_e32 v18, s25, v30
	v_ashrrev_i32_e32 v19, 31, v18
	v_cmp_le_i32_e64 s[2:3], s9, v16
	v_cmp_gt_i32_e64 s[4:5], s10, v16
	v_lshlrev_b64 v[18:19], 2, v[18:19]
	s_and_b64 s[4:5], s[2:3], s[4:5]
	v_mov_b32_e32 v35, s17
	v_add_co_u32_e64 v34, s[2:3], s16, v18
	v_addc_co_u32_e64 v35, s[2:3], v35, v19, s[2:3]
	global_store_dword v[34:35], v20, off
	v_subrev_u32_e32 v34, s9, v16
	s_and_b64 s[2:3], s[18:19], s[4:5]
	v_cndmask_b32_e64 v36, v31, v34, s[2:3]
	v_mov_b32_e32 v35, s13
	v_add_co_u32_e64 v34, s[2:3], s12, v18
	v_addc_co_u32_e64 v35, s[2:3], v35, v19, s[2:3]
	global_store_dword v[34:35], v36, off
	v_mov_b32_e32 v34, s15
	v_add_co_u32_e64 v18, s[2:3], s14, v18
	v_addc_co_u32_e64 v19, s[2:3], v34, v19, s[2:3]
	global_store_dword v[18:19], v33, off
	v_add_f32_e32 v18, v29, v20
	v_cndmask_b32_e32 v29, v29, v18, vcc
	s_or_b64 exec, exec, s[6:7]
	s_add_i32 s25, s25, 1
	s_cmp_ge_i32 s25, s8
	s_cbranch_scc1 .LBB166_9
.LBB166_29:                             ;   in Loop: Header=BB166_10 Depth=1
	s_waitcnt lgkmcnt(0)
	v_ashrrev_i32_e32 v19, 31, v16
	v_lshrrev_b32_e32 v18, 29, v19
	v_add_u32_e32 v20, v16, v18
	v_ashrrev_i32_e32 v18, 3, v20
	v_ashrrev_i32_e32 v20, 31, v20
	v_lshrrev_b32_e32 v20, 26, v20
	v_add_u32_e32 v20, v18, v20
	v_and_b32_e32 v20, 0xffffffc0, v20
	v_sub_u32_e32 v20, v18, v20
	v_cmp_eq_u32_e64 s[2:3], v21, v20
	s_and_saveexec_b64 s[4:5], s[2:3]
	s_cbranch_execz .LBB166_8
; %bb.30:                               ;   in Loop: Header=BB166_10 Depth=1
	v_lshrrev_b32_e32 v19, 23, v19
	v_add_u32_e32 v19, v16, v19
	v_lshlrev_b32_e32 v18, 3, v18
	v_ashrrev_i32_e32 v19, 9, v19
	v_sub_u32_e32 v16, v16, v18
	v_lshl_add_u32 v16, v19, 3, v16
	v_cmp_ne_u32_e64 s[2:3], 7, v16
	v_cndmask_b32_e64 v15, v32, v15, s[2:3]
	v_cmp_ne_u32_e64 s[2:3], 6, v16
	v_cndmask_b32_e64 v14, v32, v14, s[2:3]
	;; [unrolled: 2-line block ×8, first 2 shown]
	s_branch .LBB166_8
.LBB166_31:
                                        ; implicit-def: $vgpr8_vgpr9_vgpr10_vgpr11_vgpr12_vgpr13_vgpr14_vgpr15
	s_andn2_b64 vcc, exec, s[6:7]
	s_cbranch_vccz .LBB166_5
	s_branch .LBB166_6
.LBB166_32:
	v_mov_b32_e32 v29, 0
.LBB166_33:
	v_cmp_eq_u32_e64 s[0:1], 0, v21
	s_and_b64 s[0:1], s[0:1], vcc
	s_and_b64 exec, exec, s[0:1]
	s_cbranch_execz .LBB166_42
; %bb.34:
	s_andn2_b64 vcc, exec, s[20:21]
	s_cbranch_vccnz .LBB166_42
; %bb.35:
	v_cmp_lt_f32_e32 vcc, 0, v29
	s_mov_b32 s2, 0
	v_cndmask_b32_e32 v0, 1.0, v29, vcc
	v_mul_lo_u32 v4, v17, s8
	s_cmp_eq_u32 s8, 1
	s_mov_b64 s[0:1], -1
	s_cbranch_scc1 .LBB166_39
; %bb.36:
	s_and_b32 s2, s8, 0x7ffffffe
	v_mov_b32_e32 v1, v0
	v_mov_b32_e32 v5, s17
	s_mov_b32 s3, s2
	v_mov_b32_e32 v2, v4
.LBB166_37:                             ; =>This Inner Loop Header: Depth=1
	v_ashrrev_i32_e32 v3, 31, v2
	v_lshlrev_b64 v[6:7], 2, v[2:3]
	v_add_co_u32_e32 v6, vcc, s16, v6
	v_addc_co_u32_e32 v7, vcc, v5, v7, vcc
	global_load_dwordx2 v[8:9], v[6:7], off
	s_add_i32 s3, s3, -2
	s_cmp_lg_u32 s3, 0
	v_add_u32_e32 v2, 2, v2
	s_waitcnt vmcnt(0)
	v_div_scale_f32 v3, s[0:1], v1, v1, v9
	v_div_scale_f32 v11, s[0:1], v0, v0, v8
	v_rcp_f32_e32 v12, v3
	v_rcp_f32_e32 v13, v11
	v_div_scale_f32 v10, vcc, v9, v1, v9
	v_fma_f32 v15, -v3, v12, 1.0
	v_fma_f32 v16, -v11, v13, 1.0
	v_fmac_f32_e32 v12, v15, v12
	v_div_scale_f32 v14, s[0:1], v8, v0, v8
	v_fmac_f32_e32 v13, v16, v13
	v_mul_f32_e32 v15, v10, v12
	v_mul_f32_e32 v16, v14, v13
	v_fma_f32 v17, -v3, v15, v10
	v_fma_f32 v18, -v11, v16, v14
	v_fmac_f32_e32 v15, v17, v12
	v_fmac_f32_e32 v16, v18, v13
	v_fma_f32 v3, -v3, v15, v10
	v_fma_f32 v10, -v11, v16, v14
	v_div_fmas_f32 v3, v3, v12, v15
	s_mov_b64 vcc, s[0:1]
	v_div_fixup_f32 v9, v3, v1, v9
	v_div_fmas_f32 v3, v10, v13, v16
	v_div_fixup_f32 v8, v3, v0, v8
	global_store_dwordx2 v[6:7], v[8:9], off
	s_cbranch_scc1 .LBB166_37
; %bb.38:
	s_cmp_lg_u32 s2, s8
	s_cselect_b64 s[0:1], -1, 0
.LBB166_39:
	s_and_b64 vcc, exec, s[0:1]
	s_cbranch_vccz .LBB166_42
; %bb.40:
	v_ashrrev_i32_e32 v1, 31, v4
	v_add_co_u32_e32 v2, vcc, s2, v4
	v_addc_co_u32_e32 v3, vcc, 0, v1, vcc
	v_lshlrev_b64 v[2:3], 2, v[2:3]
	v_mov_b32_e32 v1, s17
	v_add_co_u32_e32 v2, vcc, s16, v2
	s_sub_i32 s0, s8, s2
	v_addc_co_u32_e32 v3, vcc, v1, v3, vcc
.LBB166_41:                             ; =>This Inner Loop Header: Depth=1
	global_load_dword v1, v[2:3], off
	s_add_i32 s0, s0, -1
	s_cmp_lg_u32 s0, 0
	s_waitcnt vmcnt(0)
	v_div_scale_f32 v4, s[2:3], v0, v0, v1
	v_rcp_f32_e32 v5, v4
	v_div_scale_f32 v6, vcc, v1, v0, v1
	v_fma_f32 v7, -v4, v5, 1.0
	v_fmac_f32_e32 v5, v7, v5
	v_mul_f32_e32 v7, v6, v5
	v_fma_f32 v8, -v4, v7, v6
	v_fmac_f32_e32 v7, v8, v5
	v_fma_f32 v4, -v4, v7, v6
	v_div_fmas_f32 v4, v4, v5, v7
	v_div_fixup_f32 v1, v4, v0, v1
	global_store_dword v[2:3], v1, off
	v_add_co_u32_e32 v2, vcc, 4, v2
	v_addc_co_u32_e32 v3, vcc, 0, v3, vcc
	s_cbranch_scc1 .LBB166_41
.LBB166_42:
	s_endpgm
	.section	.rodata,"a",@progbits
	.p2align	6, 0x0
	.amdhsa_kernel _ZN4vllm3moe10topkGatingILi8ELi512ELi4ELi16ELi64Ej14__hip_bfloat16LNS0_11ScoringFuncE0EEEvPKT5_PKbPfiPT4_PiiiibPKf
		.amdhsa_group_segment_fixed_size 0
		.amdhsa_private_segment_fixed_size 0
		.amdhsa_kernarg_size 72
		.amdhsa_user_sgpr_count 6
		.amdhsa_user_sgpr_private_segment_buffer 1
		.amdhsa_user_sgpr_dispatch_ptr 0
		.amdhsa_user_sgpr_queue_ptr 0
		.amdhsa_user_sgpr_kernarg_segment_ptr 1
		.amdhsa_user_sgpr_dispatch_id 0
		.amdhsa_user_sgpr_flat_scratch_init 0
		.amdhsa_user_sgpr_kernarg_preload_length 0
		.amdhsa_user_sgpr_kernarg_preload_offset 0
		.amdhsa_user_sgpr_private_segment_size 0
		.amdhsa_uses_dynamic_stack 0
		.amdhsa_system_sgpr_private_segment_wavefront_offset 0
		.amdhsa_system_sgpr_workgroup_id_x 1
		.amdhsa_system_sgpr_workgroup_id_y 0
		.amdhsa_system_sgpr_workgroup_id_z 0
		.amdhsa_system_sgpr_workgroup_info 0
		.amdhsa_system_vgpr_workitem_id 1
		.amdhsa_next_free_vgpr 38
		.amdhsa_next_free_sgpr 26
		.amdhsa_accum_offset 40
		.amdhsa_reserve_vcc 1
		.amdhsa_reserve_flat_scratch 0
		.amdhsa_float_round_mode_32 0
		.amdhsa_float_round_mode_16_64 0
		.amdhsa_float_denorm_mode_32 3
		.amdhsa_float_denorm_mode_16_64 3
		.amdhsa_dx10_clamp 1
		.amdhsa_ieee_mode 1
		.amdhsa_fp16_overflow 0
		.amdhsa_tg_split 0
		.amdhsa_exception_fp_ieee_invalid_op 0
		.amdhsa_exception_fp_denorm_src 0
		.amdhsa_exception_fp_ieee_div_zero 0
		.amdhsa_exception_fp_ieee_overflow 0
		.amdhsa_exception_fp_ieee_underflow 0
		.amdhsa_exception_fp_ieee_inexact 0
		.amdhsa_exception_int_div_zero 0
	.end_amdhsa_kernel
	.section	.text._ZN4vllm3moe10topkGatingILi8ELi512ELi4ELi16ELi64Ej14__hip_bfloat16LNS0_11ScoringFuncE0EEEvPKT5_PKbPfiPT4_PiiiibPKf,"axG",@progbits,_ZN4vllm3moe10topkGatingILi8ELi512ELi4ELi16ELi64Ej14__hip_bfloat16LNS0_11ScoringFuncE0EEEvPKT5_PKbPfiPT4_PiiiibPKf,comdat
.Lfunc_end166:
	.size	_ZN4vllm3moe10topkGatingILi8ELi512ELi4ELi16ELi64Ej14__hip_bfloat16LNS0_11ScoringFuncE0EEEvPKT5_PKbPfiPT4_PiiiibPKf, .Lfunc_end166-_ZN4vllm3moe10topkGatingILi8ELi512ELi4ELi16ELi64Ej14__hip_bfloat16LNS0_11ScoringFuncE0EEEvPKT5_PKbPfiPT4_PiiiibPKf
                                        ; -- End function
	.section	.AMDGPU.csdata,"",@progbits
; Kernel info:
; codeLenInByte = 3532
; NumSgprs: 30
; NumVgprs: 38
; NumAgprs: 0
; TotalNumVgprs: 38
; ScratchSize: 0
; MemoryBound: 0
; FloatMode: 240
; IeeeMode: 1
; LDSByteSize: 0 bytes/workgroup (compile time only)
; SGPRBlocks: 3
; VGPRBlocks: 4
; NumSGPRsForWavesPerEU: 30
; NumVGPRsForWavesPerEU: 38
; AccumOffset: 40
; Occupancy: 8
; WaveLimiterHint : 0
; COMPUTE_PGM_RSRC2:SCRATCH_EN: 0
; COMPUTE_PGM_RSRC2:USER_SGPR: 6
; COMPUTE_PGM_RSRC2:TRAP_HANDLER: 0
; COMPUTE_PGM_RSRC2:TGID_X_EN: 1
; COMPUTE_PGM_RSRC2:TGID_Y_EN: 0
; COMPUTE_PGM_RSRC2:TGID_Z_EN: 0
; COMPUTE_PGM_RSRC2:TIDIG_COMP_CNT: 1
; COMPUTE_PGM_RSRC3_GFX90A:ACCUM_OFFSET: 9
; COMPUTE_PGM_RSRC3_GFX90A:TG_SPLIT: 0
	.section	.text._ZN4vllm3moe10topkGatingILi16ELi512ELi4ELi16ELi32Ej14__hip_bfloat16LNS0_11ScoringFuncE0EEEvPKT5_PKbPfiPT4_PiiiibPKf,"axG",@progbits,_ZN4vllm3moe10topkGatingILi16ELi512ELi4ELi16ELi32Ej14__hip_bfloat16LNS0_11ScoringFuncE0EEEvPKT5_PKbPfiPT4_PiiiibPKf,comdat
	.protected	_ZN4vllm3moe10topkGatingILi16ELi512ELi4ELi16ELi32Ej14__hip_bfloat16LNS0_11ScoringFuncE0EEEvPKT5_PKbPfiPT4_PiiiibPKf ; -- Begin function _ZN4vllm3moe10topkGatingILi16ELi512ELi4ELi16ELi32Ej14__hip_bfloat16LNS0_11ScoringFuncE0EEEvPKT5_PKbPfiPT4_PiiiibPKf
	.globl	_ZN4vllm3moe10topkGatingILi16ELi512ELi4ELi16ELi32Ej14__hip_bfloat16LNS0_11ScoringFuncE0EEEvPKT5_PKbPfiPT4_PiiiibPKf
	.p2align	8
	.type	_ZN4vllm3moe10topkGatingILi16ELi512ELi4ELi16ELi32Ej14__hip_bfloat16LNS0_11ScoringFuncE0EEEvPKT5_PKbPfiPT4_PiiiibPKf,@function
_ZN4vllm3moe10topkGatingILi16ELi512ELi4ELi16ELi32Ej14__hip_bfloat16LNS0_11ScoringFuncE0EEEvPKT5_PKbPfiPT4_PiiiibPKf: ; @_ZN4vllm3moe10topkGatingILi16ELi512ELi4ELi16ELi32Ej14__hip_bfloat16LNS0_11ScoringFuncE0EEEvPKT5_PKbPfiPT4_PiiiibPKf
; %bb.0:
	s_load_dword s24, s[4:5], 0x18
	v_and_b32_e32 v1, 0x3ff, v0
	s_lshl_b32 s0, s6, 2
	v_lshrrev_b32_e32 v2, 5, v1
	v_bfe_u32 v0, v0, 10, 10
	v_add3_u32 v33, s0, v0, v2
	s_waitcnt lgkmcnt(0)
	v_cmp_gt_i32_e32 vcc, s24, v33
	s_and_saveexec_b64 s[0:1], vcc
	s_cbranch_execz .LBB167_38
; %bb.1:
	s_load_dwordx4 s[0:3], s[4:5], 0x0
	s_load_dwordx2 s[16:17], s[4:5], 0x10
	s_mov_b64 s[6:7], -1
	s_mov_b64 s[18:19], -1
	s_waitcnt lgkmcnt(0)
	s_cmp_eq_u64 s[2:3], 0
	s_cbranch_scc1 .LBB167_3
; %bb.2:
	v_ashrrev_i32_e32 v0, 31, v33
	v_mov_b32_e32 v3, s3
	v_add_co_u32_e32 v2, vcc, s2, v33
	v_addc_co_u32_e32 v3, vcc, v3, v0, vcc
	global_load_ubyte v0, v[2:3], off
	s_waitcnt vmcnt(0)
	v_and_b32_e32 v0, 1, v0
	v_cmp_eq_u32_e32 vcc, 1, v0
	s_xor_b64 s[2:3], vcc, -1
	s_orn2_b64 s[18:19], s[2:3], exec
.LBB167_3:
	v_lshlrev_b32_e32 v2, 9, v33
	v_ashrrev_i32_e32 v3, 31, v2
	v_lshlrev_b64 v[2:3], 1, v[2:3]
	v_mov_b32_e32 v0, s1
	v_add_co_u32_e32 v2, vcc, s0, v2
	v_and_b32_e32 v37, 31, v1
	v_addc_co_u32_e32 v0, vcc, v0, v3, vcc
	v_lshlrev_b32_e32 v1, 4, v37
	v_add_co_u32_e32 v8, vcc, v2, v1
	v_addc_co_u32_e32 v9, vcc, 0, v0, vcc
	global_load_dwordx4 v[0:3], v[8:9], off
	global_load_dwordx4 v[4:7], v[8:9], off offset:512
	v_mbcnt_lo_u32_b32 v8, -1, 0
	v_mbcnt_hi_u32_b32 v14, -1, v8
	v_and_b32_e32 v8, 0x60, v14
	v_xor_b32_e32 v9, 16, v14
	v_add_u32_e32 v15, 32, v8
	v_cmp_lt_i32_e32 vcc, v9, v15
	v_cndmask_b32_e32 v8, v14, v9, vcc
	v_lshlrev_b32_e32 v38, 2, v8
	s_mov_b32 s2, 0x3fb8aa3b
	s_mov_b32 s0, 0xc2ce8ed0
	;; [unrolled: 1-line block ×3, first 2 shown]
	v_lshlrev_b32_e32 v43, 3, v37
	s_waitcnt vmcnt(1)
	v_lshlrev_b32_e32 v16, 16, v0
	v_and_b32_e32 v17, 0xffff0000, v0
	s_waitcnt vmcnt(0)
	v_and_b32_e32 v19, 0xffff0000, v4
	v_lshlrev_b32_e32 v9, 16, v2
	v_and_b32_e32 v10, 0xffff0000, v2
	v_lshlrev_b32_e32 v11, 16, v3
	v_lshlrev_b32_e32 v13, 16, v4
	v_and_b32_e32 v12, 0xffff0000, v3
	v_and_b32_e32 v3, 0xffff0000, v6
	v_lshlrev_b32_e32 v2, 16, v6
	v_max_f32_e32 v4, v17, v17
	v_max_f32_e32 v6, v16, v16
	v_lshlrev_b32_e32 v18, 16, v1
	v_and_b32_e32 v8, 0xffff0000, v1
	v_max_f32_e32 v4, v6, v4
	v_max3_f32 v4, v4, v18, v8
	v_max3_f32 v4, v4, v9, v10
	;; [unrolled: 1-line block ×3, first 2 shown]
	v_lshlrev_b32_e32 v20, 16, v5
	v_and_b32_e32 v5, 0xffff0000, v5
	v_max3_f32 v4, v4, v13, v19
	v_max3_f32 v4, v4, v20, v5
	v_and_b32_e32 v1, 0xffff0000, v7
	v_lshlrev_b32_e32 v0, 16, v7
	v_max3_f32 v4, v4, v2, v3
	v_max3_f32 v4, v4, v0, v1
	ds_bpermute_b32 v6, v38, v4
	v_xor_b32_e32 v7, 8, v14
	v_cmp_lt_i32_e32 vcc, v7, v15
	v_cndmask_b32_e32 v7, v14, v7, vcc
	v_lshlrev_b32_e32 v39, 2, v7
	s_waitcnt lgkmcnt(0)
	v_max_f32_e32 v6, v6, v6
	v_max_f32_e32 v4, v4, v6
	ds_bpermute_b32 v6, v39, v4
	v_xor_b32_e32 v7, 4, v14
	v_cmp_lt_i32_e32 vcc, v7, v15
	v_cndmask_b32_e32 v7, v14, v7, vcc
	v_lshlrev_b32_e32 v40, 2, v7
	s_waitcnt lgkmcnt(0)
	v_max_f32_e32 v6, v6, v6
	v_max_f32_e32 v4, v4, v6
	;; [unrolled: 8-line block ×4, first 2 shown]
	ds_bpermute_b32 v6, v42, v4
	v_mov_b32_e32 v14, 0x7f800000
	s_waitcnt lgkmcnt(0)
	v_max_f32_e32 v6, v6, v6
	v_max_f32_e32 v4, v4, v6
	v_sub_f32_e32 v15, v16, v4
	v_sub_f32_e32 v16, v17, v4
	v_pk_add_f32 v[6:7], v[8:9], v[4:5] op_sel_hi:[1,0] neg_lo:[0,1] neg_hi:[0,1]
	v_mul_f32_e32 v8, 0x3fb8aa3b, v15
	v_sub_f32_e32 v17, v18, v4
	v_mul_f32_e32 v9, 0x3fb8aa3b, v16
	v_fma_f32 v23, v15, s2, -v8
	v_rndne_f32_e32 v24, v8
	v_mul_f32_e32 v18, 0x3fb8aa3b, v17
	v_fma_f32 v25, v16, s2, -v9
	v_rndne_f32_e32 v26, v9
	v_fmac_f32_e32 v23, 0x32a5705f, v15
	v_sub_f32_e32 v8, v8, v24
	v_fma_f32 v27, v17, s2, -v18
	v_rndne_f32_e32 v28, v18
	v_fmac_f32_e32 v25, 0x32a5705f, v16
	v_sub_f32_e32 v9, v9, v26
	v_add_f32_e32 v8, v8, v23
	v_cvt_i32_f32_e32 v24, v24
	v_fmac_f32_e32 v27, 0x32a5705f, v17
	v_sub_f32_e32 v18, v18, v28
	v_add_f32_e32 v9, v9, v25
	v_exp_f32_e32 v8, v8
	v_cvt_i32_f32_e32 v26, v26
	v_add_f32_e32 v18, v18, v27
	v_exp_f32_e32 v9, v9
	v_cvt_i32_f32_e32 v28, v28
	v_exp_f32_e32 v18, v18
	v_ldexp_f32 v8, v8, v24
	v_cmp_ngt_f32_e32 vcc, s0, v15
	v_ldexp_f32 v9, v9, v26
	v_cndmask_b32_e32 v8, 0, v8, vcc
	v_cmp_ngt_f32_e32 vcc, s0, v16
	v_mul_f32_e32 v21, 0x3fb8aa3b, v7
	v_ldexp_f32 v18, v18, v28
	v_cndmask_b32_e32 v9, 0, v9, vcc
	v_cmp_ngt_f32_e32 vcc, s0, v17
	v_fma_f32 v29, v7, s2, -v21
	v_rndne_f32_e32 v30, v21
	v_cndmask_b32_e32 v18, 0, v18, vcc
	v_cmp_nlt_f32_e32 vcc, s1, v15
	v_mul_f32_e32 v22, 0x3fb8aa3b, v6
	v_fmac_f32_e32 v29, 0x32a5705f, v7
	v_sub_f32_e32 v21, v21, v30
	v_cndmask_b32_e32 v15, v14, v8, vcc
	v_cmp_nlt_f32_e32 vcc, s1, v16
	v_fma_f32 v31, v6, s2, -v22
	v_rndne_f32_e32 v32, v22
	v_add_f32_e32 v21, v21, v29
	v_cndmask_b32_e32 v16, v14, v9, vcc
	v_cmp_nlt_f32_e32 vcc, s1, v17
	v_cvt_i32_f32_e32 v30, v30
	v_fmac_f32_e32 v31, 0x32a5705f, v6
	v_sub_f32_e32 v22, v22, v32
	v_exp_f32_e32 v21, v21
	v_cndmask_b32_e32 v17, v14, v18, vcc
	v_add_f32_e32 v8, v15, v16
	v_add_f32_e32 v18, v8, v17
	;; [unrolled: 1-line block ×3, first 2 shown]
	v_exp_f32_e32 v8, v8
	v_cvt_i32_f32_e32 v9, v32
	v_ldexp_f32 v21, v21, v30
	v_cmp_ngt_f32_e32 vcc, s0, v7
	v_cndmask_b32_e32 v21, 0, v21, vcc
	v_cmp_nlt_f32_e32 vcc, s1, v7
	v_cndmask_b32_e32 v7, v14, v21, vcc
	v_ldexp_f32 v8, v8, v9
	v_cmp_ngt_f32_e32 vcc, s0, v6
	v_cndmask_b32_e32 v21, 0, v8, vcc
	v_pk_add_f32 v[8:9], v[10:11], v[4:5] op_sel_hi:[1,0] neg_lo:[0,1] neg_hi:[0,1]
	v_mul_f32_e32 v10, 0x3fb8aa3b, v9
	v_fma_f32 v11, v9, s2, -v10
	v_rndne_f32_e32 v22, v10
	v_fmac_f32_e32 v11, 0x32a5705f, v9
	v_sub_f32_e32 v10, v10, v22
	v_add_f32_e32 v10, v10, v11
	v_exp_f32_e32 v10, v10
	v_cvt_i32_f32_e32 v11, v22
	v_cmp_nlt_f32_e32 vcc, s1, v6
	v_cndmask_b32_e32 v6, v14, v21, vcc
	v_cmp_ngt_f32_e32 vcc, s0, v9
	v_ldexp_f32 v10, v10, v11
	v_mul_f32_e32 v11, 0x3fb8aa3b, v8
	v_fma_f32 v21, v8, s2, -v11
	v_rndne_f32_e32 v22, v11
	v_fmac_f32_e32 v21, 0x32a5705f, v8
	v_sub_f32_e32 v11, v11, v22
	v_add_f32_e32 v11, v11, v21
	v_exp_f32_e32 v11, v11
	v_cvt_i32_f32_e32 v21, v22
	v_cndmask_b32_e32 v10, 0, v10, vcc
	v_cmp_nlt_f32_e32 vcc, s1, v9
	v_cndmask_b32_e32 v9, v14, v10, vcc
	v_ldexp_f32 v10, v11, v21
	v_cmp_ngt_f32_e32 vcc, s0, v8
	v_cndmask_b32_e32 v21, 0, v10, vcc
	v_pk_add_f32 v[10:11], v[12:13], v[4:5] op_sel_hi:[1,0] neg_lo:[0,1] neg_hi:[0,1]
	v_mul_f32_e32 v12, 0x3fb8aa3b, v11
	v_fma_f32 v13, v11, s2, -v12
	v_rndne_f32_e32 v22, v12
	v_fmac_f32_e32 v13, 0x32a5705f, v11
	v_sub_f32_e32 v12, v12, v22
	v_add_f32_e32 v12, v12, v13
	v_exp_f32_e32 v12, v12
	v_cvt_i32_f32_e32 v13, v22
	v_cmp_nlt_f32_e32 vcc, s1, v8
	v_cndmask_b32_e32 v8, v14, v21, vcc
	v_cmp_ngt_f32_e32 vcc, s0, v11
	v_ldexp_f32 v12, v12, v13
	v_mul_f32_e32 v13, 0x3fb8aa3b, v10
	v_fma_f32 v21, v10, s2, -v13
	v_rndne_f32_e32 v22, v13
	v_fmac_f32_e32 v21, 0x32a5705f, v10
	v_sub_f32_e32 v13, v13, v22
	v_add_f32_e32 v13, v13, v21
	v_exp_f32_e32 v13, v13
	v_cvt_i32_f32_e32 v21, v22
	v_cndmask_b32_e32 v12, 0, v12, vcc
	v_cmp_nlt_f32_e32 vcc, s1, v11
	v_cndmask_b32_e32 v11, v14, v12, vcc
	v_ldexp_f32 v12, v13, v21
	v_sub_f32_e32 v13, v19, v4
	v_mul_f32_e32 v19, 0x3fb8aa3b, v13
	v_fma_f32 v21, v13, s2, -v19
	v_rndne_f32_e32 v22, v19
	v_fmac_f32_e32 v21, 0x32a5705f, v13
	v_sub_f32_e32 v19, v19, v22
	v_add_f32_e32 v19, v19, v21
	v_add_f32_e32 v18, v18, v6
	v_exp_f32_e32 v19, v19
	v_cvt_i32_f32_e32 v21, v22
	v_add_f32_e32 v18, v18, v7
	v_cmp_ngt_f32_e32 vcc, s0, v10
	v_add_f32_e32 v18, v18, v8
	v_cndmask_b32_e32 v12, 0, v12, vcc
	v_cmp_nlt_f32_e32 vcc, s1, v10
	v_add_f32_e32 v18, v18, v9
	v_cndmask_b32_e32 v10, v14, v12, vcc
	v_add_f32_e32 v12, v18, v10
	v_ldexp_f32 v18, v19, v21
	v_sub_f32_e32 v19, v20, v4
	v_mul_f32_e32 v20, 0x3fb8aa3b, v19
	v_fma_f32 v21, v19, s2, -v20
	v_rndne_f32_e32 v22, v20
	v_fmac_f32_e32 v21, 0x32a5705f, v19
	v_sub_f32_e32 v20, v20, v22
	v_add_f32_e32 v20, v20, v21
	v_exp_f32_e32 v20, v20
	v_cvt_i32_f32_e32 v21, v22
	v_cmp_ngt_f32_e32 vcc, s0, v13
	v_cndmask_b32_e32 v18, 0, v18, vcc
	v_cmp_nlt_f32_e32 vcc, s1, v13
	v_sub_f32_e32 v5, v5, v4
	v_cndmask_b32_e32 v13, v14, v18, vcc
	v_ldexp_f32 v18, v20, v21
	v_mul_f32_e32 v20, 0x3fb8aa3b, v5
	v_fma_f32 v21, v5, s2, -v20
	v_rndne_f32_e32 v22, v20
	v_fmac_f32_e32 v21, 0x32a5705f, v5
	v_sub_f32_e32 v20, v20, v22
	v_add_f32_e32 v20, v20, v21
	v_exp_f32_e32 v20, v20
	v_cvt_i32_f32_e32 v21, v22
	v_cmp_ngt_f32_e32 vcc, s0, v19
	v_pk_add_f32 v[2:3], v[2:3], v[4:5] op_sel_hi:[1,0] neg_lo:[0,1] neg_hi:[0,1]
	v_cndmask_b32_e32 v18, 0, v18, vcc
	v_cmp_nlt_f32_e32 vcc, s1, v19
	v_ldexp_f32 v19, v20, v21
	v_mul_f32_e32 v20, 0x3fb8aa3b, v3
	v_fma_f32 v21, v3, s2, -v20
	v_rndne_f32_e32 v22, v20
	v_fmac_f32_e32 v21, 0x32a5705f, v3
	v_sub_f32_e32 v20, v20, v22
	v_add_f32_e32 v20, v20, v21
	v_exp_f32_e32 v20, v20
	v_cvt_i32_f32_e32 v21, v22
	v_cndmask_b32_e32 v18, v14, v18, vcc
	v_cmp_ngt_f32_e32 vcc, s0, v5
	v_cndmask_b32_e32 v19, 0, v19, vcc
	v_cmp_nlt_f32_e32 vcc, s1, v5
	v_cndmask_b32_e32 v5, v14, v19, vcc
	v_ldexp_f32 v19, v20, v21
	v_mul_f32_e32 v20, 0x3fb8aa3b, v2
	v_fma_f32 v21, v2, s2, -v20
	v_rndne_f32_e32 v22, v20
	v_fmac_f32_e32 v21, 0x32a5705f, v2
	v_sub_f32_e32 v20, v20, v22
	v_add_f32_e32 v20, v20, v21
	v_exp_f32_e32 v20, v20
	v_cvt_i32_f32_e32 v21, v22
	v_cmp_ngt_f32_e32 vcc, s0, v3
	v_pk_add_f32 v[0:1], v[0:1], v[4:5] op_sel_hi:[1,0] neg_lo:[0,1] neg_hi:[0,1]
	v_cndmask_b32_e32 v19, 0, v19, vcc
	v_cmp_nlt_f32_e32 vcc, s1, v3
	v_mul_f32_e32 v4, 0x3fb8aa3b, v1
	v_cndmask_b32_e32 v3, v14, v19, vcc
	v_ldexp_f32 v19, v20, v21
	v_fma_f32 v20, v1, s2, -v4
	v_rndne_f32_e32 v21, v4
	v_fmac_f32_e32 v20, 0x32a5705f, v1
	v_sub_f32_e32 v4, v4, v21
	v_add_f32_e32 v4, v4, v20
	v_exp_f32_e32 v4, v4
	v_cvt_i32_f32_e32 v20, v21
	v_cmp_ngt_f32_e32 vcc, s0, v2
	v_cndmask_b32_e32 v19, 0, v19, vcc
	v_cmp_nlt_f32_e32 vcc, s1, v2
	v_cndmask_b32_e32 v2, v14, v19, vcc
	v_mul_f32_e32 v19, 0x3fb8aa3b, v0
	v_ldexp_f32 v4, v4, v20
	v_fma_f32 v20, v0, s2, -v19
	v_rndne_f32_e32 v21, v19
	v_fmac_f32_e32 v20, 0x32a5705f, v0
	v_sub_f32_e32 v19, v19, v21
	v_add_f32_e32 v19, v19, v20
	v_exp_f32_e32 v19, v19
	v_cvt_i32_f32_e32 v20, v21
	v_add_f32_e32 v12, v12, v11
	v_add_f32_e32 v12, v12, v13
	v_cmp_ngt_f32_e32 vcc, s0, v1
	v_add_f32_e32 v12, v12, v18
	v_cndmask_b32_e32 v4, 0, v4, vcc
	v_cmp_nlt_f32_e32 vcc, s1, v1
	v_add_f32_e32 v12, v12, v5
	v_cndmask_b32_e32 v1, v14, v4, vcc
	v_ldexp_f32 v4, v19, v20
	v_cmp_ngt_f32_e32 vcc, s0, v0
	v_add_f32_e32 v12, v12, v2
	v_cndmask_b32_e32 v4, 0, v4, vcc
	v_cmp_nlt_f32_e32 vcc, s1, v0
	v_add_f32_e32 v12, v12, v3
	v_cndmask_b32_e32 v0, v14, v4, vcc
	v_add_f32_e32 v4, v12, v0
	v_add_f32_e32 v4, v4, v1
	ds_bpermute_b32 v12, v38, v4
	s_movk_i32 s2, 0x1f8
	s_waitcnt lgkmcnt(0)
	v_add_f32_e32 v4, v4, v12
	ds_bpermute_b32 v12, v39, v4
	s_waitcnt lgkmcnt(0)
	v_add_f32_e32 v4, v4, v12
	ds_bpermute_b32 v12, v40, v4
	;; [unrolled: 3-line block ×4, first 2 shown]
	s_waitcnt lgkmcnt(0)
	v_add_f32_e32 v4, v4, v12
	v_div_scale_f32 v12, s[0:1], v4, v4, 1.0
	v_rcp_f32_e32 v14, v12
	s_load_dwordx2 s[0:1], s[4:5], 0x40
	v_fma_f32 v19, -v12, v14, 1.0
	v_fmac_f32_e32 v14, v19, v14
	v_div_scale_f32 v19, vcc, 1.0, v4, 1.0
	v_mul_f32_e32 v20, v19, v14
	v_fma_f32 v21, -v12, v20, v19
	v_fmac_f32_e32 v20, v21, v14
	v_fma_f32 v12, -v12, v20, v19
	v_div_fmas_f32 v12, v12, v14, v20
	v_div_fixup_f32 v4, v12, v4, 1.0
	v_mul_f32_e32 v19, v4, v15
	v_mul_f32_e32 v16, v4, v16
	v_cmp_class_f32_e64 vcc, v19, s2
	v_mul_f32_e32 v17, v4, v17
	v_pk_mul_f32 v[14:15], v[4:5], v[0:1] op_sel_hi:[0,1]
	v_cndmask_b32_e32 v0, 0, v19, vcc
	v_cmp_class_f32_e64 vcc, v16, s2
	v_pk_mul_f32 v[6:7], v[4:5], v[6:7] op_sel_hi:[0,1]
	v_cndmask_b32_e32 v1, 0, v16, vcc
	v_cmp_class_f32_e64 vcc, v17, s2
	v_mov_b32_e32 v16, 0x207
	v_mul_f32_e32 v20, v4, v13
	v_pk_mul_f32 v[12:13], v[4:5], v[2:3] op_sel_hi:[0,1]
	v_cndmask_b32_e32 v2, 0, v17, vcc
	v_cmp_class_f32_e32 vcc, v7, v16
	v_pk_mul_f32 v[8:9], v[4:5], v[8:9] op_sel_hi:[0,1]
	v_pk_mul_f32 v[10:11], v[4:5], v[10:11] op_sel_hi:[0,1]
	v_mul_f32_e32 v18, v4, v18
	v_mul_f32_e32 v21, v4, v5
	v_cndmask_b32_e64 v4, v7, 0, vcc
	v_cmp_class_f32_e32 vcc, v6, v16
	v_cndmask_b32_e64 v3, v6, 0, vcc
	v_cmp_class_f32_e32 vcc, v9, v16
	;; [unrolled: 2-line block ×5, first 2 shown]
	v_cndmask_b32_e64 v7, v10, 0, vcc
	v_cmp_class_f32_e64 vcc, v20, s2
	v_cndmask_b32_e32 v9, 0, v20, vcc
	v_cmp_class_f32_e64 vcc, v18, s2
	v_cndmask_b32_e32 v10, 0, v18, vcc
	;; [unrolled: 2-line block ×3, first 2 shown]
	v_cmp_class_f32_e32 vcc, v13, v16
	v_cndmask_b32_e64 v13, v13, 0, vcc
	v_cmp_class_f32_e32 vcc, v12, v16
	v_cndmask_b32_e64 v12, v12, 0, vcc
	;; [unrolled: 2-line block ×3, first 2 shown]
	v_cmp_class_f32_e32 vcc, v14, v16
	s_waitcnt lgkmcnt(0)
	s_cmp_eq_u64 s[0:1], 0
	v_cndmask_b32_e64 v14, v14, 0, vcc
	s_cbranch_scc1 .LBB167_27
; %bb.4:
	v_lshlrev_b32_e32 v32, 2, v43
	global_load_dwordx4 v[16:19], v32, s[0:1]
	global_load_dwordx4 v[20:23], v32, s[0:1] offset:16
	global_load_dwordx4 v[24:27], v32, s[0:1] offset:1024
	;; [unrolled: 1-line block ×3, first 2 shown]
	s_waitcnt vmcnt(3)
	v_pk_add_f32 v[16:17], v[16:17], v[0:1]
	v_pk_add_f32 v[18:19], v[18:19], v[2:3]
	s_waitcnt vmcnt(2)
	v_pk_add_f32 v[20:21], v[20:21], v[4:5]
	v_pk_add_f32 v[22:23], v[22:23], v[6:7]
	s_waitcnt vmcnt(1)
	v_pk_add_f32 v[24:25], v[24:25], v[8:9]
	v_pk_add_f32 v[26:27], v[26:27], v[10:11]
	s_waitcnt vmcnt(0)
	v_pk_add_f32 v[28:29], v[28:29], v[12:13]
	v_pk_add_f32 v[30:31], v[30:31], v[14:15]
	s_cbranch_execnz .LBB167_6
.LBB167_5:
	v_pk_mov_b32 v[30:31], v[14:15], v[14:15] op_sel:[0,1]
	v_pk_mov_b32 v[28:29], v[12:13], v[12:13] op_sel:[0,1]
	;; [unrolled: 1-line block ×8, first 2 shown]
.LBB167_6:
	s_load_dwordx4 s[8:11], s[4:5], 0x30
	s_mov_b32 s25, 0
	v_cmp_eq_u32_e64 s[0:1], 0, v37
	s_waitcnt lgkmcnt(0)
	s_bitcmp1_b32 s11, 0
	s_cselect_b64 vcc, -1, 0
	s_cmp_gt_i32 s8, 0
	s_cselect_b64 s[20:21], -1, 0
	s_cmp_lt_i32 s8, 1
	s_cbranch_scc1 .LBB167_28
; %bb.7:
	s_load_dwordx4 s[12:15], s[4:5], 0x20
	v_mul_lo_u32 v45, v33, s8
	v_mov_b32_e32 v44, 0
	v_mov_b32_e32 v46, 0x100
	;; [unrolled: 1-line block ×3, first 2 shown]
	v_bfrev_b32_e32 v48, 4.0
	v_bfrev_b32_e32 v49, -4.0
	v_mov_b32_e32 v50, 0x104
	v_mov_b32_e32 v51, 0x105
	;; [unrolled: 1-line block ×7, first 2 shown]
	s_branch .LBB167_10
.LBB167_8:                              ;   in Loop: Header=BB167_10 Depth=1
	s_or_b64 exec, exec, s[4:5]
.LBB167_9:                              ;   in Loop: Header=BB167_10 Depth=1
	s_cmp_eq_u32 s8, s25
	v_add_u32_e32 v56, s24, v56
	s_cbranch_scc1 .LBB167_29
.LBB167_10:                             ; =>This Inner Loop Header: Depth=1
	v_cmp_gt_f32_e64 s[2:3], v17, v16
	v_cndmask_b32_e64 v32, v16, v17, s[2:3]
	v_cndmask_b32_e64 v34, v0, v1, s[2:3]
	s_waitcnt lgkmcnt(0)
	v_cndmask_b32_e64 v35, 0, 1, s[2:3]
	v_cmp_gt_f32_e64 s[2:3], v18, v32
	v_cndmask_b32_e64 v32, v32, v18, s[2:3]
	v_cndmask_b32_e64 v34, v34, v2, s[2:3]
	v_cndmask_b32_e64 v35, v35, 2, s[2:3]
	v_cmp_gt_f32_e64 s[2:3], v19, v32
	v_cndmask_b32_e64 v32, v32, v19, s[2:3]
	v_cndmask_b32_e64 v34, v34, v3, s[2:3]
	;; [unrolled: 4-line block ×14, first 2 shown]
	v_or_b32_e32 v35, v43, v35
	ds_bpermute_b32 v36, v38, v32
	ds_bpermute_b32 v57, v38, v35
	v_cndmask_b32_e64 v34, v34, v15, s[2:3]
	ds_bpermute_b32 v59, v38, v34
	s_waitcnt lgkmcnt(0)
	v_cmp_eq_f32_e64 s[4:5], v32, v36
	v_cmp_lt_i32_e64 s[6:7], v57, v35
	v_cmp_lt_f32_e64 s[2:3], v32, v36
	s_and_b64 s[4:5], s[4:5], s[6:7]
	s_or_b64 s[2:3], s[2:3], s[4:5]
	v_cndmask_b32_e64 v58, v35, v57, s[2:3]
	v_cndmask_b32_e64 v57, v32, v36, s[2:3]
	;; [unrolled: 1-line block ×3, first 2 shown]
	ds_bpermute_b32 v60, v39, v57
	ds_bpermute_b32 v36, v39, v32
	;; [unrolled: 1-line block ×3, first 2 shown]
                                        ; implicit-def: $vgpr34_vgpr35
	s_waitcnt lgkmcnt(2)
	v_cmp_lt_f32_e64 s[6:7], v57, v60
	v_cmp_nlt_f32_e64 s[2:3], v57, v60
	s_and_saveexec_b64 s[22:23], s[2:3]
	s_cbranch_execz .LBB167_12
; %bb.11:                               ;   in Loop: Header=BB167_10 Depth=1
	v_cmp_eq_f32_e64 s[2:3], v57, v60
	s_waitcnt lgkmcnt(0)
	v_cmp_lt_i32_e64 s[4:5], v59, v58
	s_and_b64 s[2:3], s[2:3], s[4:5]
	s_andn2_b64 s[4:5], s[6:7], exec
	s_and_b64 s[2:3], s[2:3], exec
	s_or_b64 s[6:7], s[4:5], s[2:3]
	v_pk_mov_b32 v[34:35], v[32:33], v[32:33] op_sel:[0,1]
.LBB167_12:                             ;   in Loop: Header=BB167_10 Depth=1
	s_or_b64 exec, exec, s[22:23]
	s_and_saveexec_b64 s[2:3], s[6:7]
	s_cbranch_execz .LBB167_14
; %bb.13:                               ;   in Loop: Header=BB167_10 Depth=1
	v_mov_b32_e32 v57, v60
	s_waitcnt lgkmcnt(1)
	v_mov_b32_e32 v32, v36
	s_waitcnt lgkmcnt(0)
	v_mov_b32_e32 v58, v59
	v_pk_mov_b32 v[34:35], v[36:37], v[36:37] op_sel:[0,1]
.LBB167_14:                             ;   in Loop: Header=BB167_10 Depth=1
	s_or_b64 exec, exec, s[2:3]
	s_waitcnt lgkmcnt(0)
	ds_bpermute_b32 v59, v40, v57
	ds_bpermute_b32 v36, v40, v32
	;; [unrolled: 1-line block ×3, first 2 shown]
	s_waitcnt lgkmcnt(2)
	v_cmp_lt_f32_e64 s[6:7], v57, v59
	v_cmp_nlt_f32_e64 s[2:3], v57, v59
	s_and_saveexec_b64 s[22:23], s[2:3]
	s_cbranch_execz .LBB167_16
; %bb.15:                               ;   in Loop: Header=BB167_10 Depth=1
	v_cmp_eq_f32_e64 s[2:3], v57, v59
	s_waitcnt lgkmcnt(0)
	v_cmp_lt_i32_e64 s[4:5], v35, v58
	s_and_b64 s[2:3], s[2:3], s[4:5]
	s_andn2_b64 s[4:5], s[6:7], exec
	s_and_b64 s[2:3], s[2:3], exec
	s_or_b64 s[6:7], s[4:5], s[2:3]
.LBB167_16:                             ;   in Loop: Header=BB167_10 Depth=1
	s_or_b64 exec, exec, s[22:23]
	s_and_saveexec_b64 s[2:3], s[6:7]
	s_cbranch_execz .LBB167_18
; %bb.17:                               ;   in Loop: Header=BB167_10 Depth=1
	v_mov_b32_e32 v57, v59
	s_waitcnt lgkmcnt(1)
	v_mov_b32_e32 v32, v36
	s_waitcnt lgkmcnt(0)
	v_mov_b32_e32 v58, v35
	v_pk_mov_b32 v[34:35], v[36:37], v[36:37] op_sel:[0,1]
.LBB167_18:                             ;   in Loop: Header=BB167_10 Depth=1
	s_or_b64 exec, exec, s[2:3]
	ds_bpermute_b32 v59, v41, v57
	s_waitcnt lgkmcnt(2)
	ds_bpermute_b32 v36, v41, v32
	s_waitcnt lgkmcnt(2)
	;; [unrolled: 2-line block ×3, first 2 shown]
	v_cmp_lt_f32_e64 s[6:7], v57, v59
	v_cmp_nlt_f32_e64 s[2:3], v57, v59
	s_and_saveexec_b64 s[22:23], s[2:3]
	s_cbranch_execz .LBB167_20
; %bb.19:                               ;   in Loop: Header=BB167_10 Depth=1
	v_cmp_eq_f32_e64 s[2:3], v57, v59
	s_waitcnt lgkmcnt(0)
	v_cmp_lt_i32_e64 s[4:5], v35, v58
	s_and_b64 s[2:3], s[2:3], s[4:5]
	s_andn2_b64 s[4:5], s[6:7], exec
	s_and_b64 s[2:3], s[2:3], exec
	s_or_b64 s[6:7], s[4:5], s[2:3]
.LBB167_20:                             ;   in Loop: Header=BB167_10 Depth=1
	s_or_b64 exec, exec, s[22:23]
	s_and_saveexec_b64 s[2:3], s[6:7]
	s_cbranch_execz .LBB167_22
; %bb.21:                               ;   in Loop: Header=BB167_10 Depth=1
	v_mov_b32_e32 v57, v59
	s_waitcnt lgkmcnt(1)
	v_mov_b32_e32 v32, v36
	s_waitcnt lgkmcnt(0)
	v_mov_b32_e32 v58, v35
	v_pk_mov_b32 v[34:35], v[36:37], v[36:37] op_sel:[0,1]
.LBB167_22:                             ;   in Loop: Header=BB167_10 Depth=1
	s_or_b64 exec, exec, s[2:3]
	s_waitcnt lgkmcnt(1)
	ds_bpermute_b32 v36, v42, v57
	ds_bpermute_b32 v59, v42, v58
	s_waitcnt lgkmcnt(2)
	ds_bpermute_b32 v35, v42, v32
	s_waitcnt lgkmcnt(2)
	v_cmp_eq_f32_e64 s[4:5], v57, v36
	s_waitcnt lgkmcnt(1)
	v_cmp_lt_i32_e64 s[6:7], v59, v58
	v_cmp_lt_f32_e64 s[2:3], v57, v36
	s_and_b64 s[4:5], s[4:5], s[6:7]
	s_or_b64 s[2:3], s[2:3], s[4:5]
	v_cndmask_b32_e64 v32, v58, v59, s[2:3]
	s_and_saveexec_b64 s[6:7], s[0:1]
	s_cbranch_execnz .LBB167_24
; %bb.23:                               ;   in Loop: Header=BB167_10 Depth=1
	s_or_b64 exec, exec, s[6:7]
	s_add_i32 s25, s25, 1
	s_cmp_ge_i32 s25, s8
	s_cbranch_scc1 .LBB167_9
	s_branch .LBB167_25
.LBB167_24:                             ;   in Loop: Header=BB167_10 Depth=1
	s_waitcnt lgkmcnt(0)
	v_cndmask_b32_e64 v36, v34, v35, s[2:3]
	v_add_u32_e32 v34, s25, v45
	v_ashrrev_i32_e32 v35, 31, v34
	v_cmp_le_i32_e64 s[2:3], s9, v32
	v_cmp_gt_i32_e64 s[4:5], s10, v32
	v_lshlrev_b64 v[34:35], 2, v[34:35]
	s_and_b64 s[4:5], s[2:3], s[4:5]
	v_mov_b32_e32 v57, s17
	v_add_co_u32_e64 v58, s[2:3], s16, v34
	v_addc_co_u32_e64 v59, s[2:3], v57, v35, s[2:3]
	v_subrev_u32_e32 v57, s9, v32
	s_and_b64 s[2:3], s[18:19], s[4:5]
	global_store_dword v[58:59], v36, off
	v_cndmask_b32_e64 v57, v54, v57, s[2:3]
	v_mov_b32_e32 v59, s13
	v_add_co_u32_e64 v58, s[2:3], s12, v34
	v_addc_co_u32_e64 v59, s[2:3], v59, v35, s[2:3]
	global_store_dword v[58:59], v57, off
	v_mov_b32_e32 v57, s15
	v_add_co_u32_e64 v34, s[2:3], s14, v34
	v_addc_co_u32_e64 v35, s[2:3], v57, v35, s[2:3]
	global_store_dword v[34:35], v56, off
	v_add_f32_e32 v34, v44, v36
	v_cndmask_b32_e32 v44, v44, v34, vcc
	s_or_b64 exec, exec, s[6:7]
	s_add_i32 s25, s25, 1
	s_cmp_ge_i32 s25, s8
	s_cbranch_scc1 .LBB167_9
.LBB167_25:                             ;   in Loop: Header=BB167_10 Depth=1
	v_ashrrev_i32_e32 v34, 31, v32
	s_waitcnt lgkmcnt(0)
	v_lshrrev_b32_e32 v35, 29, v34
	v_add_u32_e32 v36, v32, v35
	v_ashrrev_i32_e32 v35, 3, v36
	v_ashrrev_i32_e32 v36, 31, v36
	v_lshrrev_b32_e32 v36, 27, v36
	v_add_u32_e32 v36, v35, v36
	v_and_b32_e32 v36, 0xffffffe0, v36
	v_sub_u32_e32 v36, v35, v36
	v_cmp_eq_u32_e64 s[2:3], v37, v36
	s_and_saveexec_b64 s[4:5], s[2:3]
	s_cbranch_execz .LBB167_8
; %bb.26:                               ;   in Loop: Header=BB167_10 Depth=1
	v_add_u32_sdwa v34, v32, v34 dst_sel:DWORD dst_unused:UNUSED_PAD src0_sel:DWORD src1_sel:BYTE_3
	v_lshlrev_b32_e32 v35, 3, v35
	v_ashrrev_i32_e32 v34, 8, v34
	v_sub_u32_e32 v32, v32, v35
	v_lshl_add_u32 v32, v34, 3, v32
	v_cmp_ne_u32_e64 s[2:3], 15, v32
	v_cndmask_b32_e64 v31, v55, v31, s[2:3]
	v_cmp_ne_u32_e64 s[2:3], 14, v32
	v_cndmask_b32_e64 v30, v55, v30, s[2:3]
	;; [unrolled: 2-line block ×16, first 2 shown]
	s_branch .LBB167_8
.LBB167_27:
                                        ; implicit-def: $vgpr16_vgpr17_vgpr18_vgpr19_vgpr20_vgpr21_vgpr22_vgpr23_vgpr24_vgpr25_vgpr26_vgpr27_vgpr28_vgpr29_vgpr30_vgpr31
	s_andn2_b64 vcc, exec, s[6:7]
	s_cbranch_vccz .LBB167_5
	s_branch .LBB167_6
.LBB167_28:
	v_mov_b32_e32 v44, 0
.LBB167_29:
	v_cmp_eq_u32_e64 s[0:1], 0, v37
	s_and_b64 s[0:1], s[0:1], vcc
	s_and_b64 exec, exec, s[0:1]
	s_cbranch_execz .LBB167_38
; %bb.30:
	s_andn2_b64 vcc, exec, s[20:21]
	s_cbranch_vccnz .LBB167_38
; %bb.31:
	v_cmp_lt_f32_e32 vcc, 0, v44
	s_mov_b32 s2, 0
	v_cndmask_b32_e32 v0, 1.0, v44, vcc
	v_mul_lo_u32 v4, v33, s8
	s_cmp_eq_u32 s8, 1
	s_mov_b64 s[0:1], -1
	s_cbranch_scc1 .LBB167_35
; %bb.32:
	s_and_b32 s2, s8, 0x7ffffffe
	v_mov_b32_e32 v1, v0
	v_mov_b32_e32 v5, s17
	s_mov_b32 s3, s2
	v_mov_b32_e32 v2, v4
.LBB167_33:                             ; =>This Inner Loop Header: Depth=1
	v_ashrrev_i32_e32 v3, 31, v2
	v_lshlrev_b64 v[6:7], 2, v[2:3]
	v_add_co_u32_e32 v6, vcc, s16, v6
	v_addc_co_u32_e32 v7, vcc, v5, v7, vcc
	global_load_dwordx2 v[8:9], v[6:7], off
	s_add_i32 s3, s3, -2
	s_cmp_lg_u32 s3, 0
	v_add_u32_e32 v2, 2, v2
	s_waitcnt vmcnt(0)
	v_div_scale_f32 v3, s[0:1], v1, v1, v9
	v_div_scale_f32 v11, s[0:1], v0, v0, v8
	v_rcp_f32_e32 v12, v3
	v_rcp_f32_e32 v13, v11
	v_div_scale_f32 v10, vcc, v9, v1, v9
	v_fma_f32 v15, -v3, v12, 1.0
	v_fma_f32 v16, -v11, v13, 1.0
	v_fmac_f32_e32 v12, v15, v12
	v_div_scale_f32 v14, s[0:1], v8, v0, v8
	v_fmac_f32_e32 v13, v16, v13
	v_mul_f32_e32 v15, v10, v12
	v_mul_f32_e32 v16, v14, v13
	v_fma_f32 v17, -v3, v15, v10
	v_fma_f32 v18, -v11, v16, v14
	v_fmac_f32_e32 v15, v17, v12
	v_fmac_f32_e32 v16, v18, v13
	v_fma_f32 v3, -v3, v15, v10
	v_fma_f32 v10, -v11, v16, v14
	v_div_fmas_f32 v3, v3, v12, v15
	s_mov_b64 vcc, s[0:1]
	v_div_fixup_f32 v9, v3, v1, v9
	v_div_fmas_f32 v3, v10, v13, v16
	v_div_fixup_f32 v8, v3, v0, v8
	global_store_dwordx2 v[6:7], v[8:9], off
	s_cbranch_scc1 .LBB167_33
; %bb.34:
	s_cmp_lg_u32 s2, s8
	s_cselect_b64 s[0:1], -1, 0
.LBB167_35:
	s_and_b64 vcc, exec, s[0:1]
	s_cbranch_vccz .LBB167_38
; %bb.36:
	v_ashrrev_i32_e32 v1, 31, v4
	v_add_co_u32_e32 v2, vcc, s2, v4
	v_addc_co_u32_e32 v3, vcc, 0, v1, vcc
	v_lshlrev_b64 v[2:3], 2, v[2:3]
	v_mov_b32_e32 v1, s17
	v_add_co_u32_e32 v2, vcc, s16, v2
	s_sub_i32 s0, s8, s2
	v_addc_co_u32_e32 v3, vcc, v1, v3, vcc
.LBB167_37:                             ; =>This Inner Loop Header: Depth=1
	global_load_dword v1, v[2:3], off
	s_add_i32 s0, s0, -1
	s_cmp_lg_u32 s0, 0
	s_waitcnt vmcnt(0)
	v_div_scale_f32 v4, s[2:3], v0, v0, v1
	v_rcp_f32_e32 v5, v4
	v_div_scale_f32 v6, vcc, v1, v0, v1
	v_fma_f32 v7, -v4, v5, 1.0
	v_fmac_f32_e32 v5, v7, v5
	v_mul_f32_e32 v7, v6, v5
	v_fma_f32 v8, -v4, v7, v6
	v_fmac_f32_e32 v7, v8, v5
	v_fma_f32 v4, -v4, v7, v6
	v_div_fmas_f32 v4, v4, v5, v7
	v_div_fixup_f32 v1, v4, v0, v1
	global_store_dword v[2:3], v1, off
	v_add_co_u32_e32 v2, vcc, 4, v2
	v_addc_co_u32_e32 v3, vcc, 0, v3, vcc
	s_cbranch_scc1 .LBB167_37
.LBB167_38:
	s_endpgm
	.section	.rodata,"a",@progbits
	.p2align	6, 0x0
	.amdhsa_kernel _ZN4vllm3moe10topkGatingILi16ELi512ELi4ELi16ELi32Ej14__hip_bfloat16LNS0_11ScoringFuncE0EEEvPKT5_PKbPfiPT4_PiiiibPKf
		.amdhsa_group_segment_fixed_size 0
		.amdhsa_private_segment_fixed_size 0
		.amdhsa_kernarg_size 72
		.amdhsa_user_sgpr_count 6
		.amdhsa_user_sgpr_private_segment_buffer 1
		.amdhsa_user_sgpr_dispatch_ptr 0
		.amdhsa_user_sgpr_queue_ptr 0
		.amdhsa_user_sgpr_kernarg_segment_ptr 1
		.amdhsa_user_sgpr_dispatch_id 0
		.amdhsa_user_sgpr_flat_scratch_init 0
		.amdhsa_user_sgpr_kernarg_preload_length 0
		.amdhsa_user_sgpr_kernarg_preload_offset 0
		.amdhsa_user_sgpr_private_segment_size 0
		.amdhsa_uses_dynamic_stack 0
		.amdhsa_system_sgpr_private_segment_wavefront_offset 0
		.amdhsa_system_sgpr_workgroup_id_x 1
		.amdhsa_system_sgpr_workgroup_id_y 0
		.amdhsa_system_sgpr_workgroup_id_z 0
		.amdhsa_system_sgpr_workgroup_info 0
		.amdhsa_system_vgpr_workitem_id 1
		.amdhsa_next_free_vgpr 61
		.amdhsa_next_free_sgpr 26
		.amdhsa_accum_offset 64
		.amdhsa_reserve_vcc 1
		.amdhsa_reserve_flat_scratch 0
		.amdhsa_float_round_mode_32 0
		.amdhsa_float_round_mode_16_64 0
		.amdhsa_float_denorm_mode_32 3
		.amdhsa_float_denorm_mode_16_64 3
		.amdhsa_dx10_clamp 1
		.amdhsa_ieee_mode 1
		.amdhsa_fp16_overflow 0
		.amdhsa_tg_split 0
		.amdhsa_exception_fp_ieee_invalid_op 0
		.amdhsa_exception_fp_denorm_src 0
		.amdhsa_exception_fp_ieee_div_zero 0
		.amdhsa_exception_fp_ieee_overflow 0
		.amdhsa_exception_fp_ieee_underflow 0
		.amdhsa_exception_fp_ieee_inexact 0
		.amdhsa_exception_int_div_zero 0
	.end_amdhsa_kernel
	.section	.text._ZN4vllm3moe10topkGatingILi16ELi512ELi4ELi16ELi32Ej14__hip_bfloat16LNS0_11ScoringFuncE0EEEvPKT5_PKbPfiPT4_PiiiibPKf,"axG",@progbits,_ZN4vllm3moe10topkGatingILi16ELi512ELi4ELi16ELi32Ej14__hip_bfloat16LNS0_11ScoringFuncE0EEEvPKT5_PKbPfiPT4_PiiiibPKf,comdat
.Lfunc_end167:
	.size	_ZN4vllm3moe10topkGatingILi16ELi512ELi4ELi16ELi32Ej14__hip_bfloat16LNS0_11ScoringFuncE0EEEvPKT5_PKbPfiPT4_PiiiibPKf, .Lfunc_end167-_ZN4vllm3moe10topkGatingILi16ELi512ELi4ELi16ELi32Ej14__hip_bfloat16LNS0_11ScoringFuncE0EEEvPKT5_PKbPfiPT4_PiiiibPKf
                                        ; -- End function
	.section	.AMDGPU.csdata,"",@progbits
; Kernel info:
; codeLenInByte = 4700
; NumSgprs: 30
; NumVgprs: 61
; NumAgprs: 0
; TotalNumVgprs: 61
; ScratchSize: 0
; MemoryBound: 0
; FloatMode: 240
; IeeeMode: 1
; LDSByteSize: 0 bytes/workgroup (compile time only)
; SGPRBlocks: 3
; VGPRBlocks: 7
; NumSGPRsForWavesPerEU: 30
; NumVGPRsForWavesPerEU: 61
; AccumOffset: 64
; Occupancy: 8
; WaveLimiterHint : 1
; COMPUTE_PGM_RSRC2:SCRATCH_EN: 0
; COMPUTE_PGM_RSRC2:USER_SGPR: 6
; COMPUTE_PGM_RSRC2:TRAP_HANDLER: 0
; COMPUTE_PGM_RSRC2:TGID_X_EN: 1
; COMPUTE_PGM_RSRC2:TGID_Y_EN: 0
; COMPUTE_PGM_RSRC2:TGID_Z_EN: 0
; COMPUTE_PGM_RSRC2:TIDIG_COMP_CNT: 1
; COMPUTE_PGM_RSRC3_GFX90A:ACCUM_OFFSET: 15
; COMPUTE_PGM_RSRC3_GFX90A:TG_SPLIT: 0
	.section	.text._ZN4vllm3moe10topkGatingILi1ELi1ELi4ELi2ELi64El14__hip_bfloat16LNS0_11ScoringFuncE0EEEvPKT5_PKbPfiPT4_PiiiibPKf,"axG",@progbits,_ZN4vllm3moe10topkGatingILi1ELi1ELi4ELi2ELi64El14__hip_bfloat16LNS0_11ScoringFuncE0EEEvPKT5_PKbPfiPT4_PiiiibPKf,comdat
	.protected	_ZN4vllm3moe10topkGatingILi1ELi1ELi4ELi2ELi64El14__hip_bfloat16LNS0_11ScoringFuncE0EEEvPKT5_PKbPfiPT4_PiiiibPKf ; -- Begin function _ZN4vllm3moe10topkGatingILi1ELi1ELi4ELi2ELi64El14__hip_bfloat16LNS0_11ScoringFuncE0EEEvPKT5_PKbPfiPT4_PiiiibPKf
	.globl	_ZN4vllm3moe10topkGatingILi1ELi1ELi4ELi2ELi64El14__hip_bfloat16LNS0_11ScoringFuncE0EEEvPKT5_PKbPfiPT4_PiiiibPKf
	.p2align	8
	.type	_ZN4vllm3moe10topkGatingILi1ELi1ELi4ELi2ELi64El14__hip_bfloat16LNS0_11ScoringFuncE0EEEvPKT5_PKbPfiPT4_PiiiibPKf,@function
_ZN4vllm3moe10topkGatingILi1ELi1ELi4ELi2ELi64El14__hip_bfloat16LNS0_11ScoringFuncE0EEEvPKT5_PKbPfiPT4_PiiiibPKf: ; @_ZN4vllm3moe10topkGatingILi1ELi1ELi4ELi2ELi64El14__hip_bfloat16LNS0_11ScoringFuncE0EEEvPKT5_PKbPfiPT4_PiiiibPKf
; %bb.0:
	s_load_dword s18, s[4:5], 0x18
	v_bfe_u32 v1, v0, 10, 10
	s_lshl_b32 s0, s6, 8
	v_lshlrev_b32_e32 v1, 6, v1
	v_and_b32_e32 v0, 0x3ff, v0
	v_add3_u32 v0, v1, v0, s0
	s_waitcnt lgkmcnt(0)
	v_cmp_gt_i32_e32 vcc, s18, v0
	s_and_saveexec_b64 s[0:1], vcc
	s_cbranch_execz .LBB168_17
; %bb.1:
	s_load_dwordx4 s[12:15], s[4:5], 0x0
	s_load_dwordx2 s[2:3], s[4:5], 0x10
	v_ashrrev_i32_e32 v1, 31, v0
	s_waitcnt lgkmcnt(0)
	s_cmp_eq_u64 s[14:15], 0
	s_cbranch_scc1 .LBB168_3
; %bb.2:
	v_mov_b32_e32 v3, s15
	v_add_co_u32_e32 v2, vcc, s14, v0
	v_addc_co_u32_e32 v3, vcc, v3, v1, vcc
	global_load_ubyte v2, v[2:3], off
	s_waitcnt vmcnt(0)
	v_and_b32_e32 v2, 1, v2
	v_cmp_eq_u32_e32 vcc, 1, v2
	s_xor_b64 s[0:1], vcc, -1
	s_orn2_b64 s[16:17], s[0:1], exec
	s_branch .LBB168_4
.LBB168_3:
	s_mov_b64 s[16:17], -1
.LBB168_4:
	s_load_dwordx4 s[8:11], s[4:5], 0x30
	s_waitcnt lgkmcnt(0)
	s_bitcmp1_b32 s11, 0
	s_cselect_b64 s[0:1], -1, 0
	s_cmp_gt_i32 s8, 0
	s_cselect_b64 s[14:15], -1, 0
	s_cmp_lt_i32 s8, 1
	s_cbranch_scc1 .LBB168_8
; %bb.5:
	v_lshlrev_b64 v[2:3], 1, v[0:1]
	v_mov_b32_e32 v1, s13
	v_add_co_u32_e32 v2, vcc, s12, v2
	v_addc_co_u32_e32 v3, vcc, v1, v3, vcc
	global_load_ushort v11, v[2:3], off
	s_mov_b32 s19, 0x3fb8aa3b
	v_mul_lo_u32 v2, v0, s8
	s_load_dwordx4 s[4:7], s[4:5], 0x20
	s_cmp_lt_i32 s9, 1
	v_ashrrev_i32_e32 v3, 31, v2
	s_cselect_b64 s[12:13], -1, 0
	s_cmp_gt_i32 s10, 0
	v_lshlrev_b64 v[8:9], 2, v[2:3]
	v_mov_b32_e32 v4, s3
	s_cselect_b64 s[10:11], -1, 0
	s_sub_i32 s9, 0, s9
	v_lshlrev_b64 v[6:7], 3, v[2:3]
	v_add_co_u32_e32 v2, vcc, s2, v8
	s_and_b64 s[10:11], s[12:13], s[10:11]
	s_ashr_i32 s12, s9, 31
	v_addc_co_u32_e32 v3, vcc, v4, v9, vcc
	v_mov_b32_e32 v13, s9
	v_mov_b32_e32 v4, s12
	s_and_b64 vcc, s[16:17], s[10:11]
	v_cndmask_b32_e32 v5, 0, v4, vcc
	v_cndmask_b32_e32 v4, 1, v13, vcc
	s_waitcnt lgkmcnt(0)
	v_mov_b32_e32 v13, s5
	v_add_co_u32_e32 v6, vcc, s4, v6
	s_mov_b32 s20, 0xc2ce8ed0
	v_addc_co_u32_e32 v7, vcc, v13, v7, vcc
	s_mov_b32 s21, 0x42b17218
	v_mov_b32_e32 v12, 0x7f800000
	v_mov_b32_e32 v14, s7
	s_movk_i32 s22, 0x1f8
	v_mov_b32_e32 v1, 0
	v_mov_b32_e32 v10, v0
	s_waitcnt vmcnt(0)
	v_lshlrev_b32_e32 v11, 16, v11
	v_sub_f32_e32 v11, v11, v11
	v_mul_f32_e32 v15, 0x3fb8aa3b, v11
	v_fma_f32 v16, v11, s19, -v15
	v_rndne_f32_e32 v17, v15
	v_fmac_f32_e32 v16, 0x32a5705f, v11
	v_sub_f32_e32 v15, v15, v17
	v_add_f32_e32 v15, v15, v16
	v_cvt_i32_f32_e32 v17, v17
	v_exp_f32_e32 v15, v15
	v_cmp_ngt_f32_e32 vcc, s20, v11
	v_ldexp_f32 v13, v15, v17
	v_cndmask_b32_e32 v13, 0, v13, vcc
	v_cmp_nlt_f32_e32 vcc, s21, v11
	v_cndmask_b32_e32 v11, v12, v13, vcc
	v_div_scale_f32 v12, s[4:5], v11, v11, 1.0
	v_rcp_f32_e32 v13, v12
	v_add_co_u32_e32 v8, vcc, s6, v8
	v_addc_co_u32_e32 v9, vcc, v14, v9, vcc
	v_fma_f32 v15, -v12, v13, 1.0
	v_div_scale_f32 v14, vcc, 1.0, v11, 1.0
	v_fmac_f32_e32 v13, v15, v13
	v_mul_f32_e32 v15, v14, v13
	v_fma_f32 v16, -v12, v15, v14
	v_fmac_f32_e32 v15, v16, v13
	v_fma_f32 v12, -v12, v15, v14
	v_div_fmas_f32 v12, v12, v13, v15
	v_div_fixup_f32 v12, v12, v11, 1.0
	v_mul_f32_e32 v11, v11, v12
	v_cmp_class_f32_e64 vcc, v11, s22
	v_cndmask_b32_e32 v11, 0, v11, vcc
	s_mov_b32 s4, s8
.LBB168_6:                              ; =>This Inner Loop Header: Depth=1
	global_store_dword v[2:3], v11, off
	global_store_dwordx2 v[6:7], v[4:5], off
	global_store_dword v[8:9], v10, off
	v_add_co_u32_e32 v2, vcc, 4, v2
	v_addc_co_u32_e32 v3, vcc, 0, v3, vcc
	v_add_co_u32_e32 v6, vcc, 8, v6
	v_addc_co_u32_e32 v7, vcc, 0, v7, vcc
	v_add_f32_e32 v12, v1, v11
	s_add_i32 s4, s4, -1
	v_add_co_u32_e32 v8, vcc, 4, v8
	v_cndmask_b32_e64 v1, v1, v12, s[0:1]
	v_add_u32_e32 v10, s18, v10
	s_cmp_lg_u32 s4, 0
	v_addc_co_u32_e32 v9, vcc, 0, v9, vcc
	s_cbranch_scc1 .LBB168_6
; %bb.7:
	s_andn2_b64 vcc, exec, s[0:1]
	s_cbranch_vccz .LBB168_9
	s_branch .LBB168_17
.LBB168_8:
	v_mov_b32_e32 v1, 0
	s_andn2_b64 vcc, exec, s[0:1]
	s_cbranch_vccnz .LBB168_17
.LBB168_9:
	s_andn2_b64 vcc, exec, s[14:15]
	s_cbranch_vccnz .LBB168_17
; %bb.10:
	v_cmp_lt_f32_e32 vcc, 0, v1
	s_mov_b32 s4, 0
	v_cndmask_b32_e32 v2, 1.0, v1, vcc
	v_mul_lo_u32 v0, v0, s8
	s_cmp_eq_u32 s8, 1
	s_mov_b64 s[0:1], -1
	s_cbranch_scc1 .LBB168_14
; %bb.11:
	s_and_b32 s4, s8, 0x7ffffffe
	v_mov_b32_e32 v1, v2
	v_mov_b32_e32 v3, s3
	s_mov_b32 s5, s4
	v_mov_b32_e32 v4, v0
.LBB168_12:                             ; =>This Inner Loop Header: Depth=1
	v_ashrrev_i32_e32 v5, 31, v4
	v_lshlrev_b64 v[6:7], 2, v[4:5]
	v_add_co_u32_e32 v6, vcc, s2, v6
	v_addc_co_u32_e32 v7, vcc, v3, v7, vcc
	global_load_dwordx2 v[8:9], v[6:7], off
	s_add_i32 s5, s5, -2
	s_cmp_lg_u32 s5, 0
	v_add_u32_e32 v4, 2, v4
	s_waitcnt vmcnt(0)
	v_div_scale_f32 v5, s[0:1], v1, v1, v9
	v_div_scale_f32 v11, s[0:1], v2, v2, v8
	v_rcp_f32_e32 v12, v5
	v_rcp_f32_e32 v13, v11
	v_div_scale_f32 v10, vcc, v9, v1, v9
	v_fma_f32 v15, -v5, v12, 1.0
	v_fma_f32 v16, -v11, v13, 1.0
	v_fmac_f32_e32 v12, v15, v12
	v_div_scale_f32 v14, s[0:1], v8, v2, v8
	v_fmac_f32_e32 v13, v16, v13
	v_mul_f32_e32 v15, v10, v12
	v_mul_f32_e32 v16, v14, v13
	v_fma_f32 v17, -v5, v15, v10
	v_fma_f32 v18, -v11, v16, v14
	v_fmac_f32_e32 v15, v17, v12
	v_fmac_f32_e32 v16, v18, v13
	v_fma_f32 v5, -v5, v15, v10
	v_fma_f32 v10, -v11, v16, v14
	v_div_fmas_f32 v5, v5, v12, v15
	s_mov_b64 vcc, s[0:1]
	v_div_fixup_f32 v9, v5, v1, v9
	v_div_fmas_f32 v5, v10, v13, v16
	v_div_fixup_f32 v8, v5, v2, v8
	global_store_dwordx2 v[6:7], v[8:9], off
	s_cbranch_scc1 .LBB168_12
; %bb.13:
	s_cmp_lg_u32 s4, s8
	s_cselect_b64 s[0:1], -1, 0
.LBB168_14:
	s_and_b64 vcc, exec, s[0:1]
	s_cbranch_vccz .LBB168_17
; %bb.15:
	v_ashrrev_i32_e32 v1, 31, v0
	v_add_co_u32_e32 v0, vcc, s4, v0
	v_addc_co_u32_e32 v1, vcc, 0, v1, vcc
	v_lshlrev_b64 v[0:1], 2, v[0:1]
	v_mov_b32_e32 v3, s3
	v_add_co_u32_e32 v0, vcc, s2, v0
	s_sub_i32 s0, s8, s4
	v_addc_co_u32_e32 v1, vcc, v3, v1, vcc
.LBB168_16:                             ; =>This Inner Loop Header: Depth=1
	global_load_dword v3, v[0:1], off
	s_add_i32 s0, s0, -1
	s_cmp_lg_u32 s0, 0
	s_waitcnt vmcnt(0)
	v_div_scale_f32 v4, s[2:3], v2, v2, v3
	v_rcp_f32_e32 v5, v4
	v_div_scale_f32 v6, vcc, v3, v2, v3
	v_fma_f32 v7, -v4, v5, 1.0
	v_fmac_f32_e32 v5, v7, v5
	v_mul_f32_e32 v7, v6, v5
	v_fma_f32 v8, -v4, v7, v6
	v_fmac_f32_e32 v7, v8, v5
	v_fma_f32 v4, -v4, v7, v6
	v_div_fmas_f32 v4, v4, v5, v7
	v_div_fixup_f32 v3, v4, v2, v3
	global_store_dword v[0:1], v3, off
	v_add_co_u32_e32 v0, vcc, 4, v0
	v_addc_co_u32_e32 v1, vcc, 0, v1, vcc
	s_cbranch_scc1 .LBB168_16
.LBB168_17:
	s_endpgm
	.section	.rodata,"a",@progbits
	.p2align	6, 0x0
	.amdhsa_kernel _ZN4vllm3moe10topkGatingILi1ELi1ELi4ELi2ELi64El14__hip_bfloat16LNS0_11ScoringFuncE0EEEvPKT5_PKbPfiPT4_PiiiibPKf
		.amdhsa_group_segment_fixed_size 0
		.amdhsa_private_segment_fixed_size 0
		.amdhsa_kernarg_size 72
		.amdhsa_user_sgpr_count 6
		.amdhsa_user_sgpr_private_segment_buffer 1
		.amdhsa_user_sgpr_dispatch_ptr 0
		.amdhsa_user_sgpr_queue_ptr 0
		.amdhsa_user_sgpr_kernarg_segment_ptr 1
		.amdhsa_user_sgpr_dispatch_id 0
		.amdhsa_user_sgpr_flat_scratch_init 0
		.amdhsa_user_sgpr_kernarg_preload_length 0
		.amdhsa_user_sgpr_kernarg_preload_offset 0
		.amdhsa_user_sgpr_private_segment_size 0
		.amdhsa_uses_dynamic_stack 0
		.amdhsa_system_sgpr_private_segment_wavefront_offset 0
		.amdhsa_system_sgpr_workgroup_id_x 1
		.amdhsa_system_sgpr_workgroup_id_y 0
		.amdhsa_system_sgpr_workgroup_id_z 0
		.amdhsa_system_sgpr_workgroup_info 0
		.amdhsa_system_vgpr_workitem_id 1
		.amdhsa_next_free_vgpr 19
		.amdhsa_next_free_sgpr 23
		.amdhsa_accum_offset 20
		.amdhsa_reserve_vcc 1
		.amdhsa_reserve_flat_scratch 0
		.amdhsa_float_round_mode_32 0
		.amdhsa_float_round_mode_16_64 0
		.amdhsa_float_denorm_mode_32 3
		.amdhsa_float_denorm_mode_16_64 3
		.amdhsa_dx10_clamp 1
		.amdhsa_ieee_mode 1
		.amdhsa_fp16_overflow 0
		.amdhsa_tg_split 0
		.amdhsa_exception_fp_ieee_invalid_op 0
		.amdhsa_exception_fp_denorm_src 0
		.amdhsa_exception_fp_ieee_div_zero 0
		.amdhsa_exception_fp_ieee_overflow 0
		.amdhsa_exception_fp_ieee_underflow 0
		.amdhsa_exception_fp_ieee_inexact 0
		.amdhsa_exception_int_div_zero 0
	.end_amdhsa_kernel
	.section	.text._ZN4vllm3moe10topkGatingILi1ELi1ELi4ELi2ELi64El14__hip_bfloat16LNS0_11ScoringFuncE0EEEvPKT5_PKbPfiPT4_PiiiibPKf,"axG",@progbits,_ZN4vllm3moe10topkGatingILi1ELi1ELi4ELi2ELi64El14__hip_bfloat16LNS0_11ScoringFuncE0EEEvPKT5_PKbPfiPT4_PiiiibPKf,comdat
.Lfunc_end168:
	.size	_ZN4vllm3moe10topkGatingILi1ELi1ELi4ELi2ELi64El14__hip_bfloat16LNS0_11ScoringFuncE0EEEvPKT5_PKbPfiPT4_PiiiibPKf, .Lfunc_end168-_ZN4vllm3moe10topkGatingILi1ELi1ELi4ELi2ELi64El14__hip_bfloat16LNS0_11ScoringFuncE0EEEvPKT5_PKbPfiPT4_PiiiibPKf
                                        ; -- End function
	.section	.AMDGPU.csdata,"",@progbits
; Kernel info:
; codeLenInByte = 1076
; NumSgprs: 27
; NumVgprs: 19
; NumAgprs: 0
; TotalNumVgprs: 19
; ScratchSize: 0
; MemoryBound: 0
; FloatMode: 240
; IeeeMode: 1
; LDSByteSize: 0 bytes/workgroup (compile time only)
; SGPRBlocks: 3
; VGPRBlocks: 2
; NumSGPRsForWavesPerEU: 27
; NumVGPRsForWavesPerEU: 19
; AccumOffset: 20
; Occupancy: 8
; WaveLimiterHint : 0
; COMPUTE_PGM_RSRC2:SCRATCH_EN: 0
; COMPUTE_PGM_RSRC2:USER_SGPR: 6
; COMPUTE_PGM_RSRC2:TRAP_HANDLER: 0
; COMPUTE_PGM_RSRC2:TGID_X_EN: 1
; COMPUTE_PGM_RSRC2:TGID_Y_EN: 0
; COMPUTE_PGM_RSRC2:TGID_Z_EN: 0
; COMPUTE_PGM_RSRC2:TIDIG_COMP_CNT: 1
; COMPUTE_PGM_RSRC3_GFX90A:ACCUM_OFFSET: 4
; COMPUTE_PGM_RSRC3_GFX90A:TG_SPLIT: 0
	.section	.text._ZN4vllm3moe10topkGatingILi1ELi1ELi4ELi2ELi32El14__hip_bfloat16LNS0_11ScoringFuncE0EEEvPKT5_PKbPfiPT4_PiiiibPKf,"axG",@progbits,_ZN4vllm3moe10topkGatingILi1ELi1ELi4ELi2ELi32El14__hip_bfloat16LNS0_11ScoringFuncE0EEEvPKT5_PKbPfiPT4_PiiiibPKf,comdat
	.protected	_ZN4vllm3moe10topkGatingILi1ELi1ELi4ELi2ELi32El14__hip_bfloat16LNS0_11ScoringFuncE0EEEvPKT5_PKbPfiPT4_PiiiibPKf ; -- Begin function _ZN4vllm3moe10topkGatingILi1ELi1ELi4ELi2ELi32El14__hip_bfloat16LNS0_11ScoringFuncE0EEEvPKT5_PKbPfiPT4_PiiiibPKf
	.globl	_ZN4vllm3moe10topkGatingILi1ELi1ELi4ELi2ELi32El14__hip_bfloat16LNS0_11ScoringFuncE0EEEvPKT5_PKbPfiPT4_PiiiibPKf
	.p2align	8
	.type	_ZN4vllm3moe10topkGatingILi1ELi1ELi4ELi2ELi32El14__hip_bfloat16LNS0_11ScoringFuncE0EEEvPKT5_PKbPfiPT4_PiiiibPKf,@function
_ZN4vllm3moe10topkGatingILi1ELi1ELi4ELi2ELi32El14__hip_bfloat16LNS0_11ScoringFuncE0EEEvPKT5_PKbPfiPT4_PiiiibPKf: ; @_ZN4vllm3moe10topkGatingILi1ELi1ELi4ELi2ELi32El14__hip_bfloat16LNS0_11ScoringFuncE0EEEvPKT5_PKbPfiPT4_PiiiibPKf
; %bb.0:
	s_load_dword s18, s[4:5], 0x18
	v_bfe_u32 v1, v0, 10, 10
	s_lshl_b32 s0, s6, 7
	v_lshlrev_b32_e32 v1, 5, v1
	v_and_b32_e32 v0, 0x3ff, v0
	v_add3_u32 v0, v1, v0, s0
	s_waitcnt lgkmcnt(0)
	v_cmp_gt_i32_e32 vcc, s18, v0
	s_and_saveexec_b64 s[0:1], vcc
	s_cbranch_execz .LBB169_17
; %bb.1:
	s_load_dwordx4 s[12:15], s[4:5], 0x0
	s_load_dwordx2 s[2:3], s[4:5], 0x10
	v_ashrrev_i32_e32 v1, 31, v0
	s_waitcnt lgkmcnt(0)
	s_cmp_eq_u64 s[14:15], 0
	s_cbranch_scc1 .LBB169_3
; %bb.2:
	v_mov_b32_e32 v3, s15
	v_add_co_u32_e32 v2, vcc, s14, v0
	v_addc_co_u32_e32 v3, vcc, v3, v1, vcc
	global_load_ubyte v2, v[2:3], off
	s_waitcnt vmcnt(0)
	v_and_b32_e32 v2, 1, v2
	v_cmp_eq_u32_e32 vcc, 1, v2
	s_xor_b64 s[0:1], vcc, -1
	s_orn2_b64 s[16:17], s[0:1], exec
	s_branch .LBB169_4
.LBB169_3:
	s_mov_b64 s[16:17], -1
.LBB169_4:
	s_load_dwordx4 s[8:11], s[4:5], 0x30
	s_waitcnt lgkmcnt(0)
	s_bitcmp1_b32 s11, 0
	s_cselect_b64 s[0:1], -1, 0
	s_cmp_gt_i32 s8, 0
	s_cselect_b64 s[14:15], -1, 0
	s_cmp_lt_i32 s8, 1
	s_cbranch_scc1 .LBB169_8
; %bb.5:
	v_lshlrev_b64 v[2:3], 1, v[0:1]
	v_mov_b32_e32 v1, s13
	v_add_co_u32_e32 v2, vcc, s12, v2
	v_addc_co_u32_e32 v3, vcc, v1, v3, vcc
	global_load_ushort v11, v[2:3], off
	s_mov_b32 s19, 0x3fb8aa3b
	v_mul_lo_u32 v2, v0, s8
	s_load_dwordx4 s[4:7], s[4:5], 0x20
	s_cmp_lt_i32 s9, 1
	v_ashrrev_i32_e32 v3, 31, v2
	s_cselect_b64 s[12:13], -1, 0
	s_cmp_gt_i32 s10, 0
	v_lshlrev_b64 v[8:9], 2, v[2:3]
	v_mov_b32_e32 v4, s3
	s_cselect_b64 s[10:11], -1, 0
	s_sub_i32 s9, 0, s9
	v_lshlrev_b64 v[6:7], 3, v[2:3]
	v_add_co_u32_e32 v2, vcc, s2, v8
	s_and_b64 s[10:11], s[12:13], s[10:11]
	s_ashr_i32 s12, s9, 31
	v_addc_co_u32_e32 v3, vcc, v4, v9, vcc
	v_mov_b32_e32 v13, s9
	v_mov_b32_e32 v4, s12
	s_and_b64 vcc, s[16:17], s[10:11]
	v_cndmask_b32_e32 v5, 0, v4, vcc
	v_cndmask_b32_e32 v4, 1, v13, vcc
	s_waitcnt lgkmcnt(0)
	v_mov_b32_e32 v13, s5
	v_add_co_u32_e32 v6, vcc, s4, v6
	s_mov_b32 s20, 0xc2ce8ed0
	v_addc_co_u32_e32 v7, vcc, v13, v7, vcc
	s_mov_b32 s21, 0x42b17218
	v_mov_b32_e32 v12, 0x7f800000
	v_mov_b32_e32 v14, s7
	s_movk_i32 s22, 0x1f8
	v_mov_b32_e32 v1, 0
	v_mov_b32_e32 v10, v0
	s_waitcnt vmcnt(0)
	v_lshlrev_b32_e32 v11, 16, v11
	v_sub_f32_e32 v11, v11, v11
	v_mul_f32_e32 v15, 0x3fb8aa3b, v11
	v_fma_f32 v16, v11, s19, -v15
	v_rndne_f32_e32 v17, v15
	v_fmac_f32_e32 v16, 0x32a5705f, v11
	v_sub_f32_e32 v15, v15, v17
	v_add_f32_e32 v15, v15, v16
	v_cvt_i32_f32_e32 v17, v17
	v_exp_f32_e32 v15, v15
	v_cmp_ngt_f32_e32 vcc, s20, v11
	v_ldexp_f32 v13, v15, v17
	v_cndmask_b32_e32 v13, 0, v13, vcc
	v_cmp_nlt_f32_e32 vcc, s21, v11
	v_cndmask_b32_e32 v11, v12, v13, vcc
	v_div_scale_f32 v12, s[4:5], v11, v11, 1.0
	v_rcp_f32_e32 v13, v12
	v_add_co_u32_e32 v8, vcc, s6, v8
	v_addc_co_u32_e32 v9, vcc, v14, v9, vcc
	v_fma_f32 v15, -v12, v13, 1.0
	v_div_scale_f32 v14, vcc, 1.0, v11, 1.0
	v_fmac_f32_e32 v13, v15, v13
	v_mul_f32_e32 v15, v14, v13
	v_fma_f32 v16, -v12, v15, v14
	v_fmac_f32_e32 v15, v16, v13
	v_fma_f32 v12, -v12, v15, v14
	v_div_fmas_f32 v12, v12, v13, v15
	v_div_fixup_f32 v12, v12, v11, 1.0
	v_mul_f32_e32 v11, v11, v12
	v_cmp_class_f32_e64 vcc, v11, s22
	v_cndmask_b32_e32 v11, 0, v11, vcc
	s_mov_b32 s4, s8
.LBB169_6:                              ; =>This Inner Loop Header: Depth=1
	global_store_dword v[2:3], v11, off
	global_store_dwordx2 v[6:7], v[4:5], off
	global_store_dword v[8:9], v10, off
	v_add_co_u32_e32 v2, vcc, 4, v2
	v_addc_co_u32_e32 v3, vcc, 0, v3, vcc
	v_add_co_u32_e32 v6, vcc, 8, v6
	v_addc_co_u32_e32 v7, vcc, 0, v7, vcc
	v_add_f32_e32 v12, v1, v11
	s_add_i32 s4, s4, -1
	v_add_co_u32_e32 v8, vcc, 4, v8
	v_cndmask_b32_e64 v1, v1, v12, s[0:1]
	v_add_u32_e32 v10, s18, v10
	s_cmp_lg_u32 s4, 0
	v_addc_co_u32_e32 v9, vcc, 0, v9, vcc
	s_cbranch_scc1 .LBB169_6
; %bb.7:
	s_andn2_b64 vcc, exec, s[0:1]
	s_cbranch_vccz .LBB169_9
	s_branch .LBB169_17
.LBB169_8:
	v_mov_b32_e32 v1, 0
	s_andn2_b64 vcc, exec, s[0:1]
	s_cbranch_vccnz .LBB169_17
.LBB169_9:
	s_andn2_b64 vcc, exec, s[14:15]
	s_cbranch_vccnz .LBB169_17
; %bb.10:
	v_cmp_lt_f32_e32 vcc, 0, v1
	s_mov_b32 s4, 0
	v_cndmask_b32_e32 v2, 1.0, v1, vcc
	v_mul_lo_u32 v0, v0, s8
	s_cmp_eq_u32 s8, 1
	s_mov_b64 s[0:1], -1
	s_cbranch_scc1 .LBB169_14
; %bb.11:
	s_and_b32 s4, s8, 0x7ffffffe
	v_mov_b32_e32 v1, v2
	v_mov_b32_e32 v3, s3
	s_mov_b32 s5, s4
	v_mov_b32_e32 v4, v0
.LBB169_12:                             ; =>This Inner Loop Header: Depth=1
	v_ashrrev_i32_e32 v5, 31, v4
	v_lshlrev_b64 v[6:7], 2, v[4:5]
	v_add_co_u32_e32 v6, vcc, s2, v6
	v_addc_co_u32_e32 v7, vcc, v3, v7, vcc
	global_load_dwordx2 v[8:9], v[6:7], off
	s_add_i32 s5, s5, -2
	s_cmp_lg_u32 s5, 0
	v_add_u32_e32 v4, 2, v4
	s_waitcnt vmcnt(0)
	v_div_scale_f32 v5, s[0:1], v1, v1, v9
	v_div_scale_f32 v11, s[0:1], v2, v2, v8
	v_rcp_f32_e32 v12, v5
	v_rcp_f32_e32 v13, v11
	v_div_scale_f32 v10, vcc, v9, v1, v9
	v_fma_f32 v15, -v5, v12, 1.0
	v_fma_f32 v16, -v11, v13, 1.0
	v_fmac_f32_e32 v12, v15, v12
	v_div_scale_f32 v14, s[0:1], v8, v2, v8
	v_fmac_f32_e32 v13, v16, v13
	v_mul_f32_e32 v15, v10, v12
	v_mul_f32_e32 v16, v14, v13
	v_fma_f32 v17, -v5, v15, v10
	v_fma_f32 v18, -v11, v16, v14
	v_fmac_f32_e32 v15, v17, v12
	v_fmac_f32_e32 v16, v18, v13
	v_fma_f32 v5, -v5, v15, v10
	v_fma_f32 v10, -v11, v16, v14
	v_div_fmas_f32 v5, v5, v12, v15
	s_mov_b64 vcc, s[0:1]
	v_div_fixup_f32 v9, v5, v1, v9
	v_div_fmas_f32 v5, v10, v13, v16
	v_div_fixup_f32 v8, v5, v2, v8
	global_store_dwordx2 v[6:7], v[8:9], off
	s_cbranch_scc1 .LBB169_12
; %bb.13:
	s_cmp_lg_u32 s4, s8
	s_cselect_b64 s[0:1], -1, 0
.LBB169_14:
	s_and_b64 vcc, exec, s[0:1]
	s_cbranch_vccz .LBB169_17
; %bb.15:
	v_ashrrev_i32_e32 v1, 31, v0
	v_add_co_u32_e32 v0, vcc, s4, v0
	v_addc_co_u32_e32 v1, vcc, 0, v1, vcc
	v_lshlrev_b64 v[0:1], 2, v[0:1]
	v_mov_b32_e32 v3, s3
	v_add_co_u32_e32 v0, vcc, s2, v0
	s_sub_i32 s0, s8, s4
	v_addc_co_u32_e32 v1, vcc, v3, v1, vcc
.LBB169_16:                             ; =>This Inner Loop Header: Depth=1
	global_load_dword v3, v[0:1], off
	s_add_i32 s0, s0, -1
	s_cmp_lg_u32 s0, 0
	s_waitcnt vmcnt(0)
	v_div_scale_f32 v4, s[2:3], v2, v2, v3
	v_rcp_f32_e32 v5, v4
	v_div_scale_f32 v6, vcc, v3, v2, v3
	v_fma_f32 v7, -v4, v5, 1.0
	v_fmac_f32_e32 v5, v7, v5
	v_mul_f32_e32 v7, v6, v5
	v_fma_f32 v8, -v4, v7, v6
	v_fmac_f32_e32 v7, v8, v5
	v_fma_f32 v4, -v4, v7, v6
	v_div_fmas_f32 v4, v4, v5, v7
	v_div_fixup_f32 v3, v4, v2, v3
	global_store_dword v[0:1], v3, off
	v_add_co_u32_e32 v0, vcc, 4, v0
	v_addc_co_u32_e32 v1, vcc, 0, v1, vcc
	s_cbranch_scc1 .LBB169_16
.LBB169_17:
	s_endpgm
	.section	.rodata,"a",@progbits
	.p2align	6, 0x0
	.amdhsa_kernel _ZN4vllm3moe10topkGatingILi1ELi1ELi4ELi2ELi32El14__hip_bfloat16LNS0_11ScoringFuncE0EEEvPKT5_PKbPfiPT4_PiiiibPKf
		.amdhsa_group_segment_fixed_size 0
		.amdhsa_private_segment_fixed_size 0
		.amdhsa_kernarg_size 72
		.amdhsa_user_sgpr_count 6
		.amdhsa_user_sgpr_private_segment_buffer 1
		.amdhsa_user_sgpr_dispatch_ptr 0
		.amdhsa_user_sgpr_queue_ptr 0
		.amdhsa_user_sgpr_kernarg_segment_ptr 1
		.amdhsa_user_sgpr_dispatch_id 0
		.amdhsa_user_sgpr_flat_scratch_init 0
		.amdhsa_user_sgpr_kernarg_preload_length 0
		.amdhsa_user_sgpr_kernarg_preload_offset 0
		.amdhsa_user_sgpr_private_segment_size 0
		.amdhsa_uses_dynamic_stack 0
		.amdhsa_system_sgpr_private_segment_wavefront_offset 0
		.amdhsa_system_sgpr_workgroup_id_x 1
		.amdhsa_system_sgpr_workgroup_id_y 0
		.amdhsa_system_sgpr_workgroup_id_z 0
		.amdhsa_system_sgpr_workgroup_info 0
		.amdhsa_system_vgpr_workitem_id 1
		.amdhsa_next_free_vgpr 19
		.amdhsa_next_free_sgpr 23
		.amdhsa_accum_offset 20
		.amdhsa_reserve_vcc 1
		.amdhsa_reserve_flat_scratch 0
		.amdhsa_float_round_mode_32 0
		.amdhsa_float_round_mode_16_64 0
		.amdhsa_float_denorm_mode_32 3
		.amdhsa_float_denorm_mode_16_64 3
		.amdhsa_dx10_clamp 1
		.amdhsa_ieee_mode 1
		.amdhsa_fp16_overflow 0
		.amdhsa_tg_split 0
		.amdhsa_exception_fp_ieee_invalid_op 0
		.amdhsa_exception_fp_denorm_src 0
		.amdhsa_exception_fp_ieee_div_zero 0
		.amdhsa_exception_fp_ieee_overflow 0
		.amdhsa_exception_fp_ieee_underflow 0
		.amdhsa_exception_fp_ieee_inexact 0
		.amdhsa_exception_int_div_zero 0
	.end_amdhsa_kernel
	.section	.text._ZN4vllm3moe10topkGatingILi1ELi1ELi4ELi2ELi32El14__hip_bfloat16LNS0_11ScoringFuncE0EEEvPKT5_PKbPfiPT4_PiiiibPKf,"axG",@progbits,_ZN4vllm3moe10topkGatingILi1ELi1ELi4ELi2ELi32El14__hip_bfloat16LNS0_11ScoringFuncE0EEEvPKT5_PKbPfiPT4_PiiiibPKf,comdat
.Lfunc_end169:
	.size	_ZN4vllm3moe10topkGatingILi1ELi1ELi4ELi2ELi32El14__hip_bfloat16LNS0_11ScoringFuncE0EEEvPKT5_PKbPfiPT4_PiiiibPKf, .Lfunc_end169-_ZN4vllm3moe10topkGatingILi1ELi1ELi4ELi2ELi32El14__hip_bfloat16LNS0_11ScoringFuncE0EEEvPKT5_PKbPfiPT4_PiiiibPKf
                                        ; -- End function
	.section	.AMDGPU.csdata,"",@progbits
; Kernel info:
; codeLenInByte = 1076
; NumSgprs: 27
; NumVgprs: 19
; NumAgprs: 0
; TotalNumVgprs: 19
; ScratchSize: 0
; MemoryBound: 0
; FloatMode: 240
; IeeeMode: 1
; LDSByteSize: 0 bytes/workgroup (compile time only)
; SGPRBlocks: 3
; VGPRBlocks: 2
; NumSGPRsForWavesPerEU: 27
; NumVGPRsForWavesPerEU: 19
; AccumOffset: 20
; Occupancy: 8
; WaveLimiterHint : 0
; COMPUTE_PGM_RSRC2:SCRATCH_EN: 0
; COMPUTE_PGM_RSRC2:USER_SGPR: 6
; COMPUTE_PGM_RSRC2:TRAP_HANDLER: 0
; COMPUTE_PGM_RSRC2:TGID_X_EN: 1
; COMPUTE_PGM_RSRC2:TGID_Y_EN: 0
; COMPUTE_PGM_RSRC2:TGID_Z_EN: 0
; COMPUTE_PGM_RSRC2:TIDIG_COMP_CNT: 1
; COMPUTE_PGM_RSRC3_GFX90A:ACCUM_OFFSET: 4
; COMPUTE_PGM_RSRC3_GFX90A:TG_SPLIT: 0
	.section	.text._ZN4vllm3moe10topkGatingILi2ELi2ELi4ELi4ELi64El14__hip_bfloat16LNS0_11ScoringFuncE0EEEvPKT5_PKbPfiPT4_PiiiibPKf,"axG",@progbits,_ZN4vllm3moe10topkGatingILi2ELi2ELi4ELi4ELi64El14__hip_bfloat16LNS0_11ScoringFuncE0EEEvPKT5_PKbPfiPT4_PiiiibPKf,comdat
	.protected	_ZN4vllm3moe10topkGatingILi2ELi2ELi4ELi4ELi64El14__hip_bfloat16LNS0_11ScoringFuncE0EEEvPKT5_PKbPfiPT4_PiiiibPKf ; -- Begin function _ZN4vllm3moe10topkGatingILi2ELi2ELi4ELi4ELi64El14__hip_bfloat16LNS0_11ScoringFuncE0EEEvPKT5_PKbPfiPT4_PiiiibPKf
	.globl	_ZN4vllm3moe10topkGatingILi2ELi2ELi4ELi4ELi64El14__hip_bfloat16LNS0_11ScoringFuncE0EEEvPKT5_PKbPfiPT4_PiiiibPKf
	.p2align	8
	.type	_ZN4vllm3moe10topkGatingILi2ELi2ELi4ELi4ELi64El14__hip_bfloat16LNS0_11ScoringFuncE0EEEvPKT5_PKbPfiPT4_PiiiibPKf,@function
_ZN4vllm3moe10topkGatingILi2ELi2ELi4ELi4ELi64El14__hip_bfloat16LNS0_11ScoringFuncE0EEEvPKT5_PKbPfiPT4_PiiiibPKf: ; @_ZN4vllm3moe10topkGatingILi2ELi2ELi4ELi4ELi64El14__hip_bfloat16LNS0_11ScoringFuncE0EEEvPKT5_PKbPfiPT4_PiiiibPKf
; %bb.0:
	s_load_dword s16, s[4:5], 0x18
	v_bfe_u32 v1, v0, 10, 10
	s_lshl_b32 s0, s6, 8
	v_lshlrev_b32_e32 v1, 6, v1
	v_and_b32_e32 v0, 0x3ff, v0
	v_add3_u32 v10, v1, v0, s0
	s_waitcnt lgkmcnt(0)
	v_cmp_gt_i32_e32 vcc, s16, v10
	s_and_saveexec_b64 s[0:1], vcc
	s_cbranch_execz .LBB170_19
; %bb.1:
	s_load_dwordx4 s[0:3], s[4:5], 0x0
	s_load_dwordx2 s[6:7], s[4:5], 0x10
	s_waitcnt lgkmcnt(0)
	s_cmp_eq_u64 s[2:3], 0
	s_cbranch_scc1 .LBB170_3
; %bb.2:
	v_ashrrev_i32_e32 v1, 31, v10
	v_mov_b32_e32 v2, s3
	v_add_co_u32_e32 v0, vcc, s2, v10
	v_addc_co_u32_e32 v1, vcc, v2, v1, vcc
	global_load_ubyte v0, v[0:1], off
	s_waitcnt vmcnt(0)
	v_and_b32_e32 v0, 1, v0
	v_cmp_eq_u32_e32 vcc, 1, v0
	s_xor_b64 s[2:3], vcc, -1
	s_orn2_b64 s[12:13], s[2:3], exec
	s_branch .LBB170_4
.LBB170_3:
	s_mov_b64 s[12:13], -1
.LBB170_4:
	v_lshlrev_b32_e32 v0, 1, v10
	v_ashrrev_i32_e32 v1, 31, v0
	v_lshlrev_b64 v[0:1], 1, v[0:1]
	v_mov_b32_e32 v2, s1
	v_add_co_u32_e32 v0, vcc, s0, v0
	v_addc_co_u32_e32 v1, vcc, v2, v1, vcc
	global_load_dword v0, v[0:1], off
	s_mov_b32 s2, 0x3fb8aa3b
	s_mov_b32 s3, 0xc2ce8ed0
	;; [unrolled: 1-line block ×3, first 2 shown]
	s_load_dwordx2 s[0:1], s[4:5], 0x40
	s_mov_b32 s9, 0x7f800000
	s_waitcnt lgkmcnt(0)
	s_cmp_eq_u64 s[0:1], 0
	s_waitcnt vmcnt(0)
	v_and_b32_e32 v1, 0xffff0000, v0
	v_lshlrev_b32_e32 v0, 16, v0
	v_max_f32_e32 v2, v1, v1
	v_max_f32_e32 v3, v0, v0
	;; [unrolled: 1-line block ×3, first 2 shown]
	v_pk_add_f32 v[0:1], v[0:1], v[2:3] op_sel_hi:[1,0] neg_lo:[0,1] neg_hi:[0,1]
	v_mul_f32_e32 v2, 0x3fb8aa3b, v1
	v_mul_f32_e32 v3, 0x3fb8aa3b, v0
	v_fma_f32 v4, v1, s2, -v2
	v_rndne_f32_e32 v5, v2
	v_fma_f32 v6, v0, s2, -v3
	v_rndne_f32_e32 v7, v3
	v_fmac_f32_e32 v4, 0x32a5705f, v1
	v_sub_f32_e32 v2, v2, v5
	v_fmac_f32_e32 v6, 0x32a5705f, v0
	v_sub_f32_e32 v3, v3, v7
	v_add_f32_e32 v2, v2, v4
	v_cvt_i32_f32_e32 v5, v5
	v_add_f32_e32 v3, v3, v6
	v_exp_f32_e32 v2, v2
	v_cvt_i32_f32_e32 v7, v7
	v_exp_f32_e32 v3, v3
	v_cmp_ngt_f32_e32 vcc, s3, v1
	v_ldexp_f32 v2, v2, v5
	v_cndmask_b32_e32 v2, 0, v2, vcc
	v_ldexp_f32 v3, v3, v7
	v_cmp_ngt_f32_e32 vcc, s3, v0
	v_mov_b32_e32 v4, 0x7f800000
	v_cndmask_b32_e32 v3, 0, v3, vcc
	v_cmp_nlt_f32_e32 vcc, s8, v1
	v_cndmask_b32_e32 v1, v4, v2, vcc
	v_cmp_nlt_f32_e32 vcc, s8, v0
	v_cndmask_b32_e32 v0, v4, v3, vcc
	v_add_f32_e32 v2, v0, v1
	v_div_scale_f32 v3, s[2:3], v2, v2, 1.0
	v_rcp_f32_e32 v4, v3
	v_div_scale_f32 v5, vcc, 1.0, v2, 1.0
	s_movk_i32 s2, 0x1f8
	v_fma_f32 v6, -v3, v4, 1.0
	v_fmac_f32_e32 v4, v6, v4
	v_mul_f32_e32 v6, v5, v4
	v_fma_f32 v7, -v3, v6, v5
	v_fmac_f32_e32 v6, v7, v4
	v_fma_f32 v3, -v3, v6, v5
	v_div_fmas_f32 v3, v3, v4, v6
	v_div_fixup_f32 v2, v3, v2, 1.0
	v_pk_mul_f32 v[0:1], v[2:3], v[0:1] op_sel_hi:[0,1]
	v_cmp_nlg_f32_e64 vcc, |v0|, s9
	v_cndmask_b32_e32 v1, v1, v1, vcc
	v_cndmask_b32_e64 v0, v0, 0, vcc
	v_cmp_class_f32_e64 vcc, v1, s2
	v_cndmask_b32_e32 v1, 0, v1, vcc
	v_pk_mov_b32 v[2:3], v[0:1], v[0:1] op_sel:[0,1]
	s_cbranch_scc1 .LBB170_6
; %bb.5:
	s_load_dwordx2 s[0:1], s[0:1], 0x0
	s_waitcnt lgkmcnt(0)
	v_pk_add_f32 v[2:3], v[0:1], s[0:1]
.LBB170_6:
	s_load_dwordx4 s[8:11], s[4:5], 0x30
	s_waitcnt lgkmcnt(0)
	s_bitcmp1_b32 s11, 0
	s_cselect_b64 vcc, -1, 0
	s_cmp_gt_i32 s8, 0
	s_cselect_b64 s[14:15], -1, 0
	s_cmp_lt_i32 s8, 1
	s_cbranch_scc1 .LBB170_10
; %bb.7:
	s_load_dwordx4 s[20:23], s[4:5], 0x20
	v_mul_lo_u32 v6, v10, s8
	v_ashrrev_i32_e32 v7, 31, v6
	v_lshlrev_b64 v[8:9], 2, v[6:7]
	v_mov_b32_e32 v5, s7
	v_add_co_u32_e64 v4, s[0:1], s6, v8
	v_addc_co_u32_e64 v5, s[0:1], v5, v9, s[0:1]
	v_lshlrev_b64 v[6:7], 3, v[6:7]
	s_waitcnt lgkmcnt(0)
	v_mov_b32_e32 v11, s21
	v_add_co_u32_e64 v6, s[0:1], s20, v6
	v_addc_co_u32_e64 v7, s[0:1], v11, v7, s[0:1]
	v_mov_b32_e32 v11, s23
	v_add_co_u32_e64 v8, s[0:1], s22, v8
	v_addc_co_u32_e64 v9, s[0:1], v11, v9, s[0:1]
	s_mov_b32 s11, 0
	v_mov_b32_e32 v11, 0
	v_mov_b32_e32 v12, 0xc61c4000
	;; [unrolled: 1-line block ×3, first 2 shown]
.LBB170_8:                              ; =>This Inner Loop Header: Depth=1
	v_cmp_gt_f32_e64 s[0:1], v3, v2
	v_cndmask_b32_e64 v14, 0, 1, s[0:1]
	v_cmp_le_i32_e64 s[2:3], s9, v14
	v_cmp_gt_i32_e64 s[4:5], s10, v14
	s_and_b64 s[2:3], s[2:3], s[4:5]
	v_subrev_u32_e32 v14, s9, v14
	v_ashrrev_i32_e32 v15, 31, v14
	s_and_b64 s[2:3], s[12:13], s[2:3]
	v_cndmask_b32_e64 v16, v0, v1, s[0:1]
	v_cndmask_b32_e64 v15, 0, v15, s[2:3]
	;; [unrolled: 1-line block ×3, first 2 shown]
	s_add_i32 s11, s11, 1
	global_store_dword v[4:5], v16, off
	global_store_dwordx2 v[6:7], v[14:15], off
	global_store_dword v[8:9], v13, off
	v_add_f32_e32 v14, v11, v16
	s_cmp_lt_i32 s11, s8
	v_cndmask_b32_e32 v11, v11, v14, vcc
	v_cndmask_b32_e64 v14, v12, v2, s[0:1]
	v_cndmask_b32_e64 v15, v3, v12, s[0:1]
	s_cselect_b64 s[0:1], -1, 0
	v_cndmask_b32_e64 v3, v3, v15, s[0:1]
	v_cndmask_b32_e64 v2, v2, v14, s[0:1]
	v_add_co_u32_e64 v4, s[0:1], 4, v4
	v_addc_co_u32_e64 v5, s[0:1], 0, v5, s[0:1]
	v_add_co_u32_e64 v6, s[0:1], 8, v6
	v_addc_co_u32_e64 v7, s[0:1], 0, v7, s[0:1]
	v_add_co_u32_e64 v8, s[0:1], 4, v8
	v_add_u32_e32 v13, s16, v13
	s_cmp_eq_u32 s8, s11
	v_addc_co_u32_e64 v9, s[0:1], 0, v9, s[0:1]
	s_cbranch_scc0 .LBB170_8
; %bb.9:
	s_and_b64 vcc, exec, vcc
	s_cbranch_vccnz .LBB170_11
	s_branch .LBB170_19
.LBB170_10:
	v_mov_b32_e32 v11, 0
	s_and_b64 vcc, exec, vcc
	s_cbranch_vccz .LBB170_19
.LBB170_11:
	s_andn2_b64 vcc, exec, s[14:15]
	s_cbranch_vccnz .LBB170_19
; %bb.12:
	v_cmp_lt_f32_e32 vcc, 0, v11
	s_mov_b32 s2, 0
	v_cndmask_b32_e32 v0, 1.0, v11, vcc
	v_mul_lo_u32 v4, v10, s8
	s_cmp_eq_u32 s8, 1
	s_mov_b64 s[0:1], -1
	s_cbranch_scc1 .LBB170_16
; %bb.13:
	s_and_b32 s2, s8, 0x7ffffffe
	v_mov_b32_e32 v1, v0
	v_mov_b32_e32 v5, s7
	s_mov_b32 s3, s2
	v_mov_b32_e32 v2, v4
.LBB170_14:                             ; =>This Inner Loop Header: Depth=1
	v_ashrrev_i32_e32 v3, 31, v2
	v_lshlrev_b64 v[6:7], 2, v[2:3]
	v_add_co_u32_e32 v6, vcc, s6, v6
	v_addc_co_u32_e32 v7, vcc, v5, v7, vcc
	global_load_dwordx2 v[8:9], v[6:7], off
	s_add_i32 s3, s3, -2
	s_cmp_lg_u32 s3, 0
	v_add_u32_e32 v2, 2, v2
	s_waitcnt vmcnt(0)
	v_div_scale_f32 v3, s[0:1], v1, v1, v9
	v_div_scale_f32 v11, s[0:1], v0, v0, v8
	v_rcp_f32_e32 v12, v3
	v_rcp_f32_e32 v13, v11
	v_div_scale_f32 v10, vcc, v9, v1, v9
	v_fma_f32 v15, -v3, v12, 1.0
	v_fma_f32 v16, -v11, v13, 1.0
	v_fmac_f32_e32 v12, v15, v12
	v_div_scale_f32 v14, s[0:1], v8, v0, v8
	v_fmac_f32_e32 v13, v16, v13
	v_mul_f32_e32 v15, v10, v12
	v_mul_f32_e32 v16, v14, v13
	v_fma_f32 v17, -v3, v15, v10
	v_fma_f32 v18, -v11, v16, v14
	v_fmac_f32_e32 v15, v17, v12
	v_fmac_f32_e32 v16, v18, v13
	v_fma_f32 v3, -v3, v15, v10
	v_fma_f32 v10, -v11, v16, v14
	v_div_fmas_f32 v3, v3, v12, v15
	s_mov_b64 vcc, s[0:1]
	v_div_fixup_f32 v9, v3, v1, v9
	v_div_fmas_f32 v3, v10, v13, v16
	v_div_fixup_f32 v8, v3, v0, v8
	global_store_dwordx2 v[6:7], v[8:9], off
	s_cbranch_scc1 .LBB170_14
; %bb.15:
	s_cmp_lg_u32 s2, s8
	s_cselect_b64 s[0:1], -1, 0
.LBB170_16:
	s_and_b64 vcc, exec, s[0:1]
	s_cbranch_vccz .LBB170_19
; %bb.17:
	v_ashrrev_i32_e32 v1, 31, v4
	v_add_co_u32_e32 v2, vcc, s2, v4
	v_addc_co_u32_e32 v3, vcc, 0, v1, vcc
	v_lshlrev_b64 v[2:3], 2, v[2:3]
	v_mov_b32_e32 v1, s7
	v_add_co_u32_e32 v2, vcc, s6, v2
	s_sub_i32 s0, s8, s2
	v_addc_co_u32_e32 v3, vcc, v1, v3, vcc
.LBB170_18:                             ; =>This Inner Loop Header: Depth=1
	global_load_dword v1, v[2:3], off
	s_add_i32 s0, s0, -1
	s_cmp_lg_u32 s0, 0
	s_waitcnt vmcnt(0)
	v_div_scale_f32 v4, s[2:3], v0, v0, v1
	v_rcp_f32_e32 v5, v4
	v_div_scale_f32 v6, vcc, v1, v0, v1
	v_fma_f32 v7, -v4, v5, 1.0
	v_fmac_f32_e32 v5, v7, v5
	v_mul_f32_e32 v7, v6, v5
	v_fma_f32 v8, -v4, v7, v6
	v_fmac_f32_e32 v7, v8, v5
	v_fma_f32 v4, -v4, v7, v6
	v_div_fmas_f32 v4, v4, v5, v7
	v_div_fixup_f32 v1, v4, v0, v1
	global_store_dword v[2:3], v1, off
	v_add_co_u32_e32 v2, vcc, 4, v2
	v_addc_co_u32_e32 v3, vcc, 0, v3, vcc
	s_cbranch_scc1 .LBB170_18
.LBB170_19:
	s_endpgm
	.section	.rodata,"a",@progbits
	.p2align	6, 0x0
	.amdhsa_kernel _ZN4vllm3moe10topkGatingILi2ELi2ELi4ELi4ELi64El14__hip_bfloat16LNS0_11ScoringFuncE0EEEvPKT5_PKbPfiPT4_PiiiibPKf
		.amdhsa_group_segment_fixed_size 0
		.amdhsa_private_segment_fixed_size 0
		.amdhsa_kernarg_size 72
		.amdhsa_user_sgpr_count 6
		.amdhsa_user_sgpr_private_segment_buffer 1
		.amdhsa_user_sgpr_dispatch_ptr 0
		.amdhsa_user_sgpr_queue_ptr 0
		.amdhsa_user_sgpr_kernarg_segment_ptr 1
		.amdhsa_user_sgpr_dispatch_id 0
		.amdhsa_user_sgpr_flat_scratch_init 0
		.amdhsa_user_sgpr_kernarg_preload_length 0
		.amdhsa_user_sgpr_kernarg_preload_offset 0
		.amdhsa_user_sgpr_private_segment_size 0
		.amdhsa_uses_dynamic_stack 0
		.amdhsa_system_sgpr_private_segment_wavefront_offset 0
		.amdhsa_system_sgpr_workgroup_id_x 1
		.amdhsa_system_sgpr_workgroup_id_y 0
		.amdhsa_system_sgpr_workgroup_id_z 0
		.amdhsa_system_sgpr_workgroup_info 0
		.amdhsa_system_vgpr_workitem_id 1
		.amdhsa_next_free_vgpr 19
		.amdhsa_next_free_sgpr 24
		.amdhsa_accum_offset 20
		.amdhsa_reserve_vcc 1
		.amdhsa_reserve_flat_scratch 0
		.amdhsa_float_round_mode_32 0
		.amdhsa_float_round_mode_16_64 0
		.amdhsa_float_denorm_mode_32 3
		.amdhsa_float_denorm_mode_16_64 3
		.amdhsa_dx10_clamp 1
		.amdhsa_ieee_mode 1
		.amdhsa_fp16_overflow 0
		.amdhsa_tg_split 0
		.amdhsa_exception_fp_ieee_invalid_op 0
		.amdhsa_exception_fp_denorm_src 0
		.amdhsa_exception_fp_ieee_div_zero 0
		.amdhsa_exception_fp_ieee_overflow 0
		.amdhsa_exception_fp_ieee_underflow 0
		.amdhsa_exception_fp_ieee_inexact 0
		.amdhsa_exception_int_div_zero 0
	.end_amdhsa_kernel
	.section	.text._ZN4vllm3moe10topkGatingILi2ELi2ELi4ELi4ELi64El14__hip_bfloat16LNS0_11ScoringFuncE0EEEvPKT5_PKbPfiPT4_PiiiibPKf,"axG",@progbits,_ZN4vllm3moe10topkGatingILi2ELi2ELi4ELi4ELi64El14__hip_bfloat16LNS0_11ScoringFuncE0EEEvPKT5_PKbPfiPT4_PiiiibPKf,comdat
.Lfunc_end170:
	.size	_ZN4vllm3moe10topkGatingILi2ELi2ELi4ELi4ELi64El14__hip_bfloat16LNS0_11ScoringFuncE0EEEvPKT5_PKbPfiPT4_PiiiibPKf, .Lfunc_end170-_ZN4vllm3moe10topkGatingILi2ELi2ELi4ELi4ELi64El14__hip_bfloat16LNS0_11ScoringFuncE0EEEvPKT5_PKbPfiPT4_PiiiibPKf
                                        ; -- End function
	.section	.AMDGPU.csdata,"",@progbits
; Kernel info:
; codeLenInByte = 1376
; NumSgprs: 28
; NumVgprs: 19
; NumAgprs: 0
; TotalNumVgprs: 19
; ScratchSize: 0
; MemoryBound: 1
; FloatMode: 240
; IeeeMode: 1
; LDSByteSize: 0 bytes/workgroup (compile time only)
; SGPRBlocks: 3
; VGPRBlocks: 2
; NumSGPRsForWavesPerEU: 28
; NumVGPRsForWavesPerEU: 19
; AccumOffset: 20
; Occupancy: 8
; WaveLimiterHint : 0
; COMPUTE_PGM_RSRC2:SCRATCH_EN: 0
; COMPUTE_PGM_RSRC2:USER_SGPR: 6
; COMPUTE_PGM_RSRC2:TRAP_HANDLER: 0
; COMPUTE_PGM_RSRC2:TGID_X_EN: 1
; COMPUTE_PGM_RSRC2:TGID_Y_EN: 0
; COMPUTE_PGM_RSRC2:TGID_Z_EN: 0
; COMPUTE_PGM_RSRC2:TIDIG_COMP_CNT: 1
; COMPUTE_PGM_RSRC3_GFX90A:ACCUM_OFFSET: 4
; COMPUTE_PGM_RSRC3_GFX90A:TG_SPLIT: 0
	.section	.text._ZN4vllm3moe10topkGatingILi2ELi2ELi4ELi4ELi32El14__hip_bfloat16LNS0_11ScoringFuncE0EEEvPKT5_PKbPfiPT4_PiiiibPKf,"axG",@progbits,_ZN4vllm3moe10topkGatingILi2ELi2ELi4ELi4ELi32El14__hip_bfloat16LNS0_11ScoringFuncE0EEEvPKT5_PKbPfiPT4_PiiiibPKf,comdat
	.protected	_ZN4vllm3moe10topkGatingILi2ELi2ELi4ELi4ELi32El14__hip_bfloat16LNS0_11ScoringFuncE0EEEvPKT5_PKbPfiPT4_PiiiibPKf ; -- Begin function _ZN4vllm3moe10topkGatingILi2ELi2ELi4ELi4ELi32El14__hip_bfloat16LNS0_11ScoringFuncE0EEEvPKT5_PKbPfiPT4_PiiiibPKf
	.globl	_ZN4vllm3moe10topkGatingILi2ELi2ELi4ELi4ELi32El14__hip_bfloat16LNS0_11ScoringFuncE0EEEvPKT5_PKbPfiPT4_PiiiibPKf
	.p2align	8
	.type	_ZN4vllm3moe10topkGatingILi2ELi2ELi4ELi4ELi32El14__hip_bfloat16LNS0_11ScoringFuncE0EEEvPKT5_PKbPfiPT4_PiiiibPKf,@function
_ZN4vllm3moe10topkGatingILi2ELi2ELi4ELi4ELi32El14__hip_bfloat16LNS0_11ScoringFuncE0EEEvPKT5_PKbPfiPT4_PiiiibPKf: ; @_ZN4vllm3moe10topkGatingILi2ELi2ELi4ELi4ELi32El14__hip_bfloat16LNS0_11ScoringFuncE0EEEvPKT5_PKbPfiPT4_PiiiibPKf
; %bb.0:
	s_load_dword s16, s[4:5], 0x18
	v_bfe_u32 v1, v0, 10, 10
	s_lshl_b32 s0, s6, 7
	v_lshlrev_b32_e32 v1, 5, v1
	v_and_b32_e32 v0, 0x3ff, v0
	v_add3_u32 v10, v1, v0, s0
	s_waitcnt lgkmcnt(0)
	v_cmp_gt_i32_e32 vcc, s16, v10
	s_and_saveexec_b64 s[0:1], vcc
	s_cbranch_execz .LBB171_19
; %bb.1:
	s_load_dwordx4 s[0:3], s[4:5], 0x0
	s_load_dwordx2 s[6:7], s[4:5], 0x10
	s_waitcnt lgkmcnt(0)
	s_cmp_eq_u64 s[2:3], 0
	s_cbranch_scc1 .LBB171_3
; %bb.2:
	v_ashrrev_i32_e32 v1, 31, v10
	v_mov_b32_e32 v2, s3
	v_add_co_u32_e32 v0, vcc, s2, v10
	v_addc_co_u32_e32 v1, vcc, v2, v1, vcc
	global_load_ubyte v0, v[0:1], off
	s_waitcnt vmcnt(0)
	v_and_b32_e32 v0, 1, v0
	v_cmp_eq_u32_e32 vcc, 1, v0
	s_xor_b64 s[2:3], vcc, -1
	s_orn2_b64 s[12:13], s[2:3], exec
	s_branch .LBB171_4
.LBB171_3:
	s_mov_b64 s[12:13], -1
.LBB171_4:
	v_lshlrev_b32_e32 v0, 1, v10
	v_ashrrev_i32_e32 v1, 31, v0
	v_lshlrev_b64 v[0:1], 1, v[0:1]
	v_mov_b32_e32 v2, s1
	v_add_co_u32_e32 v0, vcc, s0, v0
	v_addc_co_u32_e32 v1, vcc, v2, v1, vcc
	global_load_dword v0, v[0:1], off
	s_mov_b32 s2, 0x3fb8aa3b
	s_mov_b32 s3, 0xc2ce8ed0
	s_mov_b32 s8, 0x42b17218
	s_load_dwordx2 s[0:1], s[4:5], 0x40
	s_mov_b32 s9, 0x7f800000
	s_waitcnt lgkmcnt(0)
	s_cmp_eq_u64 s[0:1], 0
	s_waitcnt vmcnt(0)
	v_and_b32_e32 v1, 0xffff0000, v0
	v_lshlrev_b32_e32 v0, 16, v0
	v_max_f32_e32 v2, v1, v1
	v_max_f32_e32 v3, v0, v0
	;; [unrolled: 1-line block ×3, first 2 shown]
	v_pk_add_f32 v[0:1], v[0:1], v[2:3] op_sel_hi:[1,0] neg_lo:[0,1] neg_hi:[0,1]
	v_mul_f32_e32 v2, 0x3fb8aa3b, v1
	v_mul_f32_e32 v3, 0x3fb8aa3b, v0
	v_fma_f32 v4, v1, s2, -v2
	v_rndne_f32_e32 v5, v2
	v_fma_f32 v6, v0, s2, -v3
	v_rndne_f32_e32 v7, v3
	v_fmac_f32_e32 v4, 0x32a5705f, v1
	v_sub_f32_e32 v2, v2, v5
	v_fmac_f32_e32 v6, 0x32a5705f, v0
	v_sub_f32_e32 v3, v3, v7
	v_add_f32_e32 v2, v2, v4
	v_cvt_i32_f32_e32 v5, v5
	v_add_f32_e32 v3, v3, v6
	v_exp_f32_e32 v2, v2
	v_cvt_i32_f32_e32 v7, v7
	v_exp_f32_e32 v3, v3
	v_cmp_ngt_f32_e32 vcc, s3, v1
	v_ldexp_f32 v2, v2, v5
	v_cndmask_b32_e32 v2, 0, v2, vcc
	v_ldexp_f32 v3, v3, v7
	v_cmp_ngt_f32_e32 vcc, s3, v0
	v_mov_b32_e32 v4, 0x7f800000
	v_cndmask_b32_e32 v3, 0, v3, vcc
	v_cmp_nlt_f32_e32 vcc, s8, v1
	v_cndmask_b32_e32 v1, v4, v2, vcc
	v_cmp_nlt_f32_e32 vcc, s8, v0
	v_cndmask_b32_e32 v0, v4, v3, vcc
	v_add_f32_e32 v2, v0, v1
	v_div_scale_f32 v3, s[2:3], v2, v2, 1.0
	v_rcp_f32_e32 v4, v3
	v_div_scale_f32 v5, vcc, 1.0, v2, 1.0
	s_movk_i32 s2, 0x1f8
	v_fma_f32 v6, -v3, v4, 1.0
	v_fmac_f32_e32 v4, v6, v4
	v_mul_f32_e32 v6, v5, v4
	v_fma_f32 v7, -v3, v6, v5
	v_fmac_f32_e32 v6, v7, v4
	v_fma_f32 v3, -v3, v6, v5
	v_div_fmas_f32 v3, v3, v4, v6
	v_div_fixup_f32 v2, v3, v2, 1.0
	v_pk_mul_f32 v[0:1], v[2:3], v[0:1] op_sel_hi:[0,1]
	v_cmp_nlg_f32_e64 vcc, |v0|, s9
	v_cndmask_b32_e32 v1, v1, v1, vcc
	v_cndmask_b32_e64 v0, v0, 0, vcc
	v_cmp_class_f32_e64 vcc, v1, s2
	v_cndmask_b32_e32 v1, 0, v1, vcc
	v_pk_mov_b32 v[2:3], v[0:1], v[0:1] op_sel:[0,1]
	s_cbranch_scc1 .LBB171_6
; %bb.5:
	s_load_dwordx2 s[0:1], s[0:1], 0x0
	s_waitcnt lgkmcnt(0)
	v_pk_add_f32 v[2:3], v[0:1], s[0:1]
.LBB171_6:
	s_load_dwordx4 s[8:11], s[4:5], 0x30
	s_waitcnt lgkmcnt(0)
	s_bitcmp1_b32 s11, 0
	s_cselect_b64 vcc, -1, 0
	s_cmp_gt_i32 s8, 0
	s_cselect_b64 s[14:15], -1, 0
	s_cmp_lt_i32 s8, 1
	s_cbranch_scc1 .LBB171_10
; %bb.7:
	s_load_dwordx4 s[20:23], s[4:5], 0x20
	v_mul_lo_u32 v6, v10, s8
	v_ashrrev_i32_e32 v7, 31, v6
	v_lshlrev_b64 v[8:9], 2, v[6:7]
	v_mov_b32_e32 v5, s7
	v_add_co_u32_e64 v4, s[0:1], s6, v8
	v_addc_co_u32_e64 v5, s[0:1], v5, v9, s[0:1]
	v_lshlrev_b64 v[6:7], 3, v[6:7]
	s_waitcnt lgkmcnt(0)
	v_mov_b32_e32 v11, s21
	v_add_co_u32_e64 v6, s[0:1], s20, v6
	v_addc_co_u32_e64 v7, s[0:1], v11, v7, s[0:1]
	v_mov_b32_e32 v11, s23
	v_add_co_u32_e64 v8, s[0:1], s22, v8
	v_addc_co_u32_e64 v9, s[0:1], v11, v9, s[0:1]
	s_mov_b32 s11, 0
	v_mov_b32_e32 v11, 0
	v_mov_b32_e32 v12, 0xc61c4000
	;; [unrolled: 1-line block ×3, first 2 shown]
.LBB171_8:                              ; =>This Inner Loop Header: Depth=1
	v_cmp_gt_f32_e64 s[0:1], v3, v2
	v_cndmask_b32_e64 v14, 0, 1, s[0:1]
	v_cmp_le_i32_e64 s[2:3], s9, v14
	v_cmp_gt_i32_e64 s[4:5], s10, v14
	s_and_b64 s[2:3], s[2:3], s[4:5]
	v_subrev_u32_e32 v14, s9, v14
	v_ashrrev_i32_e32 v15, 31, v14
	s_and_b64 s[2:3], s[12:13], s[2:3]
	v_cndmask_b32_e64 v16, v0, v1, s[0:1]
	v_cndmask_b32_e64 v15, 0, v15, s[2:3]
	;; [unrolled: 1-line block ×3, first 2 shown]
	s_add_i32 s11, s11, 1
	global_store_dword v[4:5], v16, off
	global_store_dwordx2 v[6:7], v[14:15], off
	global_store_dword v[8:9], v13, off
	v_add_f32_e32 v14, v11, v16
	s_cmp_lt_i32 s11, s8
	v_cndmask_b32_e32 v11, v11, v14, vcc
	v_cndmask_b32_e64 v14, v12, v2, s[0:1]
	v_cndmask_b32_e64 v15, v3, v12, s[0:1]
	s_cselect_b64 s[0:1], -1, 0
	v_cndmask_b32_e64 v3, v3, v15, s[0:1]
	v_cndmask_b32_e64 v2, v2, v14, s[0:1]
	v_add_co_u32_e64 v4, s[0:1], 4, v4
	v_addc_co_u32_e64 v5, s[0:1], 0, v5, s[0:1]
	v_add_co_u32_e64 v6, s[0:1], 8, v6
	v_addc_co_u32_e64 v7, s[0:1], 0, v7, s[0:1]
	v_add_co_u32_e64 v8, s[0:1], 4, v8
	v_add_u32_e32 v13, s16, v13
	s_cmp_eq_u32 s8, s11
	v_addc_co_u32_e64 v9, s[0:1], 0, v9, s[0:1]
	s_cbranch_scc0 .LBB171_8
; %bb.9:
	s_and_b64 vcc, exec, vcc
	s_cbranch_vccnz .LBB171_11
	s_branch .LBB171_19
.LBB171_10:
	v_mov_b32_e32 v11, 0
	s_and_b64 vcc, exec, vcc
	s_cbranch_vccz .LBB171_19
.LBB171_11:
	s_andn2_b64 vcc, exec, s[14:15]
	s_cbranch_vccnz .LBB171_19
; %bb.12:
	v_cmp_lt_f32_e32 vcc, 0, v11
	s_mov_b32 s2, 0
	v_cndmask_b32_e32 v0, 1.0, v11, vcc
	v_mul_lo_u32 v4, v10, s8
	s_cmp_eq_u32 s8, 1
	s_mov_b64 s[0:1], -1
	s_cbranch_scc1 .LBB171_16
; %bb.13:
	s_and_b32 s2, s8, 0x7ffffffe
	v_mov_b32_e32 v1, v0
	v_mov_b32_e32 v5, s7
	s_mov_b32 s3, s2
	v_mov_b32_e32 v2, v4
.LBB171_14:                             ; =>This Inner Loop Header: Depth=1
	v_ashrrev_i32_e32 v3, 31, v2
	v_lshlrev_b64 v[6:7], 2, v[2:3]
	v_add_co_u32_e32 v6, vcc, s6, v6
	v_addc_co_u32_e32 v7, vcc, v5, v7, vcc
	global_load_dwordx2 v[8:9], v[6:7], off
	s_add_i32 s3, s3, -2
	s_cmp_lg_u32 s3, 0
	v_add_u32_e32 v2, 2, v2
	s_waitcnt vmcnt(0)
	v_div_scale_f32 v3, s[0:1], v1, v1, v9
	v_div_scale_f32 v11, s[0:1], v0, v0, v8
	v_rcp_f32_e32 v12, v3
	v_rcp_f32_e32 v13, v11
	v_div_scale_f32 v10, vcc, v9, v1, v9
	v_fma_f32 v15, -v3, v12, 1.0
	v_fma_f32 v16, -v11, v13, 1.0
	v_fmac_f32_e32 v12, v15, v12
	v_div_scale_f32 v14, s[0:1], v8, v0, v8
	v_fmac_f32_e32 v13, v16, v13
	v_mul_f32_e32 v15, v10, v12
	v_mul_f32_e32 v16, v14, v13
	v_fma_f32 v17, -v3, v15, v10
	v_fma_f32 v18, -v11, v16, v14
	v_fmac_f32_e32 v15, v17, v12
	v_fmac_f32_e32 v16, v18, v13
	v_fma_f32 v3, -v3, v15, v10
	v_fma_f32 v10, -v11, v16, v14
	v_div_fmas_f32 v3, v3, v12, v15
	s_mov_b64 vcc, s[0:1]
	v_div_fixup_f32 v9, v3, v1, v9
	v_div_fmas_f32 v3, v10, v13, v16
	v_div_fixup_f32 v8, v3, v0, v8
	global_store_dwordx2 v[6:7], v[8:9], off
	s_cbranch_scc1 .LBB171_14
; %bb.15:
	s_cmp_lg_u32 s2, s8
	s_cselect_b64 s[0:1], -1, 0
.LBB171_16:
	s_and_b64 vcc, exec, s[0:1]
	s_cbranch_vccz .LBB171_19
; %bb.17:
	v_ashrrev_i32_e32 v1, 31, v4
	v_add_co_u32_e32 v2, vcc, s2, v4
	v_addc_co_u32_e32 v3, vcc, 0, v1, vcc
	v_lshlrev_b64 v[2:3], 2, v[2:3]
	v_mov_b32_e32 v1, s7
	v_add_co_u32_e32 v2, vcc, s6, v2
	s_sub_i32 s0, s8, s2
	v_addc_co_u32_e32 v3, vcc, v1, v3, vcc
.LBB171_18:                             ; =>This Inner Loop Header: Depth=1
	global_load_dword v1, v[2:3], off
	s_add_i32 s0, s0, -1
	s_cmp_lg_u32 s0, 0
	s_waitcnt vmcnt(0)
	v_div_scale_f32 v4, s[2:3], v0, v0, v1
	v_rcp_f32_e32 v5, v4
	v_div_scale_f32 v6, vcc, v1, v0, v1
	v_fma_f32 v7, -v4, v5, 1.0
	v_fmac_f32_e32 v5, v7, v5
	v_mul_f32_e32 v7, v6, v5
	v_fma_f32 v8, -v4, v7, v6
	v_fmac_f32_e32 v7, v8, v5
	v_fma_f32 v4, -v4, v7, v6
	v_div_fmas_f32 v4, v4, v5, v7
	v_div_fixup_f32 v1, v4, v0, v1
	global_store_dword v[2:3], v1, off
	v_add_co_u32_e32 v2, vcc, 4, v2
	v_addc_co_u32_e32 v3, vcc, 0, v3, vcc
	s_cbranch_scc1 .LBB171_18
.LBB171_19:
	s_endpgm
	.section	.rodata,"a",@progbits
	.p2align	6, 0x0
	.amdhsa_kernel _ZN4vllm3moe10topkGatingILi2ELi2ELi4ELi4ELi32El14__hip_bfloat16LNS0_11ScoringFuncE0EEEvPKT5_PKbPfiPT4_PiiiibPKf
		.amdhsa_group_segment_fixed_size 0
		.amdhsa_private_segment_fixed_size 0
		.amdhsa_kernarg_size 72
		.amdhsa_user_sgpr_count 6
		.amdhsa_user_sgpr_private_segment_buffer 1
		.amdhsa_user_sgpr_dispatch_ptr 0
		.amdhsa_user_sgpr_queue_ptr 0
		.amdhsa_user_sgpr_kernarg_segment_ptr 1
		.amdhsa_user_sgpr_dispatch_id 0
		.amdhsa_user_sgpr_flat_scratch_init 0
		.amdhsa_user_sgpr_kernarg_preload_length 0
		.amdhsa_user_sgpr_kernarg_preload_offset 0
		.amdhsa_user_sgpr_private_segment_size 0
		.amdhsa_uses_dynamic_stack 0
		.amdhsa_system_sgpr_private_segment_wavefront_offset 0
		.amdhsa_system_sgpr_workgroup_id_x 1
		.amdhsa_system_sgpr_workgroup_id_y 0
		.amdhsa_system_sgpr_workgroup_id_z 0
		.amdhsa_system_sgpr_workgroup_info 0
		.amdhsa_system_vgpr_workitem_id 1
		.amdhsa_next_free_vgpr 19
		.amdhsa_next_free_sgpr 24
		.amdhsa_accum_offset 20
		.amdhsa_reserve_vcc 1
		.amdhsa_reserve_flat_scratch 0
		.amdhsa_float_round_mode_32 0
		.amdhsa_float_round_mode_16_64 0
		.amdhsa_float_denorm_mode_32 3
		.amdhsa_float_denorm_mode_16_64 3
		.amdhsa_dx10_clamp 1
		.amdhsa_ieee_mode 1
		.amdhsa_fp16_overflow 0
		.amdhsa_tg_split 0
		.amdhsa_exception_fp_ieee_invalid_op 0
		.amdhsa_exception_fp_denorm_src 0
		.amdhsa_exception_fp_ieee_div_zero 0
		.amdhsa_exception_fp_ieee_overflow 0
		.amdhsa_exception_fp_ieee_underflow 0
		.amdhsa_exception_fp_ieee_inexact 0
		.amdhsa_exception_int_div_zero 0
	.end_amdhsa_kernel
	.section	.text._ZN4vllm3moe10topkGatingILi2ELi2ELi4ELi4ELi32El14__hip_bfloat16LNS0_11ScoringFuncE0EEEvPKT5_PKbPfiPT4_PiiiibPKf,"axG",@progbits,_ZN4vllm3moe10topkGatingILi2ELi2ELi4ELi4ELi32El14__hip_bfloat16LNS0_11ScoringFuncE0EEEvPKT5_PKbPfiPT4_PiiiibPKf,comdat
.Lfunc_end171:
	.size	_ZN4vllm3moe10topkGatingILi2ELi2ELi4ELi4ELi32El14__hip_bfloat16LNS0_11ScoringFuncE0EEEvPKT5_PKbPfiPT4_PiiiibPKf, .Lfunc_end171-_ZN4vllm3moe10topkGatingILi2ELi2ELi4ELi4ELi32El14__hip_bfloat16LNS0_11ScoringFuncE0EEEvPKT5_PKbPfiPT4_PiiiibPKf
                                        ; -- End function
	.section	.AMDGPU.csdata,"",@progbits
; Kernel info:
; codeLenInByte = 1376
; NumSgprs: 28
; NumVgprs: 19
; NumAgprs: 0
; TotalNumVgprs: 19
; ScratchSize: 0
; MemoryBound: 1
; FloatMode: 240
; IeeeMode: 1
; LDSByteSize: 0 bytes/workgroup (compile time only)
; SGPRBlocks: 3
; VGPRBlocks: 2
; NumSGPRsForWavesPerEU: 28
; NumVGPRsForWavesPerEU: 19
; AccumOffset: 20
; Occupancy: 8
; WaveLimiterHint : 0
; COMPUTE_PGM_RSRC2:SCRATCH_EN: 0
; COMPUTE_PGM_RSRC2:USER_SGPR: 6
; COMPUTE_PGM_RSRC2:TRAP_HANDLER: 0
; COMPUTE_PGM_RSRC2:TGID_X_EN: 1
; COMPUTE_PGM_RSRC2:TGID_Y_EN: 0
; COMPUTE_PGM_RSRC2:TGID_Z_EN: 0
; COMPUTE_PGM_RSRC2:TIDIG_COMP_CNT: 1
; COMPUTE_PGM_RSRC3_GFX90A:ACCUM_OFFSET: 4
; COMPUTE_PGM_RSRC3_GFX90A:TG_SPLIT: 0
	.section	.text._ZN4vllm3moe10topkGatingILi4ELi4ELi4ELi8ELi64El14__hip_bfloat16LNS0_11ScoringFuncE0EEEvPKT5_PKbPfiPT4_PiiiibPKf,"axG",@progbits,_ZN4vllm3moe10topkGatingILi4ELi4ELi4ELi8ELi64El14__hip_bfloat16LNS0_11ScoringFuncE0EEEvPKT5_PKbPfiPT4_PiiiibPKf,comdat
	.protected	_ZN4vllm3moe10topkGatingILi4ELi4ELi4ELi8ELi64El14__hip_bfloat16LNS0_11ScoringFuncE0EEEvPKT5_PKbPfiPT4_PiiiibPKf ; -- Begin function _ZN4vllm3moe10topkGatingILi4ELi4ELi4ELi8ELi64El14__hip_bfloat16LNS0_11ScoringFuncE0EEEvPKT5_PKbPfiPT4_PiiiibPKf
	.globl	_ZN4vllm3moe10topkGatingILi4ELi4ELi4ELi8ELi64El14__hip_bfloat16LNS0_11ScoringFuncE0EEEvPKT5_PKbPfiPT4_PiiiibPKf
	.p2align	8
	.type	_ZN4vllm3moe10topkGatingILi4ELi4ELi4ELi8ELi64El14__hip_bfloat16LNS0_11ScoringFuncE0EEEvPKT5_PKbPfiPT4_PiiiibPKf,@function
_ZN4vllm3moe10topkGatingILi4ELi4ELi4ELi8ELi64El14__hip_bfloat16LNS0_11ScoringFuncE0EEEvPKT5_PKbPfiPT4_PiiiibPKf: ; @_ZN4vllm3moe10topkGatingILi4ELi4ELi4ELi8ELi64El14__hip_bfloat16LNS0_11ScoringFuncE0EEEvPKT5_PKbPfiPT4_PiiiibPKf
; %bb.0:
	s_load_dword s16, s[4:5], 0x18
	v_bfe_u32 v1, v0, 10, 10
	s_lshl_b32 s0, s6, 8
	v_lshlrev_b32_e32 v1, 6, v1
	v_and_b32_e32 v0, 0x3ff, v0
	v_add3_u32 v14, v1, v0, s0
	s_waitcnt lgkmcnt(0)
	v_cmp_gt_i32_e32 vcc, s16, v14
	s_and_saveexec_b64 s[0:1], vcc
	s_cbranch_execz .LBB172_20
; %bb.1:
	s_load_dwordx4 s[0:3], s[4:5], 0x0
	s_load_dwordx2 s[6:7], s[4:5], 0x10
	s_mov_b64 s[8:9], -1
	s_mov_b64 s[12:13], -1
	s_waitcnt lgkmcnt(0)
	s_cmp_eq_u64 s[2:3], 0
	s_cbranch_scc1 .LBB172_3
; %bb.2:
	v_ashrrev_i32_e32 v1, 31, v14
	v_mov_b32_e32 v2, s3
	v_add_co_u32_e32 v0, vcc, s2, v14
	v_addc_co_u32_e32 v1, vcc, v2, v1, vcc
	global_load_ubyte v0, v[0:1], off
	s_waitcnt vmcnt(0)
	v_and_b32_e32 v0, 1, v0
	v_cmp_eq_u32_e32 vcc, 1, v0
	s_xor_b64 s[2:3], vcc, -1
	s_orn2_b64 s[12:13], s[2:3], exec
.LBB172_3:
	v_lshlrev_b32_e32 v0, 2, v14
	v_ashrrev_i32_e32 v1, 31, v0
	v_lshlrev_b64 v[0:1], 1, v[0:1]
	v_mov_b32_e32 v2, s1
	v_add_co_u32_e32 v0, vcc, s0, v0
	v_addc_co_u32_e32 v1, vcc, v2, v1, vcc
	global_load_dwordx2 v[0:1], v[0:1], off
	v_mov_b32_e32 v5, 0x7f800000
	s_mov_b32 s2, 0x3fb8aa3b
	s_mov_b32 s3, 0xc2ce8ed0
	;; [unrolled: 1-line block ×3, first 2 shown]
	s_load_dwordx2 s[0:1], s[4:5], 0x40
	v_mov_b32_e32 v6, 0x207
	s_waitcnt lgkmcnt(0)
	s_cmp_eq_u64 s[0:1], 0
	s_waitcnt vmcnt(0)
	v_lshlrev_b32_e32 v2, 16, v0
	v_and_b32_e32 v3, 0xffff0000, v0
	v_alignbit_b32 v0, v1, v0, 16
	v_max_f32_e32 v4, v3, v3
	v_max_f32_e32 v7, v2, v2
	v_and_b32_e32 v1, 0xffff0000, v1
	v_and_b32_e32 v0, 0xffff0000, v0
	v_max_f32_e32 v4, v7, v4
	v_max3_f32 v4, v4, v0, v1
	v_pk_add_f32 v[2:3], v[2:3], v[4:5] op_sel_hi:[1,0] neg_lo:[0,1] neg_hi:[0,1]
	v_pk_add_f32 v[0:1], v[0:1], v[4:5] op_sel_hi:[1,0] neg_lo:[0,1] neg_hi:[0,1]
	v_mul_f32_e32 v4, 0x3fb8aa3b, v3
	v_mul_f32_e32 v7, 0x3fb8aa3b, v2
	v_fma_f32 v10, v3, s2, -v4
	v_rndne_f32_e32 v11, v4
	v_mul_f32_e32 v8, 0x3fb8aa3b, v1
	v_fma_f32 v12, v2, s2, -v7
	v_rndne_f32_e32 v13, v7
	v_fmac_f32_e32 v10, 0x32a5705f, v3
	v_sub_f32_e32 v4, v4, v11
	v_mul_f32_e32 v9, 0x3fb8aa3b, v0
	v_fma_f32 v15, v1, s2, -v8
	v_rndne_f32_e32 v16, v8
	v_fmac_f32_e32 v12, 0x32a5705f, v2
	v_sub_f32_e32 v7, v7, v13
	v_add_f32_e32 v4, v4, v10
	v_fma_f32 v17, v0, s2, -v9
	v_rndne_f32_e32 v18, v9
	v_cvt_i32_f32_e32 v11, v11
	v_fmac_f32_e32 v15, 0x32a5705f, v1
	v_sub_f32_e32 v8, v8, v16
	v_add_f32_e32 v7, v7, v12
	v_exp_f32_e32 v4, v4
	v_cvt_i32_f32_e32 v13, v13
	v_fmac_f32_e32 v17, 0x32a5705f, v0
	v_sub_f32_e32 v9, v9, v18
	v_add_f32_e32 v8, v8, v15
	v_exp_f32_e32 v7, v7
	v_cvt_i32_f32_e32 v16, v16
	v_add_f32_e32 v9, v9, v17
	v_exp_f32_e32 v8, v8
	v_cvt_i32_f32_e32 v18, v18
	v_exp_f32_e32 v9, v9
	v_ldexp_f32 v4, v4, v11
	v_cmp_ngt_f32_e32 vcc, s3, v3
	v_ldexp_f32 v7, v7, v13
	v_cndmask_b32_e32 v4, 0, v4, vcc
	v_cmp_ngt_f32_e32 vcc, s3, v2
	v_ldexp_f32 v8, v8, v16
	v_cndmask_b32_e32 v7, 0, v7, vcc
	;; [unrolled: 3-line block ×3, first 2 shown]
	v_cmp_ngt_f32_e32 vcc, s3, v0
	v_cndmask_b32_e32 v9, 0, v9, vcc
	v_cmp_nlt_f32_e32 vcc, s10, v3
	v_cndmask_b32_e32 v3, v5, v4, vcc
	v_cmp_nlt_f32_e32 vcc, s10, v2
	;; [unrolled: 2-line block ×4, first 2 shown]
	v_cndmask_b32_e32 v0, v5, v9, vcc
	v_add_f32_e32 v4, v2, v3
	v_add_f32_e32 v4, v4, v0
	;; [unrolled: 1-line block ×3, first 2 shown]
	v_div_scale_f32 v5, s[2:3], v4, v4, 1.0
	v_rcp_f32_e32 v7, v5
	v_div_scale_f32 v8, vcc, 1.0, v4, 1.0
	v_fma_f32 v9, -v5, v7, 1.0
	v_fmac_f32_e32 v7, v9, v7
	v_mul_f32_e32 v9, v8, v7
	v_fma_f32 v10, -v5, v9, v8
	v_fmac_f32_e32 v9, v10, v7
	v_fma_f32 v5, -v5, v9, v8
	v_div_fmas_f32 v5, v5, v7, v9
	v_div_fixup_f32 v4, v5, v4, 1.0
	v_pk_mul_f32 v[2:3], v[4:5], v[2:3] op_sel_hi:[0,1]
	v_cmp_class_f32_e32 vcc, v3, v6
	v_pk_mul_f32 v[4:5], v[4:5], v[0:1] op_sel_hi:[0,1]
	v_cndmask_b32_e64 v1, v3, 0, vcc
	v_cmp_class_f32_e32 vcc, v2, v6
	v_cndmask_b32_e64 v0, v2, 0, vcc
	v_cmp_class_f32_e32 vcc, v5, v6
	;; [unrolled: 2-line block ×3, first 2 shown]
	v_cndmask_b32_e64 v2, v4, 0, vcc
	s_cbranch_scc1 .LBB172_10
; %bb.4:
	s_load_dwordx4 s[0:3], s[0:1], 0x0
	s_waitcnt lgkmcnt(0)
	v_pk_add_f32 v[4:5], s[0:1], v[0:1]
	v_pk_add_f32 v[6:7], s[2:3], v[2:3]
	s_cbranch_execnz .LBB172_6
.LBB172_5:
	v_pk_mov_b32 v[6:7], v[2:3], v[2:3] op_sel:[0,1]
	v_pk_mov_b32 v[4:5], v[0:1], v[0:1] op_sel:[0,1]
.LBB172_6:
	s_load_dwordx4 s[8:11], s[4:5], 0x30
	s_waitcnt lgkmcnt(0)
	s_bitcmp1_b32 s11, 0
	s_cselect_b64 vcc, -1, 0
	s_cmp_gt_i32 s8, 0
	s_cselect_b64 s[14:15], -1, 0
	s_cmp_lt_i32 s8, 1
	s_mov_b32 s11, 0
	s_cbranch_scc1 .LBB172_11
; %bb.7:
	s_load_dwordx4 s[20:23], s[4:5], 0x20
	v_mul_lo_u32 v10, v14, s8
	v_ashrrev_i32_e32 v11, 31, v10
	v_lshlrev_b64 v[12:13], 2, v[10:11]
	v_mov_b32_e32 v9, s7
	v_add_co_u32_e64 v8, s[0:1], s6, v12
	v_addc_co_u32_e64 v9, s[0:1], v9, v13, s[0:1]
	v_lshlrev_b64 v[10:11], 3, v[10:11]
	s_waitcnt lgkmcnt(0)
	v_mov_b32_e32 v15, s21
	v_add_co_u32_e64 v10, s[0:1], s20, v10
	v_addc_co_u32_e64 v11, s[0:1], v15, v11, s[0:1]
	v_mov_b32_e32 v15, s23
	v_add_co_u32_e64 v12, s[0:1], s22, v12
	v_addc_co_u32_e64 v13, s[0:1], v15, v13, s[0:1]
	v_mov_b32_e32 v15, 0
	v_mov_b32_e32 v16, 0xc61c4000
	;; [unrolled: 1-line block ×3, first 2 shown]
.LBB172_8:                              ; =>This Inner Loop Header: Depth=1
	v_cmp_gt_f32_e64 s[0:1], v5, v4
	v_cndmask_b32_e64 v18, v4, v5, s[0:1]
	v_cndmask_b32_e64 v19, v0, v1, s[0:1]
	v_cndmask_b32_e64 v20, 0, 1, s[0:1]
	v_cmp_gt_f32_e64 s[0:1], v6, v18
	v_cndmask_b32_e64 v18, v18, v6, s[0:1]
	v_cndmask_b32_e64 v19, v19, v2, s[0:1]
	v_cndmask_b32_e64 v20, v20, 2, s[0:1]
	v_cmp_gt_f32_e64 s[0:1], v7, v18
	v_cndmask_b32_e64 v20, v20, 3, s[0:1]
	v_cndmask_b32_e64 v21, v19, v3, s[0:1]
	v_cmp_le_i32_e64 s[0:1], s9, v20
	v_cmp_gt_i32_e64 s[2:3], s10, v20
	s_and_b64 s[0:1], s[0:1], s[2:3]
	v_subrev_u32_e32 v18, s9, v20
	v_ashrrev_i32_e32 v19, 31, v18
	s_and_b64 s[0:1], s[12:13], s[0:1]
	v_cndmask_b32_e64 v19, 0, v19, s[0:1]
	v_cndmask_b32_e64 v18, 4, v18, s[0:1]
	global_store_dword v[8:9], v21, off
	global_store_dwordx2 v[10:11], v[18:19], off
	global_store_dword v[12:13], v17, off
	v_add_f32_e32 v18, v15, v21
	v_cmp_ne_u32_e64 s[0:1], 0, v20
	v_cndmask_b32_e32 v15, v15, v18, vcc
	v_cndmask_b32_e64 v18, v16, v4, s[0:1]
	v_cmp_ne_u32_e64 s[0:1], 1, v20
	s_add_i32 s11, s11, 1
	v_cndmask_b32_e64 v19, v16, v5, s[0:1]
	v_cmp_ne_u32_e64 s[0:1], 2, v20
	s_cmp_lt_i32 s11, s8
	v_cndmask_b32_e64 v21, v16, v6, s[0:1]
	v_cmp_ne_u32_e64 s[0:1], 3, v20
	v_cndmask_b32_e64 v20, v16, v7, s[0:1]
	s_cselect_b64 s[0:1], -1, 0
	v_cndmask_b32_e64 v7, v7, v20, s[0:1]
	v_cndmask_b32_e64 v6, v6, v21, s[0:1]
	;; [unrolled: 1-line block ×4, first 2 shown]
	v_add_co_u32_e64 v8, s[0:1], 4, v8
	v_addc_co_u32_e64 v9, s[0:1], 0, v9, s[0:1]
	v_add_co_u32_e64 v10, s[0:1], 8, v10
	v_addc_co_u32_e64 v11, s[0:1], 0, v11, s[0:1]
	v_add_co_u32_e64 v12, s[0:1], 4, v12
	v_add_u32_e32 v17, s16, v17
	s_cmp_eq_u32 s8, s11
	v_addc_co_u32_e64 v13, s[0:1], 0, v13, s[0:1]
	s_cbranch_scc0 .LBB172_8
; %bb.9:
	s_and_b64 vcc, exec, vcc
	s_cbranch_vccnz .LBB172_12
	s_branch .LBB172_20
.LBB172_10:
                                        ; implicit-def: $vgpr4_vgpr5_vgpr6_vgpr7
	s_andn2_b64 vcc, exec, s[8:9]
	s_cbranch_vccz .LBB172_5
	s_branch .LBB172_6
.LBB172_11:
	v_mov_b32_e32 v15, 0
	s_and_b64 vcc, exec, vcc
	s_cbranch_vccz .LBB172_20
.LBB172_12:
	s_andn2_b64 vcc, exec, s[14:15]
	s_cbranch_vccnz .LBB172_20
; %bb.13:
	v_cmp_lt_f32_e32 vcc, 0, v15
	s_mov_b32 s2, 0
	v_cndmask_b32_e32 v0, 1.0, v15, vcc
	v_mul_lo_u32 v4, v14, s8
	s_cmp_eq_u32 s8, 1
	s_mov_b64 s[0:1], -1
	s_cbranch_scc1 .LBB172_17
; %bb.14:
	s_and_b32 s2, s8, 0x7ffffffe
	v_mov_b32_e32 v1, v0
	v_mov_b32_e32 v5, s7
	s_mov_b32 s3, s2
	v_mov_b32_e32 v2, v4
.LBB172_15:                             ; =>This Inner Loop Header: Depth=1
	v_ashrrev_i32_e32 v3, 31, v2
	v_lshlrev_b64 v[6:7], 2, v[2:3]
	v_add_co_u32_e32 v6, vcc, s6, v6
	v_addc_co_u32_e32 v7, vcc, v5, v7, vcc
	global_load_dwordx2 v[8:9], v[6:7], off
	s_add_i32 s3, s3, -2
	s_cmp_lg_u32 s3, 0
	v_add_u32_e32 v2, 2, v2
	s_waitcnt vmcnt(0)
	v_div_scale_f32 v3, s[0:1], v1, v1, v9
	v_div_scale_f32 v11, s[0:1], v0, v0, v8
	v_rcp_f32_e32 v12, v3
	v_rcp_f32_e32 v13, v11
	v_div_scale_f32 v10, vcc, v9, v1, v9
	v_fma_f32 v15, -v3, v12, 1.0
	v_fma_f32 v16, -v11, v13, 1.0
	v_fmac_f32_e32 v12, v15, v12
	v_div_scale_f32 v14, s[0:1], v8, v0, v8
	v_fmac_f32_e32 v13, v16, v13
	v_mul_f32_e32 v15, v10, v12
	v_mul_f32_e32 v16, v14, v13
	v_fma_f32 v17, -v3, v15, v10
	v_fma_f32 v18, -v11, v16, v14
	v_fmac_f32_e32 v15, v17, v12
	v_fmac_f32_e32 v16, v18, v13
	v_fma_f32 v3, -v3, v15, v10
	v_fma_f32 v10, -v11, v16, v14
	v_div_fmas_f32 v3, v3, v12, v15
	s_mov_b64 vcc, s[0:1]
	v_div_fixup_f32 v9, v3, v1, v9
	v_div_fmas_f32 v3, v10, v13, v16
	v_div_fixup_f32 v8, v3, v0, v8
	global_store_dwordx2 v[6:7], v[8:9], off
	s_cbranch_scc1 .LBB172_15
; %bb.16:
	s_cmp_lg_u32 s2, s8
	s_cselect_b64 s[0:1], -1, 0
.LBB172_17:
	s_and_b64 vcc, exec, s[0:1]
	s_cbranch_vccz .LBB172_20
; %bb.18:
	v_ashrrev_i32_e32 v1, 31, v4
	v_add_co_u32_e32 v2, vcc, s2, v4
	v_addc_co_u32_e32 v3, vcc, 0, v1, vcc
	v_lshlrev_b64 v[2:3], 2, v[2:3]
	v_mov_b32_e32 v1, s7
	v_add_co_u32_e32 v2, vcc, s6, v2
	s_sub_i32 s0, s8, s2
	v_addc_co_u32_e32 v3, vcc, v1, v3, vcc
.LBB172_19:                             ; =>This Inner Loop Header: Depth=1
	global_load_dword v1, v[2:3], off
	s_add_i32 s0, s0, -1
	s_cmp_lg_u32 s0, 0
	s_waitcnt vmcnt(0)
	v_div_scale_f32 v4, s[2:3], v0, v0, v1
	v_rcp_f32_e32 v5, v4
	v_div_scale_f32 v6, vcc, v1, v0, v1
	v_fma_f32 v7, -v4, v5, 1.0
	v_fmac_f32_e32 v5, v7, v5
	v_mul_f32_e32 v7, v6, v5
	v_fma_f32 v8, -v4, v7, v6
	v_fmac_f32_e32 v7, v8, v5
	v_fma_f32 v4, -v4, v7, v6
	v_div_fmas_f32 v4, v4, v5, v7
	v_div_fixup_f32 v1, v4, v0, v1
	global_store_dword v[2:3], v1, off
	v_add_co_u32_e32 v2, vcc, 4, v2
	v_addc_co_u32_e32 v3, vcc, 0, v3, vcc
	s_cbranch_scc1 .LBB172_19
.LBB172_20:
	s_endpgm
	.section	.rodata,"a",@progbits
	.p2align	6, 0x0
	.amdhsa_kernel _ZN4vllm3moe10topkGatingILi4ELi4ELi4ELi8ELi64El14__hip_bfloat16LNS0_11ScoringFuncE0EEEvPKT5_PKbPfiPT4_PiiiibPKf
		.amdhsa_group_segment_fixed_size 0
		.amdhsa_private_segment_fixed_size 0
		.amdhsa_kernarg_size 72
		.amdhsa_user_sgpr_count 6
		.amdhsa_user_sgpr_private_segment_buffer 1
		.amdhsa_user_sgpr_dispatch_ptr 0
		.amdhsa_user_sgpr_queue_ptr 0
		.amdhsa_user_sgpr_kernarg_segment_ptr 1
		.amdhsa_user_sgpr_dispatch_id 0
		.amdhsa_user_sgpr_flat_scratch_init 0
		.amdhsa_user_sgpr_kernarg_preload_length 0
		.amdhsa_user_sgpr_kernarg_preload_offset 0
		.amdhsa_user_sgpr_private_segment_size 0
		.amdhsa_uses_dynamic_stack 0
		.amdhsa_system_sgpr_private_segment_wavefront_offset 0
		.amdhsa_system_sgpr_workgroup_id_x 1
		.amdhsa_system_sgpr_workgroup_id_y 0
		.amdhsa_system_sgpr_workgroup_id_z 0
		.amdhsa_system_sgpr_workgroup_info 0
		.amdhsa_system_vgpr_workitem_id 1
		.amdhsa_next_free_vgpr 22
		.amdhsa_next_free_sgpr 24
		.amdhsa_accum_offset 24
		.amdhsa_reserve_vcc 1
		.amdhsa_reserve_flat_scratch 0
		.amdhsa_float_round_mode_32 0
		.amdhsa_float_round_mode_16_64 0
		.amdhsa_float_denorm_mode_32 3
		.amdhsa_float_denorm_mode_16_64 3
		.amdhsa_dx10_clamp 1
		.amdhsa_ieee_mode 1
		.amdhsa_fp16_overflow 0
		.amdhsa_tg_split 0
		.amdhsa_exception_fp_ieee_invalid_op 0
		.amdhsa_exception_fp_denorm_src 0
		.amdhsa_exception_fp_ieee_div_zero 0
		.amdhsa_exception_fp_ieee_overflow 0
		.amdhsa_exception_fp_ieee_underflow 0
		.amdhsa_exception_fp_ieee_inexact 0
		.amdhsa_exception_int_div_zero 0
	.end_amdhsa_kernel
	.section	.text._ZN4vllm3moe10topkGatingILi4ELi4ELi4ELi8ELi64El14__hip_bfloat16LNS0_11ScoringFuncE0EEEvPKT5_PKbPfiPT4_PiiiibPKf,"axG",@progbits,_ZN4vllm3moe10topkGatingILi4ELi4ELi4ELi8ELi64El14__hip_bfloat16LNS0_11ScoringFuncE0EEEvPKT5_PKbPfiPT4_PiiiibPKf,comdat
.Lfunc_end172:
	.size	_ZN4vllm3moe10topkGatingILi4ELi4ELi4ELi8ELi64El14__hip_bfloat16LNS0_11ScoringFuncE0EEEvPKT5_PKbPfiPT4_PiiiibPKf, .Lfunc_end172-_ZN4vllm3moe10topkGatingILi4ELi4ELi4ELi8ELi64El14__hip_bfloat16LNS0_11ScoringFuncE0EEEvPKT5_PKbPfiPT4_PiiiibPKf
                                        ; -- End function
	.section	.AMDGPU.csdata,"",@progbits
; Kernel info:
; codeLenInByte = 1740
; NumSgprs: 28
; NumVgprs: 22
; NumAgprs: 0
; TotalNumVgprs: 22
; ScratchSize: 0
; MemoryBound: 1
; FloatMode: 240
; IeeeMode: 1
; LDSByteSize: 0 bytes/workgroup (compile time only)
; SGPRBlocks: 3
; VGPRBlocks: 2
; NumSGPRsForWavesPerEU: 28
; NumVGPRsForWavesPerEU: 22
; AccumOffset: 24
; Occupancy: 8
; WaveLimiterHint : 0
; COMPUTE_PGM_RSRC2:SCRATCH_EN: 0
; COMPUTE_PGM_RSRC2:USER_SGPR: 6
; COMPUTE_PGM_RSRC2:TRAP_HANDLER: 0
; COMPUTE_PGM_RSRC2:TGID_X_EN: 1
; COMPUTE_PGM_RSRC2:TGID_Y_EN: 0
; COMPUTE_PGM_RSRC2:TGID_Z_EN: 0
; COMPUTE_PGM_RSRC2:TIDIG_COMP_CNT: 1
; COMPUTE_PGM_RSRC3_GFX90A:ACCUM_OFFSET: 5
; COMPUTE_PGM_RSRC3_GFX90A:TG_SPLIT: 0
	.section	.text._ZN4vllm3moe10topkGatingILi4ELi4ELi4ELi8ELi32El14__hip_bfloat16LNS0_11ScoringFuncE0EEEvPKT5_PKbPfiPT4_PiiiibPKf,"axG",@progbits,_ZN4vllm3moe10topkGatingILi4ELi4ELi4ELi8ELi32El14__hip_bfloat16LNS0_11ScoringFuncE0EEEvPKT5_PKbPfiPT4_PiiiibPKf,comdat
	.protected	_ZN4vllm3moe10topkGatingILi4ELi4ELi4ELi8ELi32El14__hip_bfloat16LNS0_11ScoringFuncE0EEEvPKT5_PKbPfiPT4_PiiiibPKf ; -- Begin function _ZN4vllm3moe10topkGatingILi4ELi4ELi4ELi8ELi32El14__hip_bfloat16LNS0_11ScoringFuncE0EEEvPKT5_PKbPfiPT4_PiiiibPKf
	.globl	_ZN4vllm3moe10topkGatingILi4ELi4ELi4ELi8ELi32El14__hip_bfloat16LNS0_11ScoringFuncE0EEEvPKT5_PKbPfiPT4_PiiiibPKf
	.p2align	8
	.type	_ZN4vllm3moe10topkGatingILi4ELi4ELi4ELi8ELi32El14__hip_bfloat16LNS0_11ScoringFuncE0EEEvPKT5_PKbPfiPT4_PiiiibPKf,@function
_ZN4vllm3moe10topkGatingILi4ELi4ELi4ELi8ELi32El14__hip_bfloat16LNS0_11ScoringFuncE0EEEvPKT5_PKbPfiPT4_PiiiibPKf: ; @_ZN4vllm3moe10topkGatingILi4ELi4ELi4ELi8ELi32El14__hip_bfloat16LNS0_11ScoringFuncE0EEEvPKT5_PKbPfiPT4_PiiiibPKf
; %bb.0:
	s_load_dword s16, s[4:5], 0x18
	v_bfe_u32 v1, v0, 10, 10
	s_lshl_b32 s0, s6, 7
	v_lshlrev_b32_e32 v1, 5, v1
	v_and_b32_e32 v0, 0x3ff, v0
	v_add3_u32 v14, v1, v0, s0
	s_waitcnt lgkmcnt(0)
	v_cmp_gt_i32_e32 vcc, s16, v14
	s_and_saveexec_b64 s[0:1], vcc
	s_cbranch_execz .LBB173_20
; %bb.1:
	s_load_dwordx4 s[0:3], s[4:5], 0x0
	s_load_dwordx2 s[6:7], s[4:5], 0x10
	s_mov_b64 s[8:9], -1
	s_mov_b64 s[12:13], -1
	s_waitcnt lgkmcnt(0)
	s_cmp_eq_u64 s[2:3], 0
	s_cbranch_scc1 .LBB173_3
; %bb.2:
	v_ashrrev_i32_e32 v1, 31, v14
	v_mov_b32_e32 v2, s3
	v_add_co_u32_e32 v0, vcc, s2, v14
	v_addc_co_u32_e32 v1, vcc, v2, v1, vcc
	global_load_ubyte v0, v[0:1], off
	s_waitcnt vmcnt(0)
	v_and_b32_e32 v0, 1, v0
	v_cmp_eq_u32_e32 vcc, 1, v0
	s_xor_b64 s[2:3], vcc, -1
	s_orn2_b64 s[12:13], s[2:3], exec
.LBB173_3:
	v_lshlrev_b32_e32 v0, 2, v14
	v_ashrrev_i32_e32 v1, 31, v0
	v_lshlrev_b64 v[0:1], 1, v[0:1]
	v_mov_b32_e32 v2, s1
	v_add_co_u32_e32 v0, vcc, s0, v0
	v_addc_co_u32_e32 v1, vcc, v2, v1, vcc
	global_load_dwordx2 v[0:1], v[0:1], off
	v_mov_b32_e32 v5, 0x7f800000
	s_mov_b32 s2, 0x3fb8aa3b
	s_mov_b32 s3, 0xc2ce8ed0
	;; [unrolled: 1-line block ×3, first 2 shown]
	s_load_dwordx2 s[0:1], s[4:5], 0x40
	v_mov_b32_e32 v6, 0x207
	s_waitcnt lgkmcnt(0)
	s_cmp_eq_u64 s[0:1], 0
	s_waitcnt vmcnt(0)
	v_lshlrev_b32_e32 v2, 16, v0
	v_and_b32_e32 v3, 0xffff0000, v0
	v_alignbit_b32 v0, v1, v0, 16
	v_max_f32_e32 v4, v3, v3
	v_max_f32_e32 v7, v2, v2
	v_and_b32_e32 v1, 0xffff0000, v1
	v_and_b32_e32 v0, 0xffff0000, v0
	v_max_f32_e32 v4, v7, v4
	v_max3_f32 v4, v4, v0, v1
	v_pk_add_f32 v[2:3], v[2:3], v[4:5] op_sel_hi:[1,0] neg_lo:[0,1] neg_hi:[0,1]
	v_pk_add_f32 v[0:1], v[0:1], v[4:5] op_sel_hi:[1,0] neg_lo:[0,1] neg_hi:[0,1]
	v_mul_f32_e32 v4, 0x3fb8aa3b, v3
	v_mul_f32_e32 v7, 0x3fb8aa3b, v2
	v_fma_f32 v10, v3, s2, -v4
	v_rndne_f32_e32 v11, v4
	v_mul_f32_e32 v8, 0x3fb8aa3b, v1
	v_fma_f32 v12, v2, s2, -v7
	v_rndne_f32_e32 v13, v7
	v_fmac_f32_e32 v10, 0x32a5705f, v3
	v_sub_f32_e32 v4, v4, v11
	v_mul_f32_e32 v9, 0x3fb8aa3b, v0
	v_fma_f32 v15, v1, s2, -v8
	v_rndne_f32_e32 v16, v8
	v_fmac_f32_e32 v12, 0x32a5705f, v2
	v_sub_f32_e32 v7, v7, v13
	v_add_f32_e32 v4, v4, v10
	v_fma_f32 v17, v0, s2, -v9
	v_rndne_f32_e32 v18, v9
	v_cvt_i32_f32_e32 v11, v11
	v_fmac_f32_e32 v15, 0x32a5705f, v1
	v_sub_f32_e32 v8, v8, v16
	v_add_f32_e32 v7, v7, v12
	v_exp_f32_e32 v4, v4
	v_cvt_i32_f32_e32 v13, v13
	v_fmac_f32_e32 v17, 0x32a5705f, v0
	v_sub_f32_e32 v9, v9, v18
	v_add_f32_e32 v8, v8, v15
	v_exp_f32_e32 v7, v7
	v_cvt_i32_f32_e32 v16, v16
	v_add_f32_e32 v9, v9, v17
	v_exp_f32_e32 v8, v8
	v_cvt_i32_f32_e32 v18, v18
	v_exp_f32_e32 v9, v9
	v_ldexp_f32 v4, v4, v11
	v_cmp_ngt_f32_e32 vcc, s3, v3
	v_ldexp_f32 v7, v7, v13
	v_cndmask_b32_e32 v4, 0, v4, vcc
	v_cmp_ngt_f32_e32 vcc, s3, v2
	v_ldexp_f32 v8, v8, v16
	v_cndmask_b32_e32 v7, 0, v7, vcc
	;; [unrolled: 3-line block ×3, first 2 shown]
	v_cmp_ngt_f32_e32 vcc, s3, v0
	v_cndmask_b32_e32 v9, 0, v9, vcc
	v_cmp_nlt_f32_e32 vcc, s10, v3
	v_cndmask_b32_e32 v3, v5, v4, vcc
	v_cmp_nlt_f32_e32 vcc, s10, v2
	;; [unrolled: 2-line block ×4, first 2 shown]
	v_cndmask_b32_e32 v0, v5, v9, vcc
	v_add_f32_e32 v4, v2, v3
	v_add_f32_e32 v4, v4, v0
	v_add_f32_e32 v4, v4, v1
	v_div_scale_f32 v5, s[2:3], v4, v4, 1.0
	v_rcp_f32_e32 v7, v5
	v_div_scale_f32 v8, vcc, 1.0, v4, 1.0
	v_fma_f32 v9, -v5, v7, 1.0
	v_fmac_f32_e32 v7, v9, v7
	v_mul_f32_e32 v9, v8, v7
	v_fma_f32 v10, -v5, v9, v8
	v_fmac_f32_e32 v9, v10, v7
	v_fma_f32 v5, -v5, v9, v8
	v_div_fmas_f32 v5, v5, v7, v9
	v_div_fixup_f32 v4, v5, v4, 1.0
	v_pk_mul_f32 v[2:3], v[4:5], v[2:3] op_sel_hi:[0,1]
	v_cmp_class_f32_e32 vcc, v3, v6
	v_pk_mul_f32 v[4:5], v[4:5], v[0:1] op_sel_hi:[0,1]
	v_cndmask_b32_e64 v1, v3, 0, vcc
	v_cmp_class_f32_e32 vcc, v2, v6
	v_cndmask_b32_e64 v0, v2, 0, vcc
	v_cmp_class_f32_e32 vcc, v5, v6
	;; [unrolled: 2-line block ×3, first 2 shown]
	v_cndmask_b32_e64 v2, v4, 0, vcc
	s_cbranch_scc1 .LBB173_10
; %bb.4:
	s_load_dwordx4 s[0:3], s[0:1], 0x0
	s_waitcnt lgkmcnt(0)
	v_pk_add_f32 v[4:5], s[0:1], v[0:1]
	v_pk_add_f32 v[6:7], s[2:3], v[2:3]
	s_cbranch_execnz .LBB173_6
.LBB173_5:
	v_pk_mov_b32 v[6:7], v[2:3], v[2:3] op_sel:[0,1]
	v_pk_mov_b32 v[4:5], v[0:1], v[0:1] op_sel:[0,1]
.LBB173_6:
	s_load_dwordx4 s[8:11], s[4:5], 0x30
	s_waitcnt lgkmcnt(0)
	s_bitcmp1_b32 s11, 0
	s_cselect_b64 vcc, -1, 0
	s_cmp_gt_i32 s8, 0
	s_cselect_b64 s[14:15], -1, 0
	s_cmp_lt_i32 s8, 1
	s_mov_b32 s11, 0
	s_cbranch_scc1 .LBB173_11
; %bb.7:
	s_load_dwordx4 s[20:23], s[4:5], 0x20
	v_mul_lo_u32 v10, v14, s8
	v_ashrrev_i32_e32 v11, 31, v10
	v_lshlrev_b64 v[12:13], 2, v[10:11]
	v_mov_b32_e32 v9, s7
	v_add_co_u32_e64 v8, s[0:1], s6, v12
	v_addc_co_u32_e64 v9, s[0:1], v9, v13, s[0:1]
	v_lshlrev_b64 v[10:11], 3, v[10:11]
	s_waitcnt lgkmcnt(0)
	v_mov_b32_e32 v15, s21
	v_add_co_u32_e64 v10, s[0:1], s20, v10
	v_addc_co_u32_e64 v11, s[0:1], v15, v11, s[0:1]
	v_mov_b32_e32 v15, s23
	v_add_co_u32_e64 v12, s[0:1], s22, v12
	v_addc_co_u32_e64 v13, s[0:1], v15, v13, s[0:1]
	v_mov_b32_e32 v15, 0
	v_mov_b32_e32 v16, 0xc61c4000
	;; [unrolled: 1-line block ×3, first 2 shown]
.LBB173_8:                              ; =>This Inner Loop Header: Depth=1
	v_cmp_gt_f32_e64 s[0:1], v5, v4
	v_cndmask_b32_e64 v18, v4, v5, s[0:1]
	v_cndmask_b32_e64 v19, v0, v1, s[0:1]
	;; [unrolled: 1-line block ×3, first 2 shown]
	v_cmp_gt_f32_e64 s[0:1], v6, v18
	v_cndmask_b32_e64 v18, v18, v6, s[0:1]
	v_cndmask_b32_e64 v19, v19, v2, s[0:1]
	;; [unrolled: 1-line block ×3, first 2 shown]
	v_cmp_gt_f32_e64 s[0:1], v7, v18
	v_cndmask_b32_e64 v20, v20, 3, s[0:1]
	v_cndmask_b32_e64 v21, v19, v3, s[0:1]
	v_cmp_le_i32_e64 s[0:1], s9, v20
	v_cmp_gt_i32_e64 s[2:3], s10, v20
	s_and_b64 s[0:1], s[0:1], s[2:3]
	v_subrev_u32_e32 v18, s9, v20
	v_ashrrev_i32_e32 v19, 31, v18
	s_and_b64 s[0:1], s[12:13], s[0:1]
	v_cndmask_b32_e64 v19, 0, v19, s[0:1]
	v_cndmask_b32_e64 v18, 4, v18, s[0:1]
	global_store_dword v[8:9], v21, off
	global_store_dwordx2 v[10:11], v[18:19], off
	global_store_dword v[12:13], v17, off
	v_add_f32_e32 v18, v15, v21
	v_cmp_ne_u32_e64 s[0:1], 0, v20
	v_cndmask_b32_e32 v15, v15, v18, vcc
	v_cndmask_b32_e64 v18, v16, v4, s[0:1]
	v_cmp_ne_u32_e64 s[0:1], 1, v20
	s_add_i32 s11, s11, 1
	v_cndmask_b32_e64 v19, v16, v5, s[0:1]
	v_cmp_ne_u32_e64 s[0:1], 2, v20
	s_cmp_lt_i32 s11, s8
	v_cndmask_b32_e64 v21, v16, v6, s[0:1]
	v_cmp_ne_u32_e64 s[0:1], 3, v20
	v_cndmask_b32_e64 v20, v16, v7, s[0:1]
	s_cselect_b64 s[0:1], -1, 0
	v_cndmask_b32_e64 v7, v7, v20, s[0:1]
	v_cndmask_b32_e64 v6, v6, v21, s[0:1]
	;; [unrolled: 1-line block ×4, first 2 shown]
	v_add_co_u32_e64 v8, s[0:1], 4, v8
	v_addc_co_u32_e64 v9, s[0:1], 0, v9, s[0:1]
	v_add_co_u32_e64 v10, s[0:1], 8, v10
	v_addc_co_u32_e64 v11, s[0:1], 0, v11, s[0:1]
	v_add_co_u32_e64 v12, s[0:1], 4, v12
	v_add_u32_e32 v17, s16, v17
	s_cmp_eq_u32 s8, s11
	v_addc_co_u32_e64 v13, s[0:1], 0, v13, s[0:1]
	s_cbranch_scc0 .LBB173_8
; %bb.9:
	s_and_b64 vcc, exec, vcc
	s_cbranch_vccnz .LBB173_12
	s_branch .LBB173_20
.LBB173_10:
                                        ; implicit-def: $vgpr4_vgpr5_vgpr6_vgpr7
	s_andn2_b64 vcc, exec, s[8:9]
	s_cbranch_vccz .LBB173_5
	s_branch .LBB173_6
.LBB173_11:
	v_mov_b32_e32 v15, 0
	s_and_b64 vcc, exec, vcc
	s_cbranch_vccz .LBB173_20
.LBB173_12:
	s_andn2_b64 vcc, exec, s[14:15]
	s_cbranch_vccnz .LBB173_20
; %bb.13:
	v_cmp_lt_f32_e32 vcc, 0, v15
	s_mov_b32 s2, 0
	v_cndmask_b32_e32 v0, 1.0, v15, vcc
	v_mul_lo_u32 v4, v14, s8
	s_cmp_eq_u32 s8, 1
	s_mov_b64 s[0:1], -1
	s_cbranch_scc1 .LBB173_17
; %bb.14:
	s_and_b32 s2, s8, 0x7ffffffe
	v_mov_b32_e32 v1, v0
	v_mov_b32_e32 v5, s7
	s_mov_b32 s3, s2
	v_mov_b32_e32 v2, v4
.LBB173_15:                             ; =>This Inner Loop Header: Depth=1
	v_ashrrev_i32_e32 v3, 31, v2
	v_lshlrev_b64 v[6:7], 2, v[2:3]
	v_add_co_u32_e32 v6, vcc, s6, v6
	v_addc_co_u32_e32 v7, vcc, v5, v7, vcc
	global_load_dwordx2 v[8:9], v[6:7], off
	s_add_i32 s3, s3, -2
	s_cmp_lg_u32 s3, 0
	v_add_u32_e32 v2, 2, v2
	s_waitcnt vmcnt(0)
	v_div_scale_f32 v3, s[0:1], v1, v1, v9
	v_div_scale_f32 v11, s[0:1], v0, v0, v8
	v_rcp_f32_e32 v12, v3
	v_rcp_f32_e32 v13, v11
	v_div_scale_f32 v10, vcc, v9, v1, v9
	v_fma_f32 v15, -v3, v12, 1.0
	v_fma_f32 v16, -v11, v13, 1.0
	v_fmac_f32_e32 v12, v15, v12
	v_div_scale_f32 v14, s[0:1], v8, v0, v8
	v_fmac_f32_e32 v13, v16, v13
	v_mul_f32_e32 v15, v10, v12
	v_mul_f32_e32 v16, v14, v13
	v_fma_f32 v17, -v3, v15, v10
	v_fma_f32 v18, -v11, v16, v14
	v_fmac_f32_e32 v15, v17, v12
	v_fmac_f32_e32 v16, v18, v13
	v_fma_f32 v3, -v3, v15, v10
	v_fma_f32 v10, -v11, v16, v14
	v_div_fmas_f32 v3, v3, v12, v15
	s_mov_b64 vcc, s[0:1]
	v_div_fixup_f32 v9, v3, v1, v9
	v_div_fmas_f32 v3, v10, v13, v16
	v_div_fixup_f32 v8, v3, v0, v8
	global_store_dwordx2 v[6:7], v[8:9], off
	s_cbranch_scc1 .LBB173_15
; %bb.16:
	s_cmp_lg_u32 s2, s8
	s_cselect_b64 s[0:1], -1, 0
.LBB173_17:
	s_and_b64 vcc, exec, s[0:1]
	s_cbranch_vccz .LBB173_20
; %bb.18:
	v_ashrrev_i32_e32 v1, 31, v4
	v_add_co_u32_e32 v2, vcc, s2, v4
	v_addc_co_u32_e32 v3, vcc, 0, v1, vcc
	v_lshlrev_b64 v[2:3], 2, v[2:3]
	v_mov_b32_e32 v1, s7
	v_add_co_u32_e32 v2, vcc, s6, v2
	s_sub_i32 s0, s8, s2
	v_addc_co_u32_e32 v3, vcc, v1, v3, vcc
.LBB173_19:                             ; =>This Inner Loop Header: Depth=1
	global_load_dword v1, v[2:3], off
	s_add_i32 s0, s0, -1
	s_cmp_lg_u32 s0, 0
	s_waitcnt vmcnt(0)
	v_div_scale_f32 v4, s[2:3], v0, v0, v1
	v_rcp_f32_e32 v5, v4
	v_div_scale_f32 v6, vcc, v1, v0, v1
	v_fma_f32 v7, -v4, v5, 1.0
	v_fmac_f32_e32 v5, v7, v5
	v_mul_f32_e32 v7, v6, v5
	v_fma_f32 v8, -v4, v7, v6
	v_fmac_f32_e32 v7, v8, v5
	v_fma_f32 v4, -v4, v7, v6
	v_div_fmas_f32 v4, v4, v5, v7
	v_div_fixup_f32 v1, v4, v0, v1
	global_store_dword v[2:3], v1, off
	v_add_co_u32_e32 v2, vcc, 4, v2
	v_addc_co_u32_e32 v3, vcc, 0, v3, vcc
	s_cbranch_scc1 .LBB173_19
.LBB173_20:
	s_endpgm
	.section	.rodata,"a",@progbits
	.p2align	6, 0x0
	.amdhsa_kernel _ZN4vllm3moe10topkGatingILi4ELi4ELi4ELi8ELi32El14__hip_bfloat16LNS0_11ScoringFuncE0EEEvPKT5_PKbPfiPT4_PiiiibPKf
		.amdhsa_group_segment_fixed_size 0
		.amdhsa_private_segment_fixed_size 0
		.amdhsa_kernarg_size 72
		.amdhsa_user_sgpr_count 6
		.amdhsa_user_sgpr_private_segment_buffer 1
		.amdhsa_user_sgpr_dispatch_ptr 0
		.amdhsa_user_sgpr_queue_ptr 0
		.amdhsa_user_sgpr_kernarg_segment_ptr 1
		.amdhsa_user_sgpr_dispatch_id 0
		.amdhsa_user_sgpr_flat_scratch_init 0
		.amdhsa_user_sgpr_kernarg_preload_length 0
		.amdhsa_user_sgpr_kernarg_preload_offset 0
		.amdhsa_user_sgpr_private_segment_size 0
		.amdhsa_uses_dynamic_stack 0
		.amdhsa_system_sgpr_private_segment_wavefront_offset 0
		.amdhsa_system_sgpr_workgroup_id_x 1
		.amdhsa_system_sgpr_workgroup_id_y 0
		.amdhsa_system_sgpr_workgroup_id_z 0
		.amdhsa_system_sgpr_workgroup_info 0
		.amdhsa_system_vgpr_workitem_id 1
		.amdhsa_next_free_vgpr 22
		.amdhsa_next_free_sgpr 24
		.amdhsa_accum_offset 24
		.amdhsa_reserve_vcc 1
		.amdhsa_reserve_flat_scratch 0
		.amdhsa_float_round_mode_32 0
		.amdhsa_float_round_mode_16_64 0
		.amdhsa_float_denorm_mode_32 3
		.amdhsa_float_denorm_mode_16_64 3
		.amdhsa_dx10_clamp 1
		.amdhsa_ieee_mode 1
		.amdhsa_fp16_overflow 0
		.amdhsa_tg_split 0
		.amdhsa_exception_fp_ieee_invalid_op 0
		.amdhsa_exception_fp_denorm_src 0
		.amdhsa_exception_fp_ieee_div_zero 0
		.amdhsa_exception_fp_ieee_overflow 0
		.amdhsa_exception_fp_ieee_underflow 0
		.amdhsa_exception_fp_ieee_inexact 0
		.amdhsa_exception_int_div_zero 0
	.end_amdhsa_kernel
	.section	.text._ZN4vllm3moe10topkGatingILi4ELi4ELi4ELi8ELi32El14__hip_bfloat16LNS0_11ScoringFuncE0EEEvPKT5_PKbPfiPT4_PiiiibPKf,"axG",@progbits,_ZN4vllm3moe10topkGatingILi4ELi4ELi4ELi8ELi32El14__hip_bfloat16LNS0_11ScoringFuncE0EEEvPKT5_PKbPfiPT4_PiiiibPKf,comdat
.Lfunc_end173:
	.size	_ZN4vllm3moe10topkGatingILi4ELi4ELi4ELi8ELi32El14__hip_bfloat16LNS0_11ScoringFuncE0EEEvPKT5_PKbPfiPT4_PiiiibPKf, .Lfunc_end173-_ZN4vllm3moe10topkGatingILi4ELi4ELi4ELi8ELi32El14__hip_bfloat16LNS0_11ScoringFuncE0EEEvPKT5_PKbPfiPT4_PiiiibPKf
                                        ; -- End function
	.section	.AMDGPU.csdata,"",@progbits
; Kernel info:
; codeLenInByte = 1740
; NumSgprs: 28
; NumVgprs: 22
; NumAgprs: 0
; TotalNumVgprs: 22
; ScratchSize: 0
; MemoryBound: 1
; FloatMode: 240
; IeeeMode: 1
; LDSByteSize: 0 bytes/workgroup (compile time only)
; SGPRBlocks: 3
; VGPRBlocks: 2
; NumSGPRsForWavesPerEU: 28
; NumVGPRsForWavesPerEU: 22
; AccumOffset: 24
; Occupancy: 8
; WaveLimiterHint : 0
; COMPUTE_PGM_RSRC2:SCRATCH_EN: 0
; COMPUTE_PGM_RSRC2:USER_SGPR: 6
; COMPUTE_PGM_RSRC2:TRAP_HANDLER: 0
; COMPUTE_PGM_RSRC2:TGID_X_EN: 1
; COMPUTE_PGM_RSRC2:TGID_Y_EN: 0
; COMPUTE_PGM_RSRC2:TGID_Z_EN: 0
; COMPUTE_PGM_RSRC2:TIDIG_COMP_CNT: 1
; COMPUTE_PGM_RSRC3_GFX90A:ACCUM_OFFSET: 5
; COMPUTE_PGM_RSRC3_GFX90A:TG_SPLIT: 0
	.section	.text._ZN4vllm3moe10topkGatingILi8ELi8ELi4ELi16ELi64El14__hip_bfloat16LNS0_11ScoringFuncE0EEEvPKT5_PKbPfiPT4_PiiiibPKf,"axG",@progbits,_ZN4vllm3moe10topkGatingILi8ELi8ELi4ELi16ELi64El14__hip_bfloat16LNS0_11ScoringFuncE0EEEvPKT5_PKbPfiPT4_PiiiibPKf,comdat
	.protected	_ZN4vllm3moe10topkGatingILi8ELi8ELi4ELi16ELi64El14__hip_bfloat16LNS0_11ScoringFuncE0EEEvPKT5_PKbPfiPT4_PiiiibPKf ; -- Begin function _ZN4vllm3moe10topkGatingILi8ELi8ELi4ELi16ELi64El14__hip_bfloat16LNS0_11ScoringFuncE0EEEvPKT5_PKbPfiPT4_PiiiibPKf
	.globl	_ZN4vllm3moe10topkGatingILi8ELi8ELi4ELi16ELi64El14__hip_bfloat16LNS0_11ScoringFuncE0EEEvPKT5_PKbPfiPT4_PiiiibPKf
	.p2align	8
	.type	_ZN4vllm3moe10topkGatingILi8ELi8ELi4ELi16ELi64El14__hip_bfloat16LNS0_11ScoringFuncE0EEEvPKT5_PKbPfiPT4_PiiiibPKf,@function
_ZN4vllm3moe10topkGatingILi8ELi8ELi4ELi16ELi64El14__hip_bfloat16LNS0_11ScoringFuncE0EEEvPKT5_PKbPfiPT4_PiiiibPKf: ; @_ZN4vllm3moe10topkGatingILi8ELi8ELi4ELi16ELi64El14__hip_bfloat16LNS0_11ScoringFuncE0EEEvPKT5_PKbPfiPT4_PiiiibPKf
; %bb.0:
	s_load_dword s18, s[4:5], 0x18
	v_bfe_u32 v1, v0, 10, 10
	s_lshl_b32 s0, s6, 8
	v_lshlrev_b32_e32 v1, 6, v1
	v_and_b32_e32 v0, 0x3ff, v0
	v_add3_u32 v16, v1, v0, s0
	s_waitcnt lgkmcnt(0)
	v_cmp_gt_i32_e32 vcc, s18, v16
	s_and_saveexec_b64 s[0:1], vcc
	s_cbranch_execz .LBB174_20
; %bb.1:
	s_load_dwordx4 s[0:3], s[4:5], 0x0
	s_load_dwordx2 s[12:13], s[4:5], 0x10
	s_mov_b64 s[6:7], -1
	s_mov_b64 s[14:15], -1
	s_waitcnt lgkmcnt(0)
	s_cmp_eq_u64 s[2:3], 0
	s_cbranch_scc1 .LBB174_3
; %bb.2:
	v_ashrrev_i32_e32 v1, 31, v16
	v_mov_b32_e32 v2, s3
	v_add_co_u32_e32 v0, vcc, s2, v16
	v_addc_co_u32_e32 v1, vcc, v2, v1, vcc
	global_load_ubyte v0, v[0:1], off
	s_waitcnt vmcnt(0)
	v_and_b32_e32 v0, 1, v0
	v_cmp_eq_u32_e32 vcc, 1, v0
	s_xor_b64 s[2:3], vcc, -1
	s_orn2_b64 s[14:15], s[2:3], exec
.LBB174_3:
	v_lshlrev_b32_e32 v0, 3, v16
	v_ashrrev_i32_e32 v1, 31, v0
	v_lshlrev_b64 v[0:1], 1, v[0:1]
	v_mov_b32_e32 v2, s1
	v_add_co_u32_e32 v0, vcc, s0, v0
	v_addc_co_u32_e32 v1, vcc, v2, v1, vcc
	global_load_dwordx4 v[0:3], v[0:1], off
	s_mov_b32 s2, 0x3fb8aa3b
	s_mov_b32 s0, 0xc2ce8ed0
	;; [unrolled: 1-line block ×3, first 2 shown]
	v_mov_b32_e32 v10, 0x7f800000
	s_waitcnt vmcnt(0)
	v_and_b32_e32 v5, 0xffff0000, v0
	v_lshlrev_b32_e32 v4, 16, v0
	v_and_b32_e32 v7, 0xffff0000, v1
	v_lshlrev_b32_e32 v6, 16, v1
	;; [unrolled: 2-line block ×4, first 2 shown]
	v_max_f32_e32 v2, v5, v5
	v_max_f32_e32 v3, v4, v4
	v_max_f32_e32 v2, v3, v2
	v_max3_f32 v2, v2, v6, v7
	v_max3_f32 v2, v2, v0, v1
	;; [unrolled: 1-line block ×3, first 2 shown]
	v_pk_add_f32 v[4:5], v[4:5], v[2:3] op_sel_hi:[1,0] neg_lo:[0,1] neg_hi:[0,1]
	v_pk_add_f32 v[6:7], v[6:7], v[2:3] op_sel_hi:[1,0] neg_lo:[0,1] neg_hi:[0,1]
	;; [unrolled: 1-line block ×3, first 2 shown]
	v_mul_f32_e32 v3, 0x3fb8aa3b, v5
	v_mul_f32_e32 v11, 0x3fb8aa3b, v4
	v_fma_f32 v17, v5, s2, -v3
	v_rndne_f32_e32 v18, v3
	v_mul_f32_e32 v12, 0x3fb8aa3b, v7
	v_fma_f32 v19, v4, s2, -v11
	v_rndne_f32_e32 v20, v11
	v_fmac_f32_e32 v17, 0x32a5705f, v5
	v_sub_f32_e32 v3, v3, v18
	v_mul_f32_e32 v13, 0x3fb8aa3b, v6
	v_fma_f32 v21, v7, s2, -v12
	v_rndne_f32_e32 v22, v12
	v_fmac_f32_e32 v19, 0x32a5705f, v4
	v_sub_f32_e32 v11, v11, v20
	v_add_f32_e32 v3, v3, v17
	v_mul_f32_e32 v14, 0x3fb8aa3b, v1
	v_fma_f32 v23, v6, s2, -v13
	v_rndne_f32_e32 v24, v13
	v_cvt_i32_f32_e32 v18, v18
	v_fmac_f32_e32 v21, 0x32a5705f, v7
	v_sub_f32_e32 v12, v12, v22
	v_add_f32_e32 v11, v11, v19
	v_exp_f32_e32 v3, v3
	v_fma_f32 v25, v1, s2, -v14
	v_rndne_f32_e32 v26, v14
	v_cvt_i32_f32_e32 v20, v20
	v_fmac_f32_e32 v23, 0x32a5705f, v6
	v_sub_f32_e32 v13, v13, v24
	v_add_f32_e32 v12, v12, v21
	v_exp_f32_e32 v11, v11
	v_cvt_i32_f32_e32 v22, v22
	v_fmac_f32_e32 v25, 0x32a5705f, v1
	v_sub_f32_e32 v14, v14, v26
	v_add_f32_e32 v13, v13, v23
	v_exp_f32_e32 v12, v12
	v_cvt_i32_f32_e32 v24, v24
	v_add_f32_e32 v14, v14, v25
	v_exp_f32_e32 v13, v13
	v_cvt_i32_f32_e32 v26, v26
	v_exp_f32_e32 v14, v14
	v_ldexp_f32 v3, v3, v18
	v_cmp_ngt_f32_e32 vcc, s0, v5
	v_ldexp_f32 v11, v11, v20
	v_cndmask_b32_e32 v3, 0, v3, vcc
	v_cmp_ngt_f32_e32 vcc, s0, v4
	v_ldexp_f32 v12, v12, v22
	v_cndmask_b32_e32 v11, 0, v11, vcc
	;; [unrolled: 3-line block ×4, first 2 shown]
	v_cmp_ngt_f32_e32 vcc, s0, v1
	v_cndmask_b32_e32 v14, 0, v14, vcc
	v_cmp_nlt_f32_e32 vcc, s1, v5
	v_mul_f32_e32 v15, 0x3fb8aa3b, v0
	v_cndmask_b32_e32 v5, v10, v3, vcc
	v_cmp_nlt_f32_e32 vcc, s1, v4
	v_pk_add_f32 v[2:3], v[8:9], v[2:3] op_sel_hi:[1,0] neg_lo:[0,1] neg_hi:[0,1]
	v_fma_f32 v27, v0, s2, -v15
	v_rndne_f32_e32 v28, v15
	v_cndmask_b32_e32 v4, v10, v11, vcc
	v_cmp_nlt_f32_e32 vcc, s1, v7
	v_mul_f32_e32 v8, 0x3fb8aa3b, v3
	v_fmac_f32_e32 v27, 0x32a5705f, v0
	v_sub_f32_e32 v15, v15, v28
	v_cndmask_b32_e32 v7, v10, v12, vcc
	v_fma_f32 v9, v3, s2, -v8
	v_rndne_f32_e32 v12, v8
	v_add_f32_e32 v15, v15, v27
	v_fmac_f32_e32 v9, 0x32a5705f, v3
	v_sub_f32_e32 v8, v8, v12
	v_cvt_i32_f32_e32 v28, v28
	v_exp_f32_e32 v15, v15
	v_add_f32_e32 v8, v8, v9
	v_exp_f32_e32 v8, v8
	v_cvt_i32_f32_e32 v9, v12
	v_cmp_nlt_f32_e32 vcc, s1, v6
	v_cndmask_b32_e32 v6, v10, v13, vcc
	v_cmp_nlt_f32_e32 vcc, s1, v1
	v_cndmask_b32_e32 v1, v10, v14, vcc
	v_ldexp_f32 v11, v15, v28
	v_cmp_ngt_f32_e32 vcc, s0, v0
	v_cndmask_b32_e32 v11, 0, v11, vcc
	v_cmp_nlt_f32_e32 vcc, s1, v0
	v_ldexp_f32 v8, v8, v9
	v_mul_f32_e32 v9, 0x3fb8aa3b, v2
	v_cndmask_b32_e32 v0, v10, v11, vcc
	v_fma_f32 v11, v2, s2, -v9
	v_rndne_f32_e32 v12, v9
	v_fmac_f32_e32 v11, 0x32a5705f, v2
	v_sub_f32_e32 v9, v9, v12
	v_add_f32_e32 v9, v9, v11
	v_exp_f32_e32 v9, v9
	v_cvt_i32_f32_e32 v11, v12
	v_cmp_ngt_f32_e32 vcc, s0, v3
	v_cndmask_b32_e32 v8, 0, v8, vcc
	v_cmp_nlt_f32_e32 vcc, s1, v3
	v_cndmask_b32_e32 v3, v10, v8, vcc
	v_ldexp_f32 v8, v9, v11
	v_cmp_ngt_f32_e32 vcc, s0, v2
	v_cndmask_b32_e32 v8, 0, v8, vcc
	v_cmp_nlt_f32_e32 vcc, s1, v2
	v_cndmask_b32_e32 v2, v10, v8, vcc
	v_add_f32_e32 v8, v4, v5
	v_add_f32_e32 v8, v8, v6
	;; [unrolled: 1-line block ×7, first 2 shown]
	v_div_scale_f32 v9, s[0:1], v8, v8, 1.0
	v_rcp_f32_e32 v10, v9
	s_load_dwordx2 s[0:1], s[4:5], 0x40
	v_fma_f32 v11, -v9, v10, 1.0
	v_fmac_f32_e32 v10, v11, v10
	v_div_scale_f32 v11, vcc, 1.0, v8, 1.0
	v_mul_f32_e32 v12, v11, v10
	v_fma_f32 v13, -v9, v12, v11
	v_fmac_f32_e32 v12, v13, v10
	v_fma_f32 v9, -v9, v12, v11
	v_div_fmas_f32 v9, v9, v10, v12
	v_div_fixup_f32 v8, v9, v8, 1.0
	v_pk_mul_f32 v[4:5], v[8:9], v[4:5] op_sel_hi:[0,1]
	v_mov_b32_e32 v12, 0x207
	v_cmp_class_f32_e32 vcc, v5, v12
	v_pk_mul_f32 v[6:7], v[8:9], v[6:7] op_sel_hi:[0,1]
	v_pk_mul_f32 v[10:11], v[8:9], v[0:1] op_sel_hi:[0,1]
	v_cndmask_b32_e64 v1, v5, 0, vcc
	v_cmp_class_f32_e32 vcc, v4, v12
	v_cndmask_b32_e64 v0, v4, 0, vcc
	v_cmp_class_f32_e32 vcc, v7, v12
	v_pk_mul_f32 v[8:9], v[8:9], v[2:3] op_sel_hi:[0,1]
	v_cndmask_b32_e64 v3, v7, 0, vcc
	v_cmp_class_f32_e32 vcc, v6, v12
	v_cndmask_b32_e64 v2, v6, 0, vcc
	v_cmp_class_f32_e32 vcc, v11, v12
	;; [unrolled: 2-line block ×5, first 2 shown]
	s_waitcnt lgkmcnt(0)
	s_cmp_eq_u64 s[0:1], 0
	v_cndmask_b32_e64 v6, v8, 0, vcc
	s_cbranch_scc1 .LBB174_10
; %bb.4:
	s_load_dwordx8 s[20:27], s[0:1], 0x0
	s_waitcnt lgkmcnt(0)
	v_pk_add_f32 v[8:9], s[20:21], v[0:1]
	v_pk_add_f32 v[10:11], s[22:23], v[2:3]
	;; [unrolled: 1-line block ×4, first 2 shown]
	s_cbranch_execnz .LBB174_6
.LBB174_5:
	v_pk_mov_b32 v[14:15], v[6:7], v[6:7] op_sel:[0,1]
	v_pk_mov_b32 v[12:13], v[4:5], v[4:5] op_sel:[0,1]
	;; [unrolled: 1-line block ×4, first 2 shown]
.LBB174_6:
	s_load_dwordx4 s[8:11], s[4:5], 0x30
	s_waitcnt lgkmcnt(0)
	s_bitcmp1_b32 s11, 0
	s_cselect_b64 vcc, -1, 0
	s_cmp_gt_i32 s8, 0
	s_cselect_b64 s[16:17], -1, 0
	s_cmp_lt_i32 s8, 1
	s_mov_b32 s11, 0
	s_cbranch_scc1 .LBB174_11
; %bb.7:
	s_load_dwordx4 s[4:7], s[4:5], 0x20
	v_mul_lo_u32 v18, v16, s8
	v_mov_b32_e32 v17, 0
	v_mov_b32_e32 v19, s13
	;; [unrolled: 1-line block ×3, first 2 shown]
	s_waitcnt lgkmcnt(0)
	v_mov_b32_e32 v20, s5
	v_mov_b32_e32 v21, s7
	;; [unrolled: 1-line block ×3, first 2 shown]
.LBB174_8:                              ; =>This Inner Loop Header: Depth=1
	v_cmp_gt_f32_e64 s[0:1], v9, v8
	v_cndmask_b32_e64 v24, v8, v9, s[0:1]
	v_cndmask_b32_e64 v25, v0, v1, s[0:1]
	v_cndmask_b32_e64 v26, 0, 1, s[0:1]
	v_cmp_gt_f32_e64 s[0:1], v10, v24
	v_cndmask_b32_e64 v24, v24, v10, s[0:1]
	v_cndmask_b32_e64 v25, v25, v2, s[0:1]
	v_cndmask_b32_e64 v26, v26, 2, s[0:1]
	;; [unrolled: 4-line block ×6, first 2 shown]
	v_cmp_gt_f32_e64 s[0:1], v15, v24
	v_add_u32_e32 v24, s11, v18
	v_cndmask_b32_e64 v30, v25, v7, s[0:1]
	v_cndmask_b32_e64 v31, v26, 7, s[0:1]
	v_ashrrev_i32_e32 v25, 31, v24
	v_cmp_le_i32_e64 s[0:1], s9, v31
	v_cmp_gt_i32_e64 s[2:3], s10, v31
	v_lshlrev_b64 v[26:27], 2, v[24:25]
	s_and_b64 s[2:3], s[0:1], s[2:3]
	v_add_co_u32_e64 v28, s[0:1], s12, v26
	v_addc_co_u32_e64 v29, s[0:1], v19, v27, s[0:1]
	global_store_dword v[28:29], v30, off
	v_subrev_u32_e32 v28, s9, v31
	v_ashrrev_i32_e32 v29, 31, v28
	s_and_b64 s[0:1], s[14:15], s[2:3]
	v_lshlrev_b64 v[24:25], 3, v[24:25]
	v_cndmask_b32_e64 v29, 0, v29, s[0:1]
	v_cndmask_b32_e64 v28, 8, v28, s[0:1]
	v_add_co_u32_e64 v24, s[0:1], s4, v24
	v_addc_co_u32_e64 v25, s[0:1], v20, v25, s[0:1]
	global_store_dwordx2 v[24:25], v[28:29], off
	v_add_co_u32_e64 v24, s[0:1], s6, v26
	v_addc_co_u32_e64 v25, s[0:1], v21, v27, s[0:1]
	global_store_dword v[24:25], v23, off
	v_add_f32_e32 v24, v17, v30
	v_cmp_ne_u32_e64 s[0:1], 0, v31
	v_cndmask_b32_e32 v17, v17, v24, vcc
	v_cndmask_b32_e64 v24, v22, v8, s[0:1]
	v_cmp_ne_u32_e64 s[0:1], 1, v31
	v_cndmask_b32_e64 v25, v22, v9, s[0:1]
	v_cmp_ne_u32_e64 s[0:1], 2, v31
	;; [unrolled: 2-line block ×5, first 2 shown]
	s_add_i32 s11, s11, 1
	v_cndmask_b32_e64 v29, v22, v13, s[0:1]
	v_cmp_ne_u32_e64 s[0:1], 6, v31
	s_cmp_lt_i32 s11, s8
	v_cndmask_b32_e64 v30, v22, v14, s[0:1]
	v_cmp_ne_u32_e64 s[0:1], 7, v31
	v_cndmask_b32_e64 v31, v22, v15, s[0:1]
	s_cselect_b64 s[0:1], -1, 0
	v_cndmask_b32_e64 v15, v15, v31, s[0:1]
	v_cndmask_b32_e64 v14, v14, v30, s[0:1]
	;; [unrolled: 1-line block ×8, first 2 shown]
	s_cmp_eq_u32 s8, s11
	v_add_u32_e32 v23, s18, v23
	s_cbranch_scc0 .LBB174_8
; %bb.9:
	s_and_b64 vcc, exec, vcc
	s_cbranch_vccnz .LBB174_12
	s_branch .LBB174_20
.LBB174_10:
                                        ; implicit-def: $vgpr8_vgpr9_vgpr10_vgpr11_vgpr12_vgpr13_vgpr14_vgpr15
	s_andn2_b64 vcc, exec, s[6:7]
	s_cbranch_vccz .LBB174_5
	s_branch .LBB174_6
.LBB174_11:
	v_mov_b32_e32 v17, 0
	s_and_b64 vcc, exec, vcc
	s_cbranch_vccz .LBB174_20
.LBB174_12:
	s_andn2_b64 vcc, exec, s[16:17]
	s_cbranch_vccnz .LBB174_20
; %bb.13:
	v_cmp_lt_f32_e32 vcc, 0, v17
	s_mov_b32 s2, 0
	v_cndmask_b32_e32 v0, 1.0, v17, vcc
	v_mul_lo_u32 v4, v16, s8
	s_cmp_eq_u32 s8, 1
	s_mov_b64 s[0:1], -1
	s_cbranch_scc1 .LBB174_17
; %bb.14:
	s_and_b32 s2, s8, 0x7ffffffe
	v_mov_b32_e32 v1, v0
	v_mov_b32_e32 v5, s13
	s_mov_b32 s3, s2
	v_mov_b32_e32 v2, v4
.LBB174_15:                             ; =>This Inner Loop Header: Depth=1
	v_ashrrev_i32_e32 v3, 31, v2
	v_lshlrev_b64 v[6:7], 2, v[2:3]
	v_add_co_u32_e32 v6, vcc, s12, v6
	v_addc_co_u32_e32 v7, vcc, v5, v7, vcc
	global_load_dwordx2 v[8:9], v[6:7], off
	s_add_i32 s3, s3, -2
	s_cmp_lg_u32 s3, 0
	v_add_u32_e32 v2, 2, v2
	s_waitcnt vmcnt(0)
	v_div_scale_f32 v3, s[0:1], v1, v1, v9
	v_div_scale_f32 v11, s[0:1], v0, v0, v8
	v_rcp_f32_e32 v12, v3
	v_rcp_f32_e32 v13, v11
	v_div_scale_f32 v10, vcc, v9, v1, v9
	v_fma_f32 v15, -v3, v12, 1.0
	v_fma_f32 v16, -v11, v13, 1.0
	v_fmac_f32_e32 v12, v15, v12
	v_div_scale_f32 v14, s[0:1], v8, v0, v8
	v_fmac_f32_e32 v13, v16, v13
	v_mul_f32_e32 v15, v10, v12
	v_mul_f32_e32 v16, v14, v13
	v_fma_f32 v17, -v3, v15, v10
	v_fma_f32 v18, -v11, v16, v14
	v_fmac_f32_e32 v15, v17, v12
	v_fmac_f32_e32 v16, v18, v13
	v_fma_f32 v3, -v3, v15, v10
	v_fma_f32 v10, -v11, v16, v14
	v_div_fmas_f32 v3, v3, v12, v15
	s_mov_b64 vcc, s[0:1]
	v_div_fixup_f32 v9, v3, v1, v9
	v_div_fmas_f32 v3, v10, v13, v16
	v_div_fixup_f32 v8, v3, v0, v8
	global_store_dwordx2 v[6:7], v[8:9], off
	s_cbranch_scc1 .LBB174_15
; %bb.16:
	s_cmp_lg_u32 s2, s8
	s_cselect_b64 s[0:1], -1, 0
.LBB174_17:
	s_and_b64 vcc, exec, s[0:1]
	s_cbranch_vccz .LBB174_20
; %bb.18:
	v_ashrrev_i32_e32 v1, 31, v4
	v_add_co_u32_e32 v2, vcc, s2, v4
	v_addc_co_u32_e32 v3, vcc, 0, v1, vcc
	v_lshlrev_b64 v[2:3], 2, v[2:3]
	v_mov_b32_e32 v1, s13
	v_add_co_u32_e32 v2, vcc, s12, v2
	s_sub_i32 s0, s8, s2
	v_addc_co_u32_e32 v3, vcc, v1, v3, vcc
.LBB174_19:                             ; =>This Inner Loop Header: Depth=1
	global_load_dword v1, v[2:3], off
	s_add_i32 s0, s0, -1
	s_cmp_lg_u32 s0, 0
	s_waitcnt vmcnt(0)
	v_div_scale_f32 v4, s[2:3], v0, v0, v1
	v_rcp_f32_e32 v5, v4
	v_div_scale_f32 v6, vcc, v1, v0, v1
	v_fma_f32 v7, -v4, v5, 1.0
	v_fmac_f32_e32 v5, v7, v5
	v_mul_f32_e32 v7, v6, v5
	v_fma_f32 v8, -v4, v7, v6
	v_fmac_f32_e32 v7, v8, v5
	v_fma_f32 v4, -v4, v7, v6
	v_div_fmas_f32 v4, v4, v5, v7
	v_div_fixup_f32 v1, v4, v0, v1
	global_store_dword v[2:3], v1, off
	v_add_co_u32_e32 v2, vcc, 4, v2
	v_addc_co_u32_e32 v3, vcc, 0, v3, vcc
	s_cbranch_scc1 .LBB174_19
.LBB174_20:
	s_endpgm
	.section	.rodata,"a",@progbits
	.p2align	6, 0x0
	.amdhsa_kernel _ZN4vllm3moe10topkGatingILi8ELi8ELi4ELi16ELi64El14__hip_bfloat16LNS0_11ScoringFuncE0EEEvPKT5_PKbPfiPT4_PiiiibPKf
		.amdhsa_group_segment_fixed_size 0
		.amdhsa_private_segment_fixed_size 0
		.amdhsa_kernarg_size 72
		.amdhsa_user_sgpr_count 6
		.amdhsa_user_sgpr_private_segment_buffer 1
		.amdhsa_user_sgpr_dispatch_ptr 0
		.amdhsa_user_sgpr_queue_ptr 0
		.amdhsa_user_sgpr_kernarg_segment_ptr 1
		.amdhsa_user_sgpr_dispatch_id 0
		.amdhsa_user_sgpr_flat_scratch_init 0
		.amdhsa_user_sgpr_kernarg_preload_length 0
		.amdhsa_user_sgpr_kernarg_preload_offset 0
		.amdhsa_user_sgpr_private_segment_size 0
		.amdhsa_uses_dynamic_stack 0
		.amdhsa_system_sgpr_private_segment_wavefront_offset 0
		.amdhsa_system_sgpr_workgroup_id_x 1
		.amdhsa_system_sgpr_workgroup_id_y 0
		.amdhsa_system_sgpr_workgroup_id_z 0
		.amdhsa_system_sgpr_workgroup_info 0
		.amdhsa_system_vgpr_workitem_id 1
		.amdhsa_next_free_vgpr 32
		.amdhsa_next_free_sgpr 28
		.amdhsa_accum_offset 32
		.amdhsa_reserve_vcc 1
		.amdhsa_reserve_flat_scratch 0
		.amdhsa_float_round_mode_32 0
		.amdhsa_float_round_mode_16_64 0
		.amdhsa_float_denorm_mode_32 3
		.amdhsa_float_denorm_mode_16_64 3
		.amdhsa_dx10_clamp 1
		.amdhsa_ieee_mode 1
		.amdhsa_fp16_overflow 0
		.amdhsa_tg_split 0
		.amdhsa_exception_fp_ieee_invalid_op 0
		.amdhsa_exception_fp_denorm_src 0
		.amdhsa_exception_fp_ieee_div_zero 0
		.amdhsa_exception_fp_ieee_overflow 0
		.amdhsa_exception_fp_ieee_underflow 0
		.amdhsa_exception_fp_ieee_inexact 0
		.amdhsa_exception_int_div_zero 0
	.end_amdhsa_kernel
	.section	.text._ZN4vllm3moe10topkGatingILi8ELi8ELi4ELi16ELi64El14__hip_bfloat16LNS0_11ScoringFuncE0EEEvPKT5_PKbPfiPT4_PiiiibPKf,"axG",@progbits,_ZN4vllm3moe10topkGatingILi8ELi8ELi4ELi16ELi64El14__hip_bfloat16LNS0_11ScoringFuncE0EEEvPKT5_PKbPfiPT4_PiiiibPKf,comdat
.Lfunc_end174:
	.size	_ZN4vllm3moe10topkGatingILi8ELi8ELi4ELi16ELi64El14__hip_bfloat16LNS0_11ScoringFuncE0EEEvPKT5_PKbPfiPT4_PiiiibPKf, .Lfunc_end174-_ZN4vllm3moe10topkGatingILi8ELi8ELi4ELi16ELi64El14__hip_bfloat16LNS0_11ScoringFuncE0EEEvPKT5_PKbPfiPT4_PiiiibPKf
                                        ; -- End function
	.section	.AMDGPU.csdata,"",@progbits
; Kernel info:
; codeLenInByte = 2348
; NumSgprs: 32
; NumVgprs: 32
; NumAgprs: 0
; TotalNumVgprs: 32
; ScratchSize: 0
; MemoryBound: 1
; FloatMode: 240
; IeeeMode: 1
; LDSByteSize: 0 bytes/workgroup (compile time only)
; SGPRBlocks: 3
; VGPRBlocks: 3
; NumSGPRsForWavesPerEU: 32
; NumVGPRsForWavesPerEU: 32
; AccumOffset: 32
; Occupancy: 8
; WaveLimiterHint : 0
; COMPUTE_PGM_RSRC2:SCRATCH_EN: 0
; COMPUTE_PGM_RSRC2:USER_SGPR: 6
; COMPUTE_PGM_RSRC2:TRAP_HANDLER: 0
; COMPUTE_PGM_RSRC2:TGID_X_EN: 1
; COMPUTE_PGM_RSRC2:TGID_Y_EN: 0
; COMPUTE_PGM_RSRC2:TGID_Z_EN: 0
; COMPUTE_PGM_RSRC2:TIDIG_COMP_CNT: 1
; COMPUTE_PGM_RSRC3_GFX90A:ACCUM_OFFSET: 7
; COMPUTE_PGM_RSRC3_GFX90A:TG_SPLIT: 0
	.section	.text._ZN4vllm3moe10topkGatingILi8ELi8ELi4ELi16ELi32El14__hip_bfloat16LNS0_11ScoringFuncE0EEEvPKT5_PKbPfiPT4_PiiiibPKf,"axG",@progbits,_ZN4vllm3moe10topkGatingILi8ELi8ELi4ELi16ELi32El14__hip_bfloat16LNS0_11ScoringFuncE0EEEvPKT5_PKbPfiPT4_PiiiibPKf,comdat
	.protected	_ZN4vllm3moe10topkGatingILi8ELi8ELi4ELi16ELi32El14__hip_bfloat16LNS0_11ScoringFuncE0EEEvPKT5_PKbPfiPT4_PiiiibPKf ; -- Begin function _ZN4vllm3moe10topkGatingILi8ELi8ELi4ELi16ELi32El14__hip_bfloat16LNS0_11ScoringFuncE0EEEvPKT5_PKbPfiPT4_PiiiibPKf
	.globl	_ZN4vllm3moe10topkGatingILi8ELi8ELi4ELi16ELi32El14__hip_bfloat16LNS0_11ScoringFuncE0EEEvPKT5_PKbPfiPT4_PiiiibPKf
	.p2align	8
	.type	_ZN4vllm3moe10topkGatingILi8ELi8ELi4ELi16ELi32El14__hip_bfloat16LNS0_11ScoringFuncE0EEEvPKT5_PKbPfiPT4_PiiiibPKf,@function
_ZN4vllm3moe10topkGatingILi8ELi8ELi4ELi16ELi32El14__hip_bfloat16LNS0_11ScoringFuncE0EEEvPKT5_PKbPfiPT4_PiiiibPKf: ; @_ZN4vllm3moe10topkGatingILi8ELi8ELi4ELi16ELi32El14__hip_bfloat16LNS0_11ScoringFuncE0EEEvPKT5_PKbPfiPT4_PiiiibPKf
; %bb.0:
	s_load_dword s18, s[4:5], 0x18
	v_bfe_u32 v1, v0, 10, 10
	s_lshl_b32 s0, s6, 7
	v_lshlrev_b32_e32 v1, 5, v1
	v_and_b32_e32 v0, 0x3ff, v0
	v_add3_u32 v16, v1, v0, s0
	s_waitcnt lgkmcnt(0)
	v_cmp_gt_i32_e32 vcc, s18, v16
	s_and_saveexec_b64 s[0:1], vcc
	s_cbranch_execz .LBB175_20
; %bb.1:
	s_load_dwordx4 s[0:3], s[4:5], 0x0
	s_load_dwordx2 s[12:13], s[4:5], 0x10
	s_mov_b64 s[6:7], -1
	s_mov_b64 s[14:15], -1
	s_waitcnt lgkmcnt(0)
	s_cmp_eq_u64 s[2:3], 0
	s_cbranch_scc1 .LBB175_3
; %bb.2:
	v_ashrrev_i32_e32 v1, 31, v16
	v_mov_b32_e32 v2, s3
	v_add_co_u32_e32 v0, vcc, s2, v16
	v_addc_co_u32_e32 v1, vcc, v2, v1, vcc
	global_load_ubyte v0, v[0:1], off
	s_waitcnt vmcnt(0)
	v_and_b32_e32 v0, 1, v0
	v_cmp_eq_u32_e32 vcc, 1, v0
	s_xor_b64 s[2:3], vcc, -1
	s_orn2_b64 s[14:15], s[2:3], exec
.LBB175_3:
	v_lshlrev_b32_e32 v0, 3, v16
	v_ashrrev_i32_e32 v1, 31, v0
	v_lshlrev_b64 v[0:1], 1, v[0:1]
	v_mov_b32_e32 v2, s1
	v_add_co_u32_e32 v0, vcc, s0, v0
	v_addc_co_u32_e32 v1, vcc, v2, v1, vcc
	global_load_dwordx4 v[0:3], v[0:1], off
	s_mov_b32 s2, 0x3fb8aa3b
	s_mov_b32 s0, 0xc2ce8ed0
	;; [unrolled: 1-line block ×3, first 2 shown]
	v_mov_b32_e32 v10, 0x7f800000
	s_waitcnt vmcnt(0)
	v_and_b32_e32 v5, 0xffff0000, v0
	v_lshlrev_b32_e32 v4, 16, v0
	v_and_b32_e32 v7, 0xffff0000, v1
	v_lshlrev_b32_e32 v6, 16, v1
	;; [unrolled: 2-line block ×4, first 2 shown]
	v_max_f32_e32 v2, v5, v5
	v_max_f32_e32 v3, v4, v4
	;; [unrolled: 1-line block ×3, first 2 shown]
	v_max3_f32 v2, v2, v6, v7
	v_max3_f32 v2, v2, v0, v1
	;; [unrolled: 1-line block ×3, first 2 shown]
	v_pk_add_f32 v[4:5], v[4:5], v[2:3] op_sel_hi:[1,0] neg_lo:[0,1] neg_hi:[0,1]
	v_pk_add_f32 v[6:7], v[6:7], v[2:3] op_sel_hi:[1,0] neg_lo:[0,1] neg_hi:[0,1]
	v_pk_add_f32 v[0:1], v[0:1], v[2:3] op_sel_hi:[1,0] neg_lo:[0,1] neg_hi:[0,1]
	v_mul_f32_e32 v3, 0x3fb8aa3b, v5
	v_mul_f32_e32 v11, 0x3fb8aa3b, v4
	v_fma_f32 v17, v5, s2, -v3
	v_rndne_f32_e32 v18, v3
	v_mul_f32_e32 v12, 0x3fb8aa3b, v7
	v_fma_f32 v19, v4, s2, -v11
	v_rndne_f32_e32 v20, v11
	v_fmac_f32_e32 v17, 0x32a5705f, v5
	v_sub_f32_e32 v3, v3, v18
	v_mul_f32_e32 v13, 0x3fb8aa3b, v6
	v_fma_f32 v21, v7, s2, -v12
	v_rndne_f32_e32 v22, v12
	v_fmac_f32_e32 v19, 0x32a5705f, v4
	v_sub_f32_e32 v11, v11, v20
	v_add_f32_e32 v3, v3, v17
	v_mul_f32_e32 v14, 0x3fb8aa3b, v1
	v_fma_f32 v23, v6, s2, -v13
	v_rndne_f32_e32 v24, v13
	v_cvt_i32_f32_e32 v18, v18
	v_fmac_f32_e32 v21, 0x32a5705f, v7
	v_sub_f32_e32 v12, v12, v22
	v_add_f32_e32 v11, v11, v19
	v_exp_f32_e32 v3, v3
	v_fma_f32 v25, v1, s2, -v14
	v_rndne_f32_e32 v26, v14
	v_cvt_i32_f32_e32 v20, v20
	v_fmac_f32_e32 v23, 0x32a5705f, v6
	v_sub_f32_e32 v13, v13, v24
	v_add_f32_e32 v12, v12, v21
	v_exp_f32_e32 v11, v11
	v_cvt_i32_f32_e32 v22, v22
	v_fmac_f32_e32 v25, 0x32a5705f, v1
	v_sub_f32_e32 v14, v14, v26
	v_add_f32_e32 v13, v13, v23
	v_exp_f32_e32 v12, v12
	v_cvt_i32_f32_e32 v24, v24
	v_add_f32_e32 v14, v14, v25
	v_exp_f32_e32 v13, v13
	v_cvt_i32_f32_e32 v26, v26
	v_exp_f32_e32 v14, v14
	v_ldexp_f32 v3, v3, v18
	v_cmp_ngt_f32_e32 vcc, s0, v5
	v_ldexp_f32 v11, v11, v20
	v_cndmask_b32_e32 v3, 0, v3, vcc
	v_cmp_ngt_f32_e32 vcc, s0, v4
	v_ldexp_f32 v12, v12, v22
	v_cndmask_b32_e32 v11, 0, v11, vcc
	;; [unrolled: 3-line block ×4, first 2 shown]
	v_cmp_ngt_f32_e32 vcc, s0, v1
	v_cndmask_b32_e32 v14, 0, v14, vcc
	v_cmp_nlt_f32_e32 vcc, s1, v5
	v_mul_f32_e32 v15, 0x3fb8aa3b, v0
	v_cndmask_b32_e32 v5, v10, v3, vcc
	v_cmp_nlt_f32_e32 vcc, s1, v4
	v_pk_add_f32 v[2:3], v[8:9], v[2:3] op_sel_hi:[1,0] neg_lo:[0,1] neg_hi:[0,1]
	v_fma_f32 v27, v0, s2, -v15
	v_rndne_f32_e32 v28, v15
	v_cndmask_b32_e32 v4, v10, v11, vcc
	v_cmp_nlt_f32_e32 vcc, s1, v7
	v_mul_f32_e32 v8, 0x3fb8aa3b, v3
	v_fmac_f32_e32 v27, 0x32a5705f, v0
	v_sub_f32_e32 v15, v15, v28
	v_cndmask_b32_e32 v7, v10, v12, vcc
	v_fma_f32 v9, v3, s2, -v8
	v_rndne_f32_e32 v12, v8
	v_add_f32_e32 v15, v15, v27
	v_fmac_f32_e32 v9, 0x32a5705f, v3
	v_sub_f32_e32 v8, v8, v12
	v_cvt_i32_f32_e32 v28, v28
	v_exp_f32_e32 v15, v15
	v_add_f32_e32 v8, v8, v9
	v_exp_f32_e32 v8, v8
	v_cvt_i32_f32_e32 v9, v12
	v_cmp_nlt_f32_e32 vcc, s1, v6
	v_cndmask_b32_e32 v6, v10, v13, vcc
	v_cmp_nlt_f32_e32 vcc, s1, v1
	v_cndmask_b32_e32 v1, v10, v14, vcc
	v_ldexp_f32 v11, v15, v28
	v_cmp_ngt_f32_e32 vcc, s0, v0
	v_cndmask_b32_e32 v11, 0, v11, vcc
	v_cmp_nlt_f32_e32 vcc, s1, v0
	v_ldexp_f32 v8, v8, v9
	v_mul_f32_e32 v9, 0x3fb8aa3b, v2
	v_cndmask_b32_e32 v0, v10, v11, vcc
	v_fma_f32 v11, v2, s2, -v9
	v_rndne_f32_e32 v12, v9
	v_fmac_f32_e32 v11, 0x32a5705f, v2
	v_sub_f32_e32 v9, v9, v12
	v_add_f32_e32 v9, v9, v11
	v_exp_f32_e32 v9, v9
	v_cvt_i32_f32_e32 v11, v12
	v_cmp_ngt_f32_e32 vcc, s0, v3
	v_cndmask_b32_e32 v8, 0, v8, vcc
	v_cmp_nlt_f32_e32 vcc, s1, v3
	v_cndmask_b32_e32 v3, v10, v8, vcc
	v_ldexp_f32 v8, v9, v11
	v_cmp_ngt_f32_e32 vcc, s0, v2
	v_cndmask_b32_e32 v8, 0, v8, vcc
	v_cmp_nlt_f32_e32 vcc, s1, v2
	v_cndmask_b32_e32 v2, v10, v8, vcc
	v_add_f32_e32 v8, v4, v5
	v_add_f32_e32 v8, v8, v6
	;; [unrolled: 1-line block ×7, first 2 shown]
	v_div_scale_f32 v9, s[0:1], v8, v8, 1.0
	v_rcp_f32_e32 v10, v9
	s_load_dwordx2 s[0:1], s[4:5], 0x40
	v_fma_f32 v11, -v9, v10, 1.0
	v_fmac_f32_e32 v10, v11, v10
	v_div_scale_f32 v11, vcc, 1.0, v8, 1.0
	v_mul_f32_e32 v12, v11, v10
	v_fma_f32 v13, -v9, v12, v11
	v_fmac_f32_e32 v12, v13, v10
	v_fma_f32 v9, -v9, v12, v11
	v_div_fmas_f32 v9, v9, v10, v12
	v_div_fixup_f32 v8, v9, v8, 1.0
	v_pk_mul_f32 v[4:5], v[8:9], v[4:5] op_sel_hi:[0,1]
	v_mov_b32_e32 v12, 0x207
	v_cmp_class_f32_e32 vcc, v5, v12
	v_pk_mul_f32 v[6:7], v[8:9], v[6:7] op_sel_hi:[0,1]
	v_pk_mul_f32 v[10:11], v[8:9], v[0:1] op_sel_hi:[0,1]
	v_cndmask_b32_e64 v1, v5, 0, vcc
	v_cmp_class_f32_e32 vcc, v4, v12
	v_cndmask_b32_e64 v0, v4, 0, vcc
	v_cmp_class_f32_e32 vcc, v7, v12
	v_pk_mul_f32 v[8:9], v[8:9], v[2:3] op_sel_hi:[0,1]
	v_cndmask_b32_e64 v3, v7, 0, vcc
	v_cmp_class_f32_e32 vcc, v6, v12
	v_cndmask_b32_e64 v2, v6, 0, vcc
	v_cmp_class_f32_e32 vcc, v11, v12
	;; [unrolled: 2-line block ×5, first 2 shown]
	s_waitcnt lgkmcnt(0)
	s_cmp_eq_u64 s[0:1], 0
	v_cndmask_b32_e64 v6, v8, 0, vcc
	s_cbranch_scc1 .LBB175_10
; %bb.4:
	s_load_dwordx8 s[20:27], s[0:1], 0x0
	s_waitcnt lgkmcnt(0)
	v_pk_add_f32 v[8:9], s[20:21], v[0:1]
	v_pk_add_f32 v[10:11], s[22:23], v[2:3]
	;; [unrolled: 1-line block ×4, first 2 shown]
	s_cbranch_execnz .LBB175_6
.LBB175_5:
	v_pk_mov_b32 v[14:15], v[6:7], v[6:7] op_sel:[0,1]
	v_pk_mov_b32 v[12:13], v[4:5], v[4:5] op_sel:[0,1]
	;; [unrolled: 1-line block ×4, first 2 shown]
.LBB175_6:
	s_load_dwordx4 s[8:11], s[4:5], 0x30
	s_waitcnt lgkmcnt(0)
	s_bitcmp1_b32 s11, 0
	s_cselect_b64 vcc, -1, 0
	s_cmp_gt_i32 s8, 0
	s_cselect_b64 s[16:17], -1, 0
	s_cmp_lt_i32 s8, 1
	s_mov_b32 s11, 0
	s_cbranch_scc1 .LBB175_11
; %bb.7:
	s_load_dwordx4 s[4:7], s[4:5], 0x20
	v_mul_lo_u32 v18, v16, s8
	v_mov_b32_e32 v17, 0
	v_mov_b32_e32 v19, s13
	v_mov_b32_e32 v22, 0xc61c4000
	s_waitcnt lgkmcnt(0)
	v_mov_b32_e32 v20, s5
	v_mov_b32_e32 v21, s7
	;; [unrolled: 1-line block ×3, first 2 shown]
.LBB175_8:                              ; =>This Inner Loop Header: Depth=1
	v_cmp_gt_f32_e64 s[0:1], v9, v8
	v_cndmask_b32_e64 v24, v8, v9, s[0:1]
	v_cndmask_b32_e64 v25, v0, v1, s[0:1]
	v_cndmask_b32_e64 v26, 0, 1, s[0:1]
	v_cmp_gt_f32_e64 s[0:1], v10, v24
	v_cndmask_b32_e64 v24, v24, v10, s[0:1]
	v_cndmask_b32_e64 v25, v25, v2, s[0:1]
	v_cndmask_b32_e64 v26, v26, 2, s[0:1]
	;; [unrolled: 4-line block ×6, first 2 shown]
	v_cmp_gt_f32_e64 s[0:1], v15, v24
	v_add_u32_e32 v24, s11, v18
	v_cndmask_b32_e64 v30, v25, v7, s[0:1]
	v_cndmask_b32_e64 v31, v26, 7, s[0:1]
	v_ashrrev_i32_e32 v25, 31, v24
	v_cmp_le_i32_e64 s[0:1], s9, v31
	v_cmp_gt_i32_e64 s[2:3], s10, v31
	v_lshlrev_b64 v[26:27], 2, v[24:25]
	s_and_b64 s[2:3], s[0:1], s[2:3]
	v_add_co_u32_e64 v28, s[0:1], s12, v26
	v_addc_co_u32_e64 v29, s[0:1], v19, v27, s[0:1]
	global_store_dword v[28:29], v30, off
	v_subrev_u32_e32 v28, s9, v31
	v_ashrrev_i32_e32 v29, 31, v28
	s_and_b64 s[0:1], s[14:15], s[2:3]
	v_lshlrev_b64 v[24:25], 3, v[24:25]
	v_cndmask_b32_e64 v29, 0, v29, s[0:1]
	v_cndmask_b32_e64 v28, 8, v28, s[0:1]
	v_add_co_u32_e64 v24, s[0:1], s4, v24
	v_addc_co_u32_e64 v25, s[0:1], v20, v25, s[0:1]
	global_store_dwordx2 v[24:25], v[28:29], off
	v_add_co_u32_e64 v24, s[0:1], s6, v26
	v_addc_co_u32_e64 v25, s[0:1], v21, v27, s[0:1]
	global_store_dword v[24:25], v23, off
	v_add_f32_e32 v24, v17, v30
	v_cmp_ne_u32_e64 s[0:1], 0, v31
	v_cndmask_b32_e32 v17, v17, v24, vcc
	v_cndmask_b32_e64 v24, v22, v8, s[0:1]
	v_cmp_ne_u32_e64 s[0:1], 1, v31
	v_cndmask_b32_e64 v25, v22, v9, s[0:1]
	v_cmp_ne_u32_e64 s[0:1], 2, v31
	;; [unrolled: 2-line block ×5, first 2 shown]
	s_add_i32 s11, s11, 1
	v_cndmask_b32_e64 v29, v22, v13, s[0:1]
	v_cmp_ne_u32_e64 s[0:1], 6, v31
	s_cmp_lt_i32 s11, s8
	v_cndmask_b32_e64 v30, v22, v14, s[0:1]
	v_cmp_ne_u32_e64 s[0:1], 7, v31
	v_cndmask_b32_e64 v31, v22, v15, s[0:1]
	s_cselect_b64 s[0:1], -1, 0
	v_cndmask_b32_e64 v15, v15, v31, s[0:1]
	v_cndmask_b32_e64 v14, v14, v30, s[0:1]
	;; [unrolled: 1-line block ×8, first 2 shown]
	s_cmp_eq_u32 s8, s11
	v_add_u32_e32 v23, s18, v23
	s_cbranch_scc0 .LBB175_8
; %bb.9:
	s_and_b64 vcc, exec, vcc
	s_cbranch_vccnz .LBB175_12
	s_branch .LBB175_20
.LBB175_10:
                                        ; implicit-def: $vgpr8_vgpr9_vgpr10_vgpr11_vgpr12_vgpr13_vgpr14_vgpr15
	s_andn2_b64 vcc, exec, s[6:7]
	s_cbranch_vccz .LBB175_5
	s_branch .LBB175_6
.LBB175_11:
	v_mov_b32_e32 v17, 0
	s_and_b64 vcc, exec, vcc
	s_cbranch_vccz .LBB175_20
.LBB175_12:
	s_andn2_b64 vcc, exec, s[16:17]
	s_cbranch_vccnz .LBB175_20
; %bb.13:
	v_cmp_lt_f32_e32 vcc, 0, v17
	s_mov_b32 s2, 0
	v_cndmask_b32_e32 v0, 1.0, v17, vcc
	v_mul_lo_u32 v4, v16, s8
	s_cmp_eq_u32 s8, 1
	s_mov_b64 s[0:1], -1
	s_cbranch_scc1 .LBB175_17
; %bb.14:
	s_and_b32 s2, s8, 0x7ffffffe
	v_mov_b32_e32 v1, v0
	v_mov_b32_e32 v5, s13
	s_mov_b32 s3, s2
	v_mov_b32_e32 v2, v4
.LBB175_15:                             ; =>This Inner Loop Header: Depth=1
	v_ashrrev_i32_e32 v3, 31, v2
	v_lshlrev_b64 v[6:7], 2, v[2:3]
	v_add_co_u32_e32 v6, vcc, s12, v6
	v_addc_co_u32_e32 v7, vcc, v5, v7, vcc
	global_load_dwordx2 v[8:9], v[6:7], off
	s_add_i32 s3, s3, -2
	s_cmp_lg_u32 s3, 0
	v_add_u32_e32 v2, 2, v2
	s_waitcnt vmcnt(0)
	v_div_scale_f32 v3, s[0:1], v1, v1, v9
	v_div_scale_f32 v11, s[0:1], v0, v0, v8
	v_rcp_f32_e32 v12, v3
	v_rcp_f32_e32 v13, v11
	v_div_scale_f32 v10, vcc, v9, v1, v9
	v_fma_f32 v15, -v3, v12, 1.0
	v_fma_f32 v16, -v11, v13, 1.0
	v_fmac_f32_e32 v12, v15, v12
	v_div_scale_f32 v14, s[0:1], v8, v0, v8
	v_fmac_f32_e32 v13, v16, v13
	v_mul_f32_e32 v15, v10, v12
	v_mul_f32_e32 v16, v14, v13
	v_fma_f32 v17, -v3, v15, v10
	v_fma_f32 v18, -v11, v16, v14
	v_fmac_f32_e32 v15, v17, v12
	v_fmac_f32_e32 v16, v18, v13
	v_fma_f32 v3, -v3, v15, v10
	v_fma_f32 v10, -v11, v16, v14
	v_div_fmas_f32 v3, v3, v12, v15
	s_mov_b64 vcc, s[0:1]
	v_div_fixup_f32 v9, v3, v1, v9
	v_div_fmas_f32 v3, v10, v13, v16
	v_div_fixup_f32 v8, v3, v0, v8
	global_store_dwordx2 v[6:7], v[8:9], off
	s_cbranch_scc1 .LBB175_15
; %bb.16:
	s_cmp_lg_u32 s2, s8
	s_cselect_b64 s[0:1], -1, 0
.LBB175_17:
	s_and_b64 vcc, exec, s[0:1]
	s_cbranch_vccz .LBB175_20
; %bb.18:
	v_ashrrev_i32_e32 v1, 31, v4
	v_add_co_u32_e32 v2, vcc, s2, v4
	v_addc_co_u32_e32 v3, vcc, 0, v1, vcc
	v_lshlrev_b64 v[2:3], 2, v[2:3]
	v_mov_b32_e32 v1, s13
	v_add_co_u32_e32 v2, vcc, s12, v2
	s_sub_i32 s0, s8, s2
	v_addc_co_u32_e32 v3, vcc, v1, v3, vcc
.LBB175_19:                             ; =>This Inner Loop Header: Depth=1
	global_load_dword v1, v[2:3], off
	s_add_i32 s0, s0, -1
	s_cmp_lg_u32 s0, 0
	s_waitcnt vmcnt(0)
	v_div_scale_f32 v4, s[2:3], v0, v0, v1
	v_rcp_f32_e32 v5, v4
	v_div_scale_f32 v6, vcc, v1, v0, v1
	v_fma_f32 v7, -v4, v5, 1.0
	v_fmac_f32_e32 v5, v7, v5
	v_mul_f32_e32 v7, v6, v5
	v_fma_f32 v8, -v4, v7, v6
	v_fmac_f32_e32 v7, v8, v5
	v_fma_f32 v4, -v4, v7, v6
	v_div_fmas_f32 v4, v4, v5, v7
	v_div_fixup_f32 v1, v4, v0, v1
	global_store_dword v[2:3], v1, off
	v_add_co_u32_e32 v2, vcc, 4, v2
	v_addc_co_u32_e32 v3, vcc, 0, v3, vcc
	s_cbranch_scc1 .LBB175_19
.LBB175_20:
	s_endpgm
	.section	.rodata,"a",@progbits
	.p2align	6, 0x0
	.amdhsa_kernel _ZN4vllm3moe10topkGatingILi8ELi8ELi4ELi16ELi32El14__hip_bfloat16LNS0_11ScoringFuncE0EEEvPKT5_PKbPfiPT4_PiiiibPKf
		.amdhsa_group_segment_fixed_size 0
		.amdhsa_private_segment_fixed_size 0
		.amdhsa_kernarg_size 72
		.amdhsa_user_sgpr_count 6
		.amdhsa_user_sgpr_private_segment_buffer 1
		.amdhsa_user_sgpr_dispatch_ptr 0
		.amdhsa_user_sgpr_queue_ptr 0
		.amdhsa_user_sgpr_kernarg_segment_ptr 1
		.amdhsa_user_sgpr_dispatch_id 0
		.amdhsa_user_sgpr_flat_scratch_init 0
		.amdhsa_user_sgpr_kernarg_preload_length 0
		.amdhsa_user_sgpr_kernarg_preload_offset 0
		.amdhsa_user_sgpr_private_segment_size 0
		.amdhsa_uses_dynamic_stack 0
		.amdhsa_system_sgpr_private_segment_wavefront_offset 0
		.amdhsa_system_sgpr_workgroup_id_x 1
		.amdhsa_system_sgpr_workgroup_id_y 0
		.amdhsa_system_sgpr_workgroup_id_z 0
		.amdhsa_system_sgpr_workgroup_info 0
		.amdhsa_system_vgpr_workitem_id 1
		.amdhsa_next_free_vgpr 32
		.amdhsa_next_free_sgpr 28
		.amdhsa_accum_offset 32
		.amdhsa_reserve_vcc 1
		.amdhsa_reserve_flat_scratch 0
		.amdhsa_float_round_mode_32 0
		.amdhsa_float_round_mode_16_64 0
		.amdhsa_float_denorm_mode_32 3
		.amdhsa_float_denorm_mode_16_64 3
		.amdhsa_dx10_clamp 1
		.amdhsa_ieee_mode 1
		.amdhsa_fp16_overflow 0
		.amdhsa_tg_split 0
		.amdhsa_exception_fp_ieee_invalid_op 0
		.amdhsa_exception_fp_denorm_src 0
		.amdhsa_exception_fp_ieee_div_zero 0
		.amdhsa_exception_fp_ieee_overflow 0
		.amdhsa_exception_fp_ieee_underflow 0
		.amdhsa_exception_fp_ieee_inexact 0
		.amdhsa_exception_int_div_zero 0
	.end_amdhsa_kernel
	.section	.text._ZN4vllm3moe10topkGatingILi8ELi8ELi4ELi16ELi32El14__hip_bfloat16LNS0_11ScoringFuncE0EEEvPKT5_PKbPfiPT4_PiiiibPKf,"axG",@progbits,_ZN4vllm3moe10topkGatingILi8ELi8ELi4ELi16ELi32El14__hip_bfloat16LNS0_11ScoringFuncE0EEEvPKT5_PKbPfiPT4_PiiiibPKf,comdat
.Lfunc_end175:
	.size	_ZN4vllm3moe10topkGatingILi8ELi8ELi4ELi16ELi32El14__hip_bfloat16LNS0_11ScoringFuncE0EEEvPKT5_PKbPfiPT4_PiiiibPKf, .Lfunc_end175-_ZN4vllm3moe10topkGatingILi8ELi8ELi4ELi16ELi32El14__hip_bfloat16LNS0_11ScoringFuncE0EEEvPKT5_PKbPfiPT4_PiiiibPKf
                                        ; -- End function
	.section	.AMDGPU.csdata,"",@progbits
; Kernel info:
; codeLenInByte = 2348
; NumSgprs: 32
; NumVgprs: 32
; NumAgprs: 0
; TotalNumVgprs: 32
; ScratchSize: 0
; MemoryBound: 1
; FloatMode: 240
; IeeeMode: 1
; LDSByteSize: 0 bytes/workgroup (compile time only)
; SGPRBlocks: 3
; VGPRBlocks: 3
; NumSGPRsForWavesPerEU: 32
; NumVGPRsForWavesPerEU: 32
; AccumOffset: 32
; Occupancy: 8
; WaveLimiterHint : 0
; COMPUTE_PGM_RSRC2:SCRATCH_EN: 0
; COMPUTE_PGM_RSRC2:USER_SGPR: 6
; COMPUTE_PGM_RSRC2:TRAP_HANDLER: 0
; COMPUTE_PGM_RSRC2:TGID_X_EN: 1
; COMPUTE_PGM_RSRC2:TGID_Y_EN: 0
; COMPUTE_PGM_RSRC2:TGID_Z_EN: 0
; COMPUTE_PGM_RSRC2:TIDIG_COMP_CNT: 1
; COMPUTE_PGM_RSRC3_GFX90A:ACCUM_OFFSET: 7
; COMPUTE_PGM_RSRC3_GFX90A:TG_SPLIT: 0
	.section	.text._ZN4vllm3moe10topkGatingILi8ELi16ELi4ELi16ELi64El14__hip_bfloat16LNS0_11ScoringFuncE0EEEvPKT5_PKbPfiPT4_PiiiibPKf,"axG",@progbits,_ZN4vllm3moe10topkGatingILi8ELi16ELi4ELi16ELi64El14__hip_bfloat16LNS0_11ScoringFuncE0EEEvPKT5_PKbPfiPT4_PiiiibPKf,comdat
	.protected	_ZN4vllm3moe10topkGatingILi8ELi16ELi4ELi16ELi64El14__hip_bfloat16LNS0_11ScoringFuncE0EEEvPKT5_PKbPfiPT4_PiiiibPKf ; -- Begin function _ZN4vllm3moe10topkGatingILi8ELi16ELi4ELi16ELi64El14__hip_bfloat16LNS0_11ScoringFuncE0EEEvPKT5_PKbPfiPT4_PiiiibPKf
	.globl	_ZN4vllm3moe10topkGatingILi8ELi16ELi4ELi16ELi64El14__hip_bfloat16LNS0_11ScoringFuncE0EEEvPKT5_PKbPfiPT4_PiiiibPKf
	.p2align	8
	.type	_ZN4vllm3moe10topkGatingILi8ELi16ELi4ELi16ELi64El14__hip_bfloat16LNS0_11ScoringFuncE0EEEvPKT5_PKbPfiPT4_PiiiibPKf,@function
_ZN4vllm3moe10topkGatingILi8ELi16ELi4ELi16ELi64El14__hip_bfloat16LNS0_11ScoringFuncE0EEEvPKT5_PKbPfiPT4_PiiiibPKf: ; @_ZN4vllm3moe10topkGatingILi8ELi16ELi4ELi16ELi64El14__hip_bfloat16LNS0_11ScoringFuncE0EEEvPKT5_PKbPfiPT4_PiiiibPKf
; %bb.0:
	s_load_dword s24, s[4:5], 0x18
	v_bfe_u32 v1, v0, 10, 10
	v_and_b32_e32 v0, 0x3ff, v0
	s_lshl_b32 s0, s6, 7
	v_lshlrev_b32_e32 v1, 5, v1
	v_lshrrev_b32_e32 v2, 1, v0
	v_add3_u32 v16, s0, v1, v2
	s_waitcnt lgkmcnt(0)
	v_cmp_gt_i32_e32 vcc, s24, v16
	s_and_saveexec_b64 s[0:1], vcc
	s_cbranch_execz .LBB176_30
; %bb.1:
	s_load_dwordx4 s[0:3], s[4:5], 0x0
	s_load_dwordx2 s[6:7], s[4:5], 0x10
	s_mov_b64 s[8:9], -1
	s_mov_b64 s[16:17], -1
	s_waitcnt lgkmcnt(0)
	s_cmp_eq_u64 s[2:3], 0
	s_cbranch_scc1 .LBB176_3
; %bb.2:
	v_ashrrev_i32_e32 v1, 31, v16
	v_mov_b32_e32 v3, s3
	v_add_co_u32_e32 v2, vcc, s2, v16
	v_addc_co_u32_e32 v3, vcc, v3, v1, vcc
	global_load_ubyte v1, v[2:3], off
	s_waitcnt vmcnt(0)
	v_and_b32_e32 v1, 1, v1
	v_cmp_eq_u32_e32 vcc, 1, v1
	s_xor_b64 s[2:3], vcc, -1
	s_orn2_b64 s[16:17], s[2:3], exec
.LBB176_3:
	v_lshlrev_b32_e32 v2, 4, v16
	v_ashrrev_i32_e32 v3, 31, v2
	v_lshlrev_b64 v[2:3], 1, v[2:3]
	v_mov_b32_e32 v1, s1
	v_add_co_u32_e32 v2, vcc, s0, v2
	v_and_b32_e32 v17, 1, v0
	v_addc_co_u32_e32 v1, vcc, v1, v3, vcc
	v_lshlrev_b32_e32 v0, 4, v17
	v_add_co_u32_e32 v0, vcc, v2, v0
	v_addc_co_u32_e32 v1, vcc, 0, v1, vcc
	global_load_dwordx4 v[0:3], v[0:1], off
	v_mbcnt_lo_u32_b32 v4, -1, 0
	v_mbcnt_hi_u32_b32 v4, -1, v4
	v_and_b32_e32 v6, 0x7e, v4
	v_xor_b32_e32 v5, 1, v4
	v_add_u32_e32 v6, 2, v6
	v_cmp_lt_i32_e32 vcc, v5, v6
	v_cndmask_b32_e32 v4, v4, v5, vcc
	v_lshlrev_b32_e32 v18, 2, v4
	s_mov_b32 s0, 0x3fb8aa3b
	s_mov_b32 s1, 0xc2ce8ed0
	;; [unrolled: 1-line block ×3, first 2 shown]
	v_mov_b32_e32 v10, 0x7f800000
	s_waitcnt vmcnt(0)
	v_lshlrev_b32_e32 v7, 16, v1
	v_and_b32_e32 v4, 0xffff0000, v1
	v_and_b32_e32 v1, 0xffff0000, v0
	v_lshlrev_b32_e32 v0, 16, v0
	v_max_f32_e32 v6, v1, v1
	v_max_f32_e32 v9, v0, v0
	v_max_f32_e32 v6, v9, v6
	v_lshlrev_b32_e32 v5, 16, v2
	v_and_b32_e32 v2, 0xffff0000, v2
	v_max3_f32 v6, v6, v7, v4
	v_and_b32_e32 v8, 0xffff0000, v3
	v_lshlrev_b32_e32 v3, 16, v3
	v_max3_f32 v6, v6, v5, v2
	v_max3_f32 v6, v6, v3, v8
	ds_bpermute_b32 v9, v18, v6
	s_waitcnt lgkmcnt(0)
	v_max_f32_e32 v9, v9, v9
	v_max_f32_e32 v6, v6, v9
	v_pk_add_f32 v[0:1], v[0:1], v[6:7] op_sel_hi:[1,0] neg_lo:[0,1] neg_hi:[0,1]
	v_mul_f32_e32 v9, 0x3fb8aa3b, v1
	v_sub_f32_e32 v7, v7, v6
	v_mul_f32_e32 v11, 0x3fb8aa3b, v0
	v_fma_f32 v15, v1, s0, -v9
	v_rndne_f32_e32 v19, v9
	v_pk_add_f32 v[4:5], v[4:5], v[6:7] op_sel_hi:[1,0] neg_lo:[0,1] neg_hi:[0,1]
	v_mul_f32_e32 v12, 0x3fb8aa3b, v7
	v_fma_f32 v20, v0, s0, -v11
	v_rndne_f32_e32 v21, v11
	v_fmac_f32_e32 v15, 0x32a5705f, v1
	v_sub_f32_e32 v9, v9, v19
	v_mul_f32_e32 v13, 0x3fb8aa3b, v5
	v_fma_f32 v22, v7, s0, -v12
	v_rndne_f32_e32 v23, v12
	v_fmac_f32_e32 v20, 0x32a5705f, v0
	v_sub_f32_e32 v11, v11, v21
	v_add_f32_e32 v9, v9, v15
	v_mul_f32_e32 v14, 0x3fb8aa3b, v4
	v_fma_f32 v24, v5, s0, -v13
	v_rndne_f32_e32 v25, v13
	v_cvt_i32_f32_e32 v19, v19
	v_fmac_f32_e32 v22, 0x32a5705f, v7
	v_sub_f32_e32 v12, v12, v23
	v_add_f32_e32 v11, v11, v20
	v_exp_f32_e32 v9, v9
	v_fma_f32 v26, v4, s0, -v14
	v_rndne_f32_e32 v27, v14
	v_cvt_i32_f32_e32 v21, v21
	v_fmac_f32_e32 v24, 0x32a5705f, v5
	v_sub_f32_e32 v13, v13, v25
	v_add_f32_e32 v12, v12, v22
	v_exp_f32_e32 v11, v11
	v_cvt_i32_f32_e32 v23, v23
	v_fmac_f32_e32 v26, 0x32a5705f, v4
	v_sub_f32_e32 v14, v14, v27
	v_add_f32_e32 v13, v13, v24
	v_exp_f32_e32 v12, v12
	v_cvt_i32_f32_e32 v25, v25
	v_add_f32_e32 v14, v14, v26
	v_exp_f32_e32 v13, v13
	v_cvt_i32_f32_e32 v27, v27
	v_exp_f32_e32 v14, v14
	v_ldexp_f32 v9, v9, v19
	v_cmp_ngt_f32_e32 vcc, s1, v1
	v_ldexp_f32 v11, v11, v21
	v_cndmask_b32_e32 v9, 0, v9, vcc
	v_cmp_ngt_f32_e32 vcc, s1, v0
	v_ldexp_f32 v12, v12, v23
	v_cndmask_b32_e32 v11, 0, v11, vcc
	;; [unrolled: 3-line block ×4, first 2 shown]
	v_cmp_ngt_f32_e32 vcc, s1, v4
	v_cndmask_b32_e32 v14, 0, v14, vcc
	v_cmp_nlt_f32_e32 vcc, s2, v1
	v_cndmask_b32_e32 v9, v10, v9, vcc
	v_cmp_nlt_f32_e32 vcc, s2, v0
	;; [unrolled: 2-line block ×3, first 2 shown]
	v_cndmask_b32_e32 v7, v10, v12, vcc
	v_add_f32_e32 v0, v11, v9
	v_pk_add_f32 v[2:3], v[2:3], v[6:7] op_sel_hi:[1,0] neg_lo:[0,1] neg_hi:[0,1]
	v_cmp_nlt_f32_e32 vcc, s2, v5
	v_add_f32_e32 v5, v0, v7
	v_mul_f32_e32 v0, 0x3fb8aa3b, v3
	v_cndmask_b32_e32 v1, v10, v13, vcc
	v_fma_f32 v12, v3, s0, -v0
	v_rndne_f32_e32 v13, v0
	v_fmac_f32_e32 v12, 0x32a5705f, v3
	v_sub_f32_e32 v0, v0, v13
	v_add_f32_e32 v0, v0, v12
	v_exp_f32_e32 v12, v0
	v_cvt_i32_f32_e32 v13, v13
	v_cmp_nlt_f32_e32 vcc, s2, v4
	v_cndmask_b32_e32 v0, v10, v14, vcc
	v_add_f32_e32 v4, v5, v0
	v_ldexp_f32 v5, v12, v13
	v_mul_f32_e32 v12, 0x3fb8aa3b, v2
	v_fma_f32 v13, v2, s0, -v12
	v_rndne_f32_e32 v14, v12
	v_fmac_f32_e32 v13, 0x32a5705f, v2
	v_sub_f32_e32 v12, v12, v14
	v_add_f32_e32 v12, v12, v13
	v_exp_f32_e32 v12, v12
	v_cvt_i32_f32_e32 v13, v14
	v_cmp_ngt_f32_e32 vcc, s1, v3
	v_sub_f32_e32 v6, v8, v6
	v_cndmask_b32_e32 v5, 0, v5, vcc
	v_cmp_nlt_f32_e32 vcc, s2, v3
	v_mul_f32_e32 v8, 0x3fb8aa3b, v6
	v_cndmask_b32_e32 v3, v10, v5, vcc
	v_ldexp_f32 v5, v12, v13
	v_fma_f32 v12, v6, s0, -v8
	v_rndne_f32_e32 v13, v8
	v_fmac_f32_e32 v12, 0x32a5705f, v6
	v_sub_f32_e32 v8, v8, v13
	v_add_f32_e32 v8, v8, v12
	v_exp_f32_e32 v8, v8
	v_cvt_i32_f32_e32 v12, v13
	v_cmp_ngt_f32_e32 vcc, s1, v2
	v_cndmask_b32_e32 v5, 0, v5, vcc
	v_cmp_nlt_f32_e32 vcc, s2, v2
	v_add_f32_e32 v4, v4, v1
	v_cndmask_b32_e32 v2, v10, v5, vcc
	v_ldexp_f32 v5, v8, v12
	v_cmp_ngt_f32_e32 vcc, s1, v6
	v_add_f32_e32 v4, v4, v2
	v_cndmask_b32_e32 v5, 0, v5, vcc
	v_cmp_nlt_f32_e32 vcc, s2, v6
	v_add_f32_e32 v4, v4, v3
	v_cndmask_b32_e32 v5, v10, v5, vcc
	v_add_f32_e32 v4, v4, v5
	ds_bpermute_b32 v6, v18, v4
	s_movk_i32 s2, 0x1f8
	v_lshlrev_b32_e32 v19, 3, v17
	s_waitcnt lgkmcnt(0)
	v_add_f32_e32 v4, v4, v6
	v_div_scale_f32 v6, s[0:1], v4, v4, 1.0
	v_rcp_f32_e32 v8, v6
	s_load_dwordx2 s[0:1], s[4:5], 0x40
	v_fma_f32 v10, -v6, v8, 1.0
	v_fmac_f32_e32 v8, v10, v8
	v_div_scale_f32 v10, vcc, 1.0, v4, 1.0
	v_mul_f32_e32 v12, v10, v8
	v_fma_f32 v13, -v6, v12, v10
	v_fmac_f32_e32 v12, v13, v8
	v_fma_f32 v6, -v6, v12, v10
	v_div_fmas_f32 v6, v6, v8, v12
	v_div_fixup_f32 v4, v6, v4, 1.0
	v_mul_f32_e32 v10, v4, v11
	v_mul_f32_e32 v11, v4, v9
	v_cmp_class_f32_e64 vcc, v10, s2
	v_mul_f32_e32 v12, v4, v7
	v_pk_mul_f32 v[6:7], v[4:5], v[0:1] op_sel_hi:[0,1]
	v_cndmask_b32_e32 v0, 0, v10, vcc
	v_cmp_class_f32_e64 vcc, v11, s2
	v_pk_mul_f32 v[8:9], v[4:5], v[2:3] op_sel_hi:[0,1]
	v_mul_f32_e32 v13, v4, v5
	v_cndmask_b32_e32 v1, 0, v11, vcc
	v_cmp_class_f32_e64 vcc, v12, s2
	v_mov_b32_e32 v5, 0x207
	v_cndmask_b32_e32 v2, 0, v12, vcc
	v_cmp_class_f32_e32 vcc, v7, v5
	v_cndmask_b32_e64 v4, v7, 0, vcc
	v_cmp_class_f32_e32 vcc, v6, v5
	v_cndmask_b32_e64 v3, v6, 0, vcc
	v_cmp_class_f32_e32 vcc, v9, v5
	v_cndmask_b32_e64 v6, v9, 0, vcc
	v_cmp_class_f32_e32 vcc, v8, v5
	v_cndmask_b32_e64 v5, v8, 0, vcc
	v_cmp_class_f32_e64 vcc, v13, s2
	s_waitcnt lgkmcnt(0)
	s_cmp_eq_u64 s[0:1], 0
	v_cndmask_b32_e32 v7, 0, v13, vcc
	s_cbranch_scc1 .LBB176_19
; %bb.4:
	v_lshlrev_b32_e32 v20, 2, v19
	global_load_dwordx4 v[8:11], v20, s[0:1]
	global_load_dwordx4 v[12:15], v20, s[0:1] offset:16
	s_waitcnt vmcnt(1)
	v_pk_add_f32 v[8:9], v[8:9], v[0:1]
	v_pk_add_f32 v[10:11], v[10:11], v[2:3]
	s_waitcnt vmcnt(0)
	v_pk_add_f32 v[12:13], v[12:13], v[4:5]
	v_pk_add_f32 v[14:15], v[14:15], v[6:7]
	s_cbranch_execnz .LBB176_6
.LBB176_5:
	v_pk_mov_b32 v[14:15], v[6:7], v[6:7] op_sel:[0,1]
	v_pk_mov_b32 v[12:13], v[4:5], v[4:5] op_sel:[0,1]
	;; [unrolled: 1-line block ×4, first 2 shown]
.LBB176_6:
	s_load_dwordx4 s[8:11], s[4:5], 0x30
	s_mov_b32 s25, 0
	v_cmp_eq_u32_e64 s[0:1], 0, v17
	s_waitcnt lgkmcnt(0)
	s_bitcmp1_b32 s11, 0
	s_cselect_b64 vcc, -1, 0
	s_cmp_gt_i32 s8, 0
	s_cselect_b64 s[18:19], -1, 0
	s_cmp_lt_i32 s8, 1
	s_cbranch_scc1 .LBB176_20
; %bb.7:
	s_load_dwordx4 s[12:15], s[4:5], 0x20
	v_mul_lo_u32 v21, v16, s8
	v_mov_b32_e32 v20, 0
	v_mov_b32_e32 v22, 0xc61c4000
	;; [unrolled: 1-line block ×3, first 2 shown]
	s_branch .LBB176_10
.LBB176_8:                              ;   in Loop: Header=BB176_10 Depth=1
	s_or_b64 exec, exec, s[4:5]
.LBB176_9:                              ;   in Loop: Header=BB176_10 Depth=1
	s_cmp_eq_u32 s8, s25
	v_add_u32_e32 v23, s24, v23
	s_cbranch_scc1 .LBB176_21
.LBB176_10:                             ; =>This Inner Loop Header: Depth=1
	v_cmp_gt_f32_e64 s[2:3], v9, v8
	v_cndmask_b32_e64 v24, v8, v9, s[2:3]
	v_cndmask_b32_e64 v25, v0, v1, s[2:3]
	v_cndmask_b32_e64 v26, 0, 1, s[2:3]
	v_cmp_gt_f32_e64 s[2:3], v10, v24
	v_cndmask_b32_e64 v24, v24, v10, s[2:3]
	v_cndmask_b32_e64 v25, v25, v2, s[2:3]
	v_cndmask_b32_e64 v26, v26, 2, s[2:3]
	;; [unrolled: 4-line block ×7, first 2 shown]
	v_or_b32_e32 v24, v19, v24
	ds_bpermute_b32 v29, v18, v28
	ds_bpermute_b32 v27, v18, v25
	;; [unrolled: 1-line block ×3, first 2 shown]
	s_waitcnt lgkmcnt(0)
	v_cmp_lt_f32_e64 s[20:21], v28, v29
	v_cmp_nlt_f32_e64 s[2:3], v28, v29
	s_and_saveexec_b64 s[22:23], s[2:3]
	s_cbranch_execnz .LBB176_14
; %bb.11:                               ;   in Loop: Header=BB176_10 Depth=1
	s_or_b64 exec, exec, s[22:23]
	s_and_saveexec_b64 s[2:3], s[20:21]
	s_cbranch_execnz .LBB176_15
.LBB176_12:                             ;   in Loop: Header=BB176_10 Depth=1
	s_or_b64 exec, exec, s[2:3]
	s_and_saveexec_b64 s[20:21], s[0:1]
	s_cbranch_execnz .LBB176_16
.LBB176_13:                             ;   in Loop: Header=BB176_10 Depth=1
	s_or_b64 exec, exec, s[20:21]
	s_add_i32 s25, s25, 1
	s_cmp_ge_i32 s25, s8
	s_cbranch_scc1 .LBB176_9
	s_branch .LBB176_17
.LBB176_14:                             ;   in Loop: Header=BB176_10 Depth=1
	v_cmp_eq_f32_e64 s[2:3], v28, v29
	v_cmp_lt_i32_e64 s[4:5], v26, v24
	s_and_b64 s[2:3], s[2:3], s[4:5]
	s_andn2_b64 s[4:5], s[20:21], exec
	s_and_b64 s[2:3], s[2:3], exec
	s_or_b64 s[20:21], s[4:5], s[2:3]
	s_or_b64 exec, exec, s[22:23]
	s_and_saveexec_b64 s[2:3], s[20:21]
	s_cbranch_execz .LBB176_12
.LBB176_15:                             ;   in Loop: Header=BB176_10 Depth=1
	v_mov_b32_e32 v25, v27
	v_mov_b32_e32 v24, v26
	s_or_b64 exec, exec, s[2:3]
	s_and_saveexec_b64 s[20:21], s[0:1]
	s_cbranch_execz .LBB176_13
.LBB176_16:                             ;   in Loop: Header=BB176_10 Depth=1
	v_add_u32_e32 v26, s25, v21
	v_ashrrev_i32_e32 v27, 31, v26
	v_cmp_le_i32_e64 s[2:3], s9, v24
	v_cmp_gt_i32_e64 s[4:5], s10, v24
	v_lshlrev_b64 v[28:29], 2, v[26:27]
	s_and_b64 s[4:5], s[2:3], s[4:5]
	v_mov_b32_e32 v31, s7
	v_add_co_u32_e64 v30, s[2:3], s6, v28
	v_addc_co_u32_e64 v31, s[2:3], v31, v29, s[2:3]
	global_store_dword v[30:31], v25, off
	v_subrev_u32_e32 v30, s9, v24
	v_ashrrev_i32_e32 v31, 31, v30
	s_and_b64 s[2:3], s[16:17], s[4:5]
	v_lshlrev_b64 v[26:27], 3, v[26:27]
	v_cndmask_b32_e64 v31, 0, v31, s[2:3]
	v_cndmask_b32_e64 v30, 16, v30, s[2:3]
	v_mov_b32_e32 v32, s13
	v_add_co_u32_e64 v26, s[2:3], s12, v26
	v_addc_co_u32_e64 v27, s[2:3], v32, v27, s[2:3]
	global_store_dwordx2 v[26:27], v[30:31], off
	v_mov_b32_e32 v27, s15
	v_add_co_u32_e64 v26, s[2:3], s14, v28
	v_add_f32_e32 v25, v20, v25
	v_addc_co_u32_e64 v27, s[2:3], v27, v29, s[2:3]
	v_cndmask_b32_e32 v20, v20, v25, vcc
	global_store_dword v[26:27], v23, off
	s_or_b64 exec, exec, s[20:21]
	s_add_i32 s25, s25, 1
	s_cmp_ge_i32 s25, s8
	s_cbranch_scc1 .LBB176_9
.LBB176_17:                             ;   in Loop: Header=BB176_10 Depth=1
	v_ashrrev_i32_e32 v26, 31, v24
	v_lshrrev_b32_e32 v25, 29, v26
	v_add_u32_e32 v27, v24, v25
	v_ashrrev_i32_e32 v25, 3, v27
	v_lshrrev_b32_e32 v27, 31, v27
	v_add_u32_e32 v27, v25, v27
	v_and_b32_e32 v27, -2, v27
	v_sub_u32_e32 v27, v25, v27
	v_cmp_eq_u32_e64 s[2:3], v17, v27
	s_and_saveexec_b64 s[4:5], s[2:3]
	s_cbranch_execz .LBB176_8
; %bb.18:                               ;   in Loop: Header=BB176_10 Depth=1
	v_lshrrev_b32_e32 v26, 28, v26
	v_add_u32_e32 v26, v24, v26
	v_lshlrev_b32_e32 v25, 3, v25
	v_ashrrev_i32_e32 v26, 4, v26
	v_sub_u32_e32 v24, v24, v25
	v_lshl_add_u32 v24, v26, 3, v24
	v_cmp_ne_u32_e64 s[2:3], 7, v24
	v_cndmask_b32_e64 v15, v22, v15, s[2:3]
	v_cmp_ne_u32_e64 s[2:3], 6, v24
	v_cndmask_b32_e64 v14, v22, v14, s[2:3]
	;; [unrolled: 2-line block ×8, first 2 shown]
	s_branch .LBB176_8
.LBB176_19:
                                        ; implicit-def: $vgpr8_vgpr9_vgpr10_vgpr11_vgpr12_vgpr13_vgpr14_vgpr15
	s_andn2_b64 vcc, exec, s[8:9]
	s_cbranch_vccz .LBB176_5
	s_branch .LBB176_6
.LBB176_20:
	v_mov_b32_e32 v20, 0
.LBB176_21:
	v_cmp_eq_u32_e64 s[0:1], 0, v17
	s_and_b64 s[0:1], s[0:1], vcc
	s_and_b64 exec, exec, s[0:1]
	s_cbranch_execz .LBB176_30
; %bb.22:
	s_andn2_b64 vcc, exec, s[18:19]
	s_cbranch_vccnz .LBB176_30
; %bb.23:
	v_cmp_lt_f32_e32 vcc, 0, v20
	s_mov_b32 s2, 0
	v_cndmask_b32_e32 v0, 1.0, v20, vcc
	v_mul_lo_u32 v4, v16, s8
	s_cmp_eq_u32 s8, 1
	s_mov_b64 s[0:1], -1
	s_cbranch_scc1 .LBB176_27
; %bb.24:
	s_and_b32 s2, s8, 0x7ffffffe
	v_mov_b32_e32 v1, v0
	v_mov_b32_e32 v5, s7
	s_mov_b32 s3, s2
	v_mov_b32_e32 v2, v4
.LBB176_25:                             ; =>This Inner Loop Header: Depth=1
	v_ashrrev_i32_e32 v3, 31, v2
	v_lshlrev_b64 v[6:7], 2, v[2:3]
	v_add_co_u32_e32 v6, vcc, s6, v6
	v_addc_co_u32_e32 v7, vcc, v5, v7, vcc
	global_load_dwordx2 v[8:9], v[6:7], off
	s_add_i32 s3, s3, -2
	s_cmp_lg_u32 s3, 0
	v_add_u32_e32 v2, 2, v2
	s_waitcnt vmcnt(0)
	v_div_scale_f32 v3, s[0:1], v1, v1, v9
	v_div_scale_f32 v11, s[0:1], v0, v0, v8
	v_rcp_f32_e32 v12, v3
	v_rcp_f32_e32 v13, v11
	v_div_scale_f32 v10, vcc, v9, v1, v9
	v_fma_f32 v15, -v3, v12, 1.0
	v_fma_f32 v16, -v11, v13, 1.0
	v_fmac_f32_e32 v12, v15, v12
	v_div_scale_f32 v14, s[0:1], v8, v0, v8
	v_fmac_f32_e32 v13, v16, v13
	v_mul_f32_e32 v15, v10, v12
	v_mul_f32_e32 v16, v14, v13
	v_fma_f32 v17, -v3, v15, v10
	v_fma_f32 v18, -v11, v16, v14
	v_fmac_f32_e32 v15, v17, v12
	v_fmac_f32_e32 v16, v18, v13
	v_fma_f32 v3, -v3, v15, v10
	v_fma_f32 v10, -v11, v16, v14
	v_div_fmas_f32 v3, v3, v12, v15
	s_mov_b64 vcc, s[0:1]
	v_div_fixup_f32 v9, v3, v1, v9
	v_div_fmas_f32 v3, v10, v13, v16
	v_div_fixup_f32 v8, v3, v0, v8
	global_store_dwordx2 v[6:7], v[8:9], off
	s_cbranch_scc1 .LBB176_25
; %bb.26:
	s_cmp_lg_u32 s2, s8
	s_cselect_b64 s[0:1], -1, 0
.LBB176_27:
	s_and_b64 vcc, exec, s[0:1]
	s_cbranch_vccz .LBB176_30
; %bb.28:
	v_ashrrev_i32_e32 v1, 31, v4
	v_add_co_u32_e32 v2, vcc, s2, v4
	v_addc_co_u32_e32 v3, vcc, 0, v1, vcc
	v_lshlrev_b64 v[2:3], 2, v[2:3]
	v_mov_b32_e32 v1, s7
	v_add_co_u32_e32 v2, vcc, s6, v2
	s_sub_i32 s0, s8, s2
	v_addc_co_u32_e32 v3, vcc, v1, v3, vcc
.LBB176_29:                             ; =>This Inner Loop Header: Depth=1
	global_load_dword v1, v[2:3], off
	s_add_i32 s0, s0, -1
	s_cmp_lg_u32 s0, 0
	s_waitcnt vmcnt(0)
	v_div_scale_f32 v4, s[2:3], v0, v0, v1
	v_rcp_f32_e32 v5, v4
	v_div_scale_f32 v6, vcc, v1, v0, v1
	v_fma_f32 v7, -v4, v5, 1.0
	v_fmac_f32_e32 v5, v7, v5
	v_mul_f32_e32 v7, v6, v5
	v_fma_f32 v8, -v4, v7, v6
	v_fmac_f32_e32 v7, v8, v5
	v_fma_f32 v4, -v4, v7, v6
	v_div_fmas_f32 v4, v4, v5, v7
	v_div_fixup_f32 v1, v4, v0, v1
	global_store_dword v[2:3], v1, off
	v_add_co_u32_e32 v2, vcc, 4, v2
	v_addc_co_u32_e32 v3, vcc, 0, v3, vcc
	s_cbranch_scc1 .LBB176_29
.LBB176_30:
	s_endpgm
	.section	.rodata,"a",@progbits
	.p2align	6, 0x0
	.amdhsa_kernel _ZN4vllm3moe10topkGatingILi8ELi16ELi4ELi16ELi64El14__hip_bfloat16LNS0_11ScoringFuncE0EEEvPKT5_PKbPfiPT4_PiiiibPKf
		.amdhsa_group_segment_fixed_size 0
		.amdhsa_private_segment_fixed_size 0
		.amdhsa_kernarg_size 72
		.amdhsa_user_sgpr_count 6
		.amdhsa_user_sgpr_private_segment_buffer 1
		.amdhsa_user_sgpr_dispatch_ptr 0
		.amdhsa_user_sgpr_queue_ptr 0
		.amdhsa_user_sgpr_kernarg_segment_ptr 1
		.amdhsa_user_sgpr_dispatch_id 0
		.amdhsa_user_sgpr_flat_scratch_init 0
		.amdhsa_user_sgpr_kernarg_preload_length 0
		.amdhsa_user_sgpr_kernarg_preload_offset 0
		.amdhsa_user_sgpr_private_segment_size 0
		.amdhsa_uses_dynamic_stack 0
		.amdhsa_system_sgpr_private_segment_wavefront_offset 0
		.amdhsa_system_sgpr_workgroup_id_x 1
		.amdhsa_system_sgpr_workgroup_id_y 0
		.amdhsa_system_sgpr_workgroup_id_z 0
		.amdhsa_system_sgpr_workgroup_info 0
		.amdhsa_system_vgpr_workitem_id 1
		.amdhsa_next_free_vgpr 33
		.amdhsa_next_free_sgpr 26
		.amdhsa_accum_offset 36
		.amdhsa_reserve_vcc 1
		.amdhsa_reserve_flat_scratch 0
		.amdhsa_float_round_mode_32 0
		.amdhsa_float_round_mode_16_64 0
		.amdhsa_float_denorm_mode_32 3
		.amdhsa_float_denorm_mode_16_64 3
		.amdhsa_dx10_clamp 1
		.amdhsa_ieee_mode 1
		.amdhsa_fp16_overflow 0
		.amdhsa_tg_split 0
		.amdhsa_exception_fp_ieee_invalid_op 0
		.amdhsa_exception_fp_denorm_src 0
		.amdhsa_exception_fp_ieee_div_zero 0
		.amdhsa_exception_fp_ieee_overflow 0
		.amdhsa_exception_fp_ieee_underflow 0
		.amdhsa_exception_fp_ieee_inexact 0
		.amdhsa_exception_int_div_zero 0
	.end_amdhsa_kernel
	.section	.text._ZN4vllm3moe10topkGatingILi8ELi16ELi4ELi16ELi64El14__hip_bfloat16LNS0_11ScoringFuncE0EEEvPKT5_PKbPfiPT4_PiiiibPKf,"axG",@progbits,_ZN4vllm3moe10topkGatingILi8ELi16ELi4ELi16ELi64El14__hip_bfloat16LNS0_11ScoringFuncE0EEEvPKT5_PKbPfiPT4_PiiiibPKf,comdat
.Lfunc_end176:
	.size	_ZN4vllm3moe10topkGatingILi8ELi16ELi4ELi16ELi64El14__hip_bfloat16LNS0_11ScoringFuncE0EEEvPKT5_PKbPfiPT4_PiiiibPKf, .Lfunc_end176-_ZN4vllm3moe10topkGatingILi8ELi16ELi4ELi16ELi64El14__hip_bfloat16LNS0_11ScoringFuncE0EEEvPKT5_PKbPfiPT4_PiiiibPKf
                                        ; -- End function
	.section	.AMDGPU.csdata,"",@progbits
; Kernel info:
; codeLenInByte = 2676
; NumSgprs: 30
; NumVgprs: 33
; NumAgprs: 0
; TotalNumVgprs: 33
; ScratchSize: 0
; MemoryBound: 0
; FloatMode: 240
; IeeeMode: 1
; LDSByteSize: 0 bytes/workgroup (compile time only)
; SGPRBlocks: 3
; VGPRBlocks: 4
; NumSGPRsForWavesPerEU: 30
; NumVGPRsForWavesPerEU: 33
; AccumOffset: 36
; Occupancy: 8
; WaveLimiterHint : 0
; COMPUTE_PGM_RSRC2:SCRATCH_EN: 0
; COMPUTE_PGM_RSRC2:USER_SGPR: 6
; COMPUTE_PGM_RSRC2:TRAP_HANDLER: 0
; COMPUTE_PGM_RSRC2:TGID_X_EN: 1
; COMPUTE_PGM_RSRC2:TGID_Y_EN: 0
; COMPUTE_PGM_RSRC2:TGID_Z_EN: 0
; COMPUTE_PGM_RSRC2:TIDIG_COMP_CNT: 1
; COMPUTE_PGM_RSRC3_GFX90A:ACCUM_OFFSET: 8
; COMPUTE_PGM_RSRC3_GFX90A:TG_SPLIT: 0
	.section	.text._ZN4vllm3moe10topkGatingILi8ELi16ELi4ELi16ELi32El14__hip_bfloat16LNS0_11ScoringFuncE0EEEvPKT5_PKbPfiPT4_PiiiibPKf,"axG",@progbits,_ZN4vllm3moe10topkGatingILi8ELi16ELi4ELi16ELi32El14__hip_bfloat16LNS0_11ScoringFuncE0EEEvPKT5_PKbPfiPT4_PiiiibPKf,comdat
	.protected	_ZN4vllm3moe10topkGatingILi8ELi16ELi4ELi16ELi32El14__hip_bfloat16LNS0_11ScoringFuncE0EEEvPKT5_PKbPfiPT4_PiiiibPKf ; -- Begin function _ZN4vllm3moe10topkGatingILi8ELi16ELi4ELi16ELi32El14__hip_bfloat16LNS0_11ScoringFuncE0EEEvPKT5_PKbPfiPT4_PiiiibPKf
	.globl	_ZN4vllm3moe10topkGatingILi8ELi16ELi4ELi16ELi32El14__hip_bfloat16LNS0_11ScoringFuncE0EEEvPKT5_PKbPfiPT4_PiiiibPKf
	.p2align	8
	.type	_ZN4vllm3moe10topkGatingILi8ELi16ELi4ELi16ELi32El14__hip_bfloat16LNS0_11ScoringFuncE0EEEvPKT5_PKbPfiPT4_PiiiibPKf,@function
_ZN4vllm3moe10topkGatingILi8ELi16ELi4ELi16ELi32El14__hip_bfloat16LNS0_11ScoringFuncE0EEEvPKT5_PKbPfiPT4_PiiiibPKf: ; @_ZN4vllm3moe10topkGatingILi8ELi16ELi4ELi16ELi32El14__hip_bfloat16LNS0_11ScoringFuncE0EEEvPKT5_PKbPfiPT4_PiiiibPKf
; %bb.0:
	s_load_dword s24, s[4:5], 0x18
	v_bfe_u32 v1, v0, 10, 10
	v_and_b32_e32 v0, 0x3ff, v0
	s_lshl_b32 s0, s6, 6
	v_lshlrev_b32_e32 v1, 4, v1
	v_lshrrev_b32_e32 v2, 1, v0
	v_add3_u32 v16, s0, v1, v2
	s_waitcnt lgkmcnt(0)
	v_cmp_gt_i32_e32 vcc, s24, v16
	s_and_saveexec_b64 s[0:1], vcc
	s_cbranch_execz .LBB177_30
; %bb.1:
	s_load_dwordx4 s[0:3], s[4:5], 0x0
	s_load_dwordx2 s[6:7], s[4:5], 0x10
	s_mov_b64 s[8:9], -1
	s_mov_b64 s[16:17], -1
	s_waitcnt lgkmcnt(0)
	s_cmp_eq_u64 s[2:3], 0
	s_cbranch_scc1 .LBB177_3
; %bb.2:
	v_ashrrev_i32_e32 v1, 31, v16
	v_mov_b32_e32 v3, s3
	v_add_co_u32_e32 v2, vcc, s2, v16
	v_addc_co_u32_e32 v3, vcc, v3, v1, vcc
	global_load_ubyte v1, v[2:3], off
	s_waitcnt vmcnt(0)
	v_and_b32_e32 v1, 1, v1
	v_cmp_eq_u32_e32 vcc, 1, v1
	s_xor_b64 s[2:3], vcc, -1
	s_orn2_b64 s[16:17], s[2:3], exec
.LBB177_3:
	v_lshlrev_b32_e32 v2, 4, v16
	v_ashrrev_i32_e32 v3, 31, v2
	v_lshlrev_b64 v[2:3], 1, v[2:3]
	v_mov_b32_e32 v1, s1
	v_add_co_u32_e32 v2, vcc, s0, v2
	v_and_b32_e32 v17, 1, v0
	v_addc_co_u32_e32 v1, vcc, v1, v3, vcc
	v_lshlrev_b32_e32 v0, 4, v17
	v_add_co_u32_e32 v0, vcc, v2, v0
	v_addc_co_u32_e32 v1, vcc, 0, v1, vcc
	global_load_dwordx4 v[0:3], v[0:1], off
	v_mbcnt_lo_u32_b32 v4, -1, 0
	v_mbcnt_hi_u32_b32 v4, -1, v4
	v_and_b32_e32 v6, 0x7e, v4
	v_xor_b32_e32 v5, 1, v4
	v_add_u32_e32 v6, 2, v6
	v_cmp_lt_i32_e32 vcc, v5, v6
	v_cndmask_b32_e32 v4, v4, v5, vcc
	v_lshlrev_b32_e32 v18, 2, v4
	s_mov_b32 s0, 0x3fb8aa3b
	s_mov_b32 s1, 0xc2ce8ed0
	;; [unrolled: 1-line block ×3, first 2 shown]
	v_mov_b32_e32 v10, 0x7f800000
	s_waitcnt vmcnt(0)
	v_lshlrev_b32_e32 v7, 16, v1
	v_and_b32_e32 v4, 0xffff0000, v1
	v_and_b32_e32 v1, 0xffff0000, v0
	v_lshlrev_b32_e32 v0, 16, v0
	v_max_f32_e32 v6, v1, v1
	v_max_f32_e32 v9, v0, v0
	;; [unrolled: 1-line block ×3, first 2 shown]
	v_lshlrev_b32_e32 v5, 16, v2
	v_and_b32_e32 v2, 0xffff0000, v2
	v_max3_f32 v6, v6, v7, v4
	v_and_b32_e32 v8, 0xffff0000, v3
	v_lshlrev_b32_e32 v3, 16, v3
	v_max3_f32 v6, v6, v5, v2
	v_max3_f32 v6, v6, v3, v8
	ds_bpermute_b32 v9, v18, v6
	s_waitcnt lgkmcnt(0)
	v_max_f32_e32 v9, v9, v9
	v_max_f32_e32 v6, v6, v9
	v_pk_add_f32 v[0:1], v[0:1], v[6:7] op_sel_hi:[1,0] neg_lo:[0,1] neg_hi:[0,1]
	v_mul_f32_e32 v9, 0x3fb8aa3b, v1
	v_sub_f32_e32 v7, v7, v6
	v_mul_f32_e32 v11, 0x3fb8aa3b, v0
	v_fma_f32 v15, v1, s0, -v9
	v_rndne_f32_e32 v19, v9
	v_pk_add_f32 v[4:5], v[4:5], v[6:7] op_sel_hi:[1,0] neg_lo:[0,1] neg_hi:[0,1]
	v_mul_f32_e32 v12, 0x3fb8aa3b, v7
	v_fma_f32 v20, v0, s0, -v11
	v_rndne_f32_e32 v21, v11
	v_fmac_f32_e32 v15, 0x32a5705f, v1
	v_sub_f32_e32 v9, v9, v19
	v_mul_f32_e32 v13, 0x3fb8aa3b, v5
	v_fma_f32 v22, v7, s0, -v12
	v_rndne_f32_e32 v23, v12
	v_fmac_f32_e32 v20, 0x32a5705f, v0
	v_sub_f32_e32 v11, v11, v21
	v_add_f32_e32 v9, v9, v15
	v_mul_f32_e32 v14, 0x3fb8aa3b, v4
	v_fma_f32 v24, v5, s0, -v13
	v_rndne_f32_e32 v25, v13
	v_cvt_i32_f32_e32 v19, v19
	v_fmac_f32_e32 v22, 0x32a5705f, v7
	v_sub_f32_e32 v12, v12, v23
	v_add_f32_e32 v11, v11, v20
	v_exp_f32_e32 v9, v9
	v_fma_f32 v26, v4, s0, -v14
	v_rndne_f32_e32 v27, v14
	v_cvt_i32_f32_e32 v21, v21
	v_fmac_f32_e32 v24, 0x32a5705f, v5
	v_sub_f32_e32 v13, v13, v25
	v_add_f32_e32 v12, v12, v22
	v_exp_f32_e32 v11, v11
	v_cvt_i32_f32_e32 v23, v23
	v_fmac_f32_e32 v26, 0x32a5705f, v4
	v_sub_f32_e32 v14, v14, v27
	v_add_f32_e32 v13, v13, v24
	v_exp_f32_e32 v12, v12
	v_cvt_i32_f32_e32 v25, v25
	v_add_f32_e32 v14, v14, v26
	v_exp_f32_e32 v13, v13
	v_cvt_i32_f32_e32 v27, v27
	v_exp_f32_e32 v14, v14
	v_ldexp_f32 v9, v9, v19
	v_cmp_ngt_f32_e32 vcc, s1, v1
	v_ldexp_f32 v11, v11, v21
	v_cndmask_b32_e32 v9, 0, v9, vcc
	v_cmp_ngt_f32_e32 vcc, s1, v0
	v_ldexp_f32 v12, v12, v23
	v_cndmask_b32_e32 v11, 0, v11, vcc
	;; [unrolled: 3-line block ×4, first 2 shown]
	v_cmp_ngt_f32_e32 vcc, s1, v4
	v_cndmask_b32_e32 v14, 0, v14, vcc
	v_cmp_nlt_f32_e32 vcc, s2, v1
	v_cndmask_b32_e32 v9, v10, v9, vcc
	v_cmp_nlt_f32_e32 vcc, s2, v0
	;; [unrolled: 2-line block ×3, first 2 shown]
	v_cndmask_b32_e32 v7, v10, v12, vcc
	v_add_f32_e32 v0, v11, v9
	v_pk_add_f32 v[2:3], v[2:3], v[6:7] op_sel_hi:[1,0] neg_lo:[0,1] neg_hi:[0,1]
	v_cmp_nlt_f32_e32 vcc, s2, v5
	v_add_f32_e32 v5, v0, v7
	v_mul_f32_e32 v0, 0x3fb8aa3b, v3
	v_cndmask_b32_e32 v1, v10, v13, vcc
	v_fma_f32 v12, v3, s0, -v0
	v_rndne_f32_e32 v13, v0
	v_fmac_f32_e32 v12, 0x32a5705f, v3
	v_sub_f32_e32 v0, v0, v13
	v_add_f32_e32 v0, v0, v12
	v_exp_f32_e32 v12, v0
	v_cvt_i32_f32_e32 v13, v13
	v_cmp_nlt_f32_e32 vcc, s2, v4
	v_cndmask_b32_e32 v0, v10, v14, vcc
	v_add_f32_e32 v4, v5, v0
	v_ldexp_f32 v5, v12, v13
	v_mul_f32_e32 v12, 0x3fb8aa3b, v2
	v_fma_f32 v13, v2, s0, -v12
	v_rndne_f32_e32 v14, v12
	v_fmac_f32_e32 v13, 0x32a5705f, v2
	v_sub_f32_e32 v12, v12, v14
	v_add_f32_e32 v12, v12, v13
	v_exp_f32_e32 v12, v12
	v_cvt_i32_f32_e32 v13, v14
	v_cmp_ngt_f32_e32 vcc, s1, v3
	v_sub_f32_e32 v6, v8, v6
	v_cndmask_b32_e32 v5, 0, v5, vcc
	v_cmp_nlt_f32_e32 vcc, s2, v3
	v_mul_f32_e32 v8, 0x3fb8aa3b, v6
	v_cndmask_b32_e32 v3, v10, v5, vcc
	v_ldexp_f32 v5, v12, v13
	v_fma_f32 v12, v6, s0, -v8
	v_rndne_f32_e32 v13, v8
	v_fmac_f32_e32 v12, 0x32a5705f, v6
	v_sub_f32_e32 v8, v8, v13
	v_add_f32_e32 v8, v8, v12
	v_exp_f32_e32 v8, v8
	v_cvt_i32_f32_e32 v12, v13
	v_cmp_ngt_f32_e32 vcc, s1, v2
	v_cndmask_b32_e32 v5, 0, v5, vcc
	v_cmp_nlt_f32_e32 vcc, s2, v2
	v_add_f32_e32 v4, v4, v1
	v_cndmask_b32_e32 v2, v10, v5, vcc
	v_ldexp_f32 v5, v8, v12
	v_cmp_ngt_f32_e32 vcc, s1, v6
	v_add_f32_e32 v4, v4, v2
	v_cndmask_b32_e32 v5, 0, v5, vcc
	v_cmp_nlt_f32_e32 vcc, s2, v6
	v_add_f32_e32 v4, v4, v3
	v_cndmask_b32_e32 v5, v10, v5, vcc
	v_add_f32_e32 v4, v4, v5
	ds_bpermute_b32 v6, v18, v4
	s_movk_i32 s2, 0x1f8
	v_lshlrev_b32_e32 v19, 3, v17
	s_waitcnt lgkmcnt(0)
	v_add_f32_e32 v4, v4, v6
	v_div_scale_f32 v6, s[0:1], v4, v4, 1.0
	v_rcp_f32_e32 v8, v6
	s_load_dwordx2 s[0:1], s[4:5], 0x40
	v_fma_f32 v10, -v6, v8, 1.0
	v_fmac_f32_e32 v8, v10, v8
	v_div_scale_f32 v10, vcc, 1.0, v4, 1.0
	v_mul_f32_e32 v12, v10, v8
	v_fma_f32 v13, -v6, v12, v10
	v_fmac_f32_e32 v12, v13, v8
	v_fma_f32 v6, -v6, v12, v10
	v_div_fmas_f32 v6, v6, v8, v12
	v_div_fixup_f32 v4, v6, v4, 1.0
	v_mul_f32_e32 v10, v4, v11
	v_mul_f32_e32 v11, v4, v9
	v_cmp_class_f32_e64 vcc, v10, s2
	v_mul_f32_e32 v12, v4, v7
	v_pk_mul_f32 v[6:7], v[4:5], v[0:1] op_sel_hi:[0,1]
	v_cndmask_b32_e32 v0, 0, v10, vcc
	v_cmp_class_f32_e64 vcc, v11, s2
	v_pk_mul_f32 v[8:9], v[4:5], v[2:3] op_sel_hi:[0,1]
	v_mul_f32_e32 v13, v4, v5
	v_cndmask_b32_e32 v1, 0, v11, vcc
	v_cmp_class_f32_e64 vcc, v12, s2
	v_mov_b32_e32 v5, 0x207
	v_cndmask_b32_e32 v2, 0, v12, vcc
	v_cmp_class_f32_e32 vcc, v7, v5
	v_cndmask_b32_e64 v4, v7, 0, vcc
	v_cmp_class_f32_e32 vcc, v6, v5
	v_cndmask_b32_e64 v3, v6, 0, vcc
	v_cmp_class_f32_e32 vcc, v9, v5
	v_cndmask_b32_e64 v6, v9, 0, vcc
	v_cmp_class_f32_e32 vcc, v8, v5
	v_cndmask_b32_e64 v5, v8, 0, vcc
	v_cmp_class_f32_e64 vcc, v13, s2
	s_waitcnt lgkmcnt(0)
	s_cmp_eq_u64 s[0:1], 0
	v_cndmask_b32_e32 v7, 0, v13, vcc
	s_cbranch_scc1 .LBB177_19
; %bb.4:
	v_lshlrev_b32_e32 v20, 2, v19
	global_load_dwordx4 v[8:11], v20, s[0:1]
	global_load_dwordx4 v[12:15], v20, s[0:1] offset:16
	s_waitcnt vmcnt(1)
	v_pk_add_f32 v[8:9], v[8:9], v[0:1]
	v_pk_add_f32 v[10:11], v[10:11], v[2:3]
	s_waitcnt vmcnt(0)
	v_pk_add_f32 v[12:13], v[12:13], v[4:5]
	v_pk_add_f32 v[14:15], v[14:15], v[6:7]
	s_cbranch_execnz .LBB177_6
.LBB177_5:
	v_pk_mov_b32 v[14:15], v[6:7], v[6:7] op_sel:[0,1]
	v_pk_mov_b32 v[12:13], v[4:5], v[4:5] op_sel:[0,1]
	;; [unrolled: 1-line block ×4, first 2 shown]
.LBB177_6:
	s_load_dwordx4 s[8:11], s[4:5], 0x30
	s_mov_b32 s25, 0
	v_cmp_eq_u32_e64 s[0:1], 0, v17
	s_waitcnt lgkmcnt(0)
	s_bitcmp1_b32 s11, 0
	s_cselect_b64 vcc, -1, 0
	s_cmp_gt_i32 s8, 0
	s_cselect_b64 s[18:19], -1, 0
	s_cmp_lt_i32 s8, 1
	s_cbranch_scc1 .LBB177_20
; %bb.7:
	s_load_dwordx4 s[12:15], s[4:5], 0x20
	v_mul_lo_u32 v21, v16, s8
	v_mov_b32_e32 v20, 0
	v_mov_b32_e32 v22, 0xc61c4000
	;; [unrolled: 1-line block ×3, first 2 shown]
	s_branch .LBB177_10
.LBB177_8:                              ;   in Loop: Header=BB177_10 Depth=1
	s_or_b64 exec, exec, s[4:5]
.LBB177_9:                              ;   in Loop: Header=BB177_10 Depth=1
	s_cmp_eq_u32 s8, s25
	v_add_u32_e32 v23, s24, v23
	s_cbranch_scc1 .LBB177_21
.LBB177_10:                             ; =>This Inner Loop Header: Depth=1
	v_cmp_gt_f32_e64 s[2:3], v9, v8
	v_cndmask_b32_e64 v24, v8, v9, s[2:3]
	v_cndmask_b32_e64 v25, v0, v1, s[2:3]
	v_cndmask_b32_e64 v26, 0, 1, s[2:3]
	v_cmp_gt_f32_e64 s[2:3], v10, v24
	v_cndmask_b32_e64 v24, v24, v10, s[2:3]
	v_cndmask_b32_e64 v25, v25, v2, s[2:3]
	v_cndmask_b32_e64 v26, v26, 2, s[2:3]
	;; [unrolled: 4-line block ×7, first 2 shown]
	v_or_b32_e32 v24, v19, v24
	ds_bpermute_b32 v29, v18, v28
	ds_bpermute_b32 v27, v18, v25
	;; [unrolled: 1-line block ×3, first 2 shown]
	s_waitcnt lgkmcnt(0)
	v_cmp_lt_f32_e64 s[20:21], v28, v29
	v_cmp_nlt_f32_e64 s[2:3], v28, v29
	s_and_saveexec_b64 s[22:23], s[2:3]
	s_cbranch_execnz .LBB177_14
; %bb.11:                               ;   in Loop: Header=BB177_10 Depth=1
	s_or_b64 exec, exec, s[22:23]
	s_and_saveexec_b64 s[2:3], s[20:21]
	s_cbranch_execnz .LBB177_15
.LBB177_12:                             ;   in Loop: Header=BB177_10 Depth=1
	s_or_b64 exec, exec, s[2:3]
	s_and_saveexec_b64 s[20:21], s[0:1]
	s_cbranch_execnz .LBB177_16
.LBB177_13:                             ;   in Loop: Header=BB177_10 Depth=1
	s_or_b64 exec, exec, s[20:21]
	s_add_i32 s25, s25, 1
	s_cmp_ge_i32 s25, s8
	s_cbranch_scc1 .LBB177_9
	s_branch .LBB177_17
.LBB177_14:                             ;   in Loop: Header=BB177_10 Depth=1
	v_cmp_eq_f32_e64 s[2:3], v28, v29
	v_cmp_lt_i32_e64 s[4:5], v26, v24
	s_and_b64 s[2:3], s[2:3], s[4:5]
	s_andn2_b64 s[4:5], s[20:21], exec
	s_and_b64 s[2:3], s[2:3], exec
	s_or_b64 s[20:21], s[4:5], s[2:3]
	s_or_b64 exec, exec, s[22:23]
	s_and_saveexec_b64 s[2:3], s[20:21]
	s_cbranch_execz .LBB177_12
.LBB177_15:                             ;   in Loop: Header=BB177_10 Depth=1
	v_mov_b32_e32 v25, v27
	v_mov_b32_e32 v24, v26
	s_or_b64 exec, exec, s[2:3]
	s_and_saveexec_b64 s[20:21], s[0:1]
	s_cbranch_execz .LBB177_13
.LBB177_16:                             ;   in Loop: Header=BB177_10 Depth=1
	v_add_u32_e32 v26, s25, v21
	v_ashrrev_i32_e32 v27, 31, v26
	v_cmp_le_i32_e64 s[2:3], s9, v24
	v_cmp_gt_i32_e64 s[4:5], s10, v24
	v_lshlrev_b64 v[28:29], 2, v[26:27]
	s_and_b64 s[4:5], s[2:3], s[4:5]
	v_mov_b32_e32 v31, s7
	v_add_co_u32_e64 v30, s[2:3], s6, v28
	v_addc_co_u32_e64 v31, s[2:3], v31, v29, s[2:3]
	global_store_dword v[30:31], v25, off
	v_subrev_u32_e32 v30, s9, v24
	v_ashrrev_i32_e32 v31, 31, v30
	s_and_b64 s[2:3], s[16:17], s[4:5]
	v_lshlrev_b64 v[26:27], 3, v[26:27]
	v_cndmask_b32_e64 v31, 0, v31, s[2:3]
	v_cndmask_b32_e64 v30, 16, v30, s[2:3]
	v_mov_b32_e32 v32, s13
	v_add_co_u32_e64 v26, s[2:3], s12, v26
	v_addc_co_u32_e64 v27, s[2:3], v32, v27, s[2:3]
	global_store_dwordx2 v[26:27], v[30:31], off
	v_mov_b32_e32 v27, s15
	v_add_co_u32_e64 v26, s[2:3], s14, v28
	v_add_f32_e32 v25, v20, v25
	v_addc_co_u32_e64 v27, s[2:3], v27, v29, s[2:3]
	v_cndmask_b32_e32 v20, v20, v25, vcc
	global_store_dword v[26:27], v23, off
	s_or_b64 exec, exec, s[20:21]
	s_add_i32 s25, s25, 1
	s_cmp_ge_i32 s25, s8
	s_cbranch_scc1 .LBB177_9
.LBB177_17:                             ;   in Loop: Header=BB177_10 Depth=1
	v_ashrrev_i32_e32 v26, 31, v24
	v_lshrrev_b32_e32 v25, 29, v26
	v_add_u32_e32 v27, v24, v25
	v_ashrrev_i32_e32 v25, 3, v27
	v_lshrrev_b32_e32 v27, 31, v27
	v_add_u32_e32 v27, v25, v27
	v_and_b32_e32 v27, -2, v27
	v_sub_u32_e32 v27, v25, v27
	v_cmp_eq_u32_e64 s[2:3], v17, v27
	s_and_saveexec_b64 s[4:5], s[2:3]
	s_cbranch_execz .LBB177_8
; %bb.18:                               ;   in Loop: Header=BB177_10 Depth=1
	v_lshrrev_b32_e32 v26, 28, v26
	v_add_u32_e32 v26, v24, v26
	v_lshlrev_b32_e32 v25, 3, v25
	v_ashrrev_i32_e32 v26, 4, v26
	v_sub_u32_e32 v24, v24, v25
	v_lshl_add_u32 v24, v26, 3, v24
	v_cmp_ne_u32_e64 s[2:3], 7, v24
	v_cndmask_b32_e64 v15, v22, v15, s[2:3]
	v_cmp_ne_u32_e64 s[2:3], 6, v24
	v_cndmask_b32_e64 v14, v22, v14, s[2:3]
	;; [unrolled: 2-line block ×8, first 2 shown]
	s_branch .LBB177_8
.LBB177_19:
                                        ; implicit-def: $vgpr8_vgpr9_vgpr10_vgpr11_vgpr12_vgpr13_vgpr14_vgpr15
	s_andn2_b64 vcc, exec, s[8:9]
	s_cbranch_vccz .LBB177_5
	s_branch .LBB177_6
.LBB177_20:
	v_mov_b32_e32 v20, 0
.LBB177_21:
	v_cmp_eq_u32_e64 s[0:1], 0, v17
	s_and_b64 s[0:1], s[0:1], vcc
	s_and_b64 exec, exec, s[0:1]
	s_cbranch_execz .LBB177_30
; %bb.22:
	s_andn2_b64 vcc, exec, s[18:19]
	s_cbranch_vccnz .LBB177_30
; %bb.23:
	v_cmp_lt_f32_e32 vcc, 0, v20
	s_mov_b32 s2, 0
	v_cndmask_b32_e32 v0, 1.0, v20, vcc
	v_mul_lo_u32 v4, v16, s8
	s_cmp_eq_u32 s8, 1
	s_mov_b64 s[0:1], -1
	s_cbranch_scc1 .LBB177_27
; %bb.24:
	s_and_b32 s2, s8, 0x7ffffffe
	v_mov_b32_e32 v1, v0
	v_mov_b32_e32 v5, s7
	s_mov_b32 s3, s2
	v_mov_b32_e32 v2, v4
.LBB177_25:                             ; =>This Inner Loop Header: Depth=1
	v_ashrrev_i32_e32 v3, 31, v2
	v_lshlrev_b64 v[6:7], 2, v[2:3]
	v_add_co_u32_e32 v6, vcc, s6, v6
	v_addc_co_u32_e32 v7, vcc, v5, v7, vcc
	global_load_dwordx2 v[8:9], v[6:7], off
	s_add_i32 s3, s3, -2
	s_cmp_lg_u32 s3, 0
	v_add_u32_e32 v2, 2, v2
	s_waitcnt vmcnt(0)
	v_div_scale_f32 v3, s[0:1], v1, v1, v9
	v_div_scale_f32 v11, s[0:1], v0, v0, v8
	v_rcp_f32_e32 v12, v3
	v_rcp_f32_e32 v13, v11
	v_div_scale_f32 v10, vcc, v9, v1, v9
	v_fma_f32 v15, -v3, v12, 1.0
	v_fma_f32 v16, -v11, v13, 1.0
	v_fmac_f32_e32 v12, v15, v12
	v_div_scale_f32 v14, s[0:1], v8, v0, v8
	v_fmac_f32_e32 v13, v16, v13
	v_mul_f32_e32 v15, v10, v12
	v_mul_f32_e32 v16, v14, v13
	v_fma_f32 v17, -v3, v15, v10
	v_fma_f32 v18, -v11, v16, v14
	v_fmac_f32_e32 v15, v17, v12
	v_fmac_f32_e32 v16, v18, v13
	v_fma_f32 v3, -v3, v15, v10
	v_fma_f32 v10, -v11, v16, v14
	v_div_fmas_f32 v3, v3, v12, v15
	s_mov_b64 vcc, s[0:1]
	v_div_fixup_f32 v9, v3, v1, v9
	v_div_fmas_f32 v3, v10, v13, v16
	v_div_fixup_f32 v8, v3, v0, v8
	global_store_dwordx2 v[6:7], v[8:9], off
	s_cbranch_scc1 .LBB177_25
; %bb.26:
	s_cmp_lg_u32 s2, s8
	s_cselect_b64 s[0:1], -1, 0
.LBB177_27:
	s_and_b64 vcc, exec, s[0:1]
	s_cbranch_vccz .LBB177_30
; %bb.28:
	v_ashrrev_i32_e32 v1, 31, v4
	v_add_co_u32_e32 v2, vcc, s2, v4
	v_addc_co_u32_e32 v3, vcc, 0, v1, vcc
	v_lshlrev_b64 v[2:3], 2, v[2:3]
	v_mov_b32_e32 v1, s7
	v_add_co_u32_e32 v2, vcc, s6, v2
	s_sub_i32 s0, s8, s2
	v_addc_co_u32_e32 v3, vcc, v1, v3, vcc
.LBB177_29:                             ; =>This Inner Loop Header: Depth=1
	global_load_dword v1, v[2:3], off
	s_add_i32 s0, s0, -1
	s_cmp_lg_u32 s0, 0
	s_waitcnt vmcnt(0)
	v_div_scale_f32 v4, s[2:3], v0, v0, v1
	v_rcp_f32_e32 v5, v4
	v_div_scale_f32 v6, vcc, v1, v0, v1
	v_fma_f32 v7, -v4, v5, 1.0
	v_fmac_f32_e32 v5, v7, v5
	v_mul_f32_e32 v7, v6, v5
	v_fma_f32 v8, -v4, v7, v6
	v_fmac_f32_e32 v7, v8, v5
	v_fma_f32 v4, -v4, v7, v6
	v_div_fmas_f32 v4, v4, v5, v7
	v_div_fixup_f32 v1, v4, v0, v1
	global_store_dword v[2:3], v1, off
	v_add_co_u32_e32 v2, vcc, 4, v2
	v_addc_co_u32_e32 v3, vcc, 0, v3, vcc
	s_cbranch_scc1 .LBB177_29
.LBB177_30:
	s_endpgm
	.section	.rodata,"a",@progbits
	.p2align	6, 0x0
	.amdhsa_kernel _ZN4vllm3moe10topkGatingILi8ELi16ELi4ELi16ELi32El14__hip_bfloat16LNS0_11ScoringFuncE0EEEvPKT5_PKbPfiPT4_PiiiibPKf
		.amdhsa_group_segment_fixed_size 0
		.amdhsa_private_segment_fixed_size 0
		.amdhsa_kernarg_size 72
		.amdhsa_user_sgpr_count 6
		.amdhsa_user_sgpr_private_segment_buffer 1
		.amdhsa_user_sgpr_dispatch_ptr 0
		.amdhsa_user_sgpr_queue_ptr 0
		.amdhsa_user_sgpr_kernarg_segment_ptr 1
		.amdhsa_user_sgpr_dispatch_id 0
		.amdhsa_user_sgpr_flat_scratch_init 0
		.amdhsa_user_sgpr_kernarg_preload_length 0
		.amdhsa_user_sgpr_kernarg_preload_offset 0
		.amdhsa_user_sgpr_private_segment_size 0
		.amdhsa_uses_dynamic_stack 0
		.amdhsa_system_sgpr_private_segment_wavefront_offset 0
		.amdhsa_system_sgpr_workgroup_id_x 1
		.amdhsa_system_sgpr_workgroup_id_y 0
		.amdhsa_system_sgpr_workgroup_id_z 0
		.amdhsa_system_sgpr_workgroup_info 0
		.amdhsa_system_vgpr_workitem_id 1
		.amdhsa_next_free_vgpr 33
		.amdhsa_next_free_sgpr 26
		.amdhsa_accum_offset 36
		.amdhsa_reserve_vcc 1
		.amdhsa_reserve_flat_scratch 0
		.amdhsa_float_round_mode_32 0
		.amdhsa_float_round_mode_16_64 0
		.amdhsa_float_denorm_mode_32 3
		.amdhsa_float_denorm_mode_16_64 3
		.amdhsa_dx10_clamp 1
		.amdhsa_ieee_mode 1
		.amdhsa_fp16_overflow 0
		.amdhsa_tg_split 0
		.amdhsa_exception_fp_ieee_invalid_op 0
		.amdhsa_exception_fp_denorm_src 0
		.amdhsa_exception_fp_ieee_div_zero 0
		.amdhsa_exception_fp_ieee_overflow 0
		.amdhsa_exception_fp_ieee_underflow 0
		.amdhsa_exception_fp_ieee_inexact 0
		.amdhsa_exception_int_div_zero 0
	.end_amdhsa_kernel
	.section	.text._ZN4vllm3moe10topkGatingILi8ELi16ELi4ELi16ELi32El14__hip_bfloat16LNS0_11ScoringFuncE0EEEvPKT5_PKbPfiPT4_PiiiibPKf,"axG",@progbits,_ZN4vllm3moe10topkGatingILi8ELi16ELi4ELi16ELi32El14__hip_bfloat16LNS0_11ScoringFuncE0EEEvPKT5_PKbPfiPT4_PiiiibPKf,comdat
.Lfunc_end177:
	.size	_ZN4vllm3moe10topkGatingILi8ELi16ELi4ELi16ELi32El14__hip_bfloat16LNS0_11ScoringFuncE0EEEvPKT5_PKbPfiPT4_PiiiibPKf, .Lfunc_end177-_ZN4vllm3moe10topkGatingILi8ELi16ELi4ELi16ELi32El14__hip_bfloat16LNS0_11ScoringFuncE0EEEvPKT5_PKbPfiPT4_PiiiibPKf
                                        ; -- End function
	.section	.AMDGPU.csdata,"",@progbits
; Kernel info:
; codeLenInByte = 2676
; NumSgprs: 30
; NumVgprs: 33
; NumAgprs: 0
; TotalNumVgprs: 33
; ScratchSize: 0
; MemoryBound: 0
; FloatMode: 240
; IeeeMode: 1
; LDSByteSize: 0 bytes/workgroup (compile time only)
; SGPRBlocks: 3
; VGPRBlocks: 4
; NumSGPRsForWavesPerEU: 30
; NumVGPRsForWavesPerEU: 33
; AccumOffset: 36
; Occupancy: 8
; WaveLimiterHint : 0
; COMPUTE_PGM_RSRC2:SCRATCH_EN: 0
; COMPUTE_PGM_RSRC2:USER_SGPR: 6
; COMPUTE_PGM_RSRC2:TRAP_HANDLER: 0
; COMPUTE_PGM_RSRC2:TGID_X_EN: 1
; COMPUTE_PGM_RSRC2:TGID_Y_EN: 0
; COMPUTE_PGM_RSRC2:TGID_Z_EN: 0
; COMPUTE_PGM_RSRC2:TIDIG_COMP_CNT: 1
; COMPUTE_PGM_RSRC3_GFX90A:ACCUM_OFFSET: 8
; COMPUTE_PGM_RSRC3_GFX90A:TG_SPLIT: 0
	.section	.text._ZN4vllm3moe10topkGatingILi8ELi32ELi4ELi16ELi64El14__hip_bfloat16LNS0_11ScoringFuncE0EEEvPKT5_PKbPfiPT4_PiiiibPKf,"axG",@progbits,_ZN4vllm3moe10topkGatingILi8ELi32ELi4ELi16ELi64El14__hip_bfloat16LNS0_11ScoringFuncE0EEEvPKT5_PKbPfiPT4_PiiiibPKf,comdat
	.protected	_ZN4vllm3moe10topkGatingILi8ELi32ELi4ELi16ELi64El14__hip_bfloat16LNS0_11ScoringFuncE0EEEvPKT5_PKbPfiPT4_PiiiibPKf ; -- Begin function _ZN4vllm3moe10topkGatingILi8ELi32ELi4ELi16ELi64El14__hip_bfloat16LNS0_11ScoringFuncE0EEEvPKT5_PKbPfiPT4_PiiiibPKf
	.globl	_ZN4vllm3moe10topkGatingILi8ELi32ELi4ELi16ELi64El14__hip_bfloat16LNS0_11ScoringFuncE0EEEvPKT5_PKbPfiPT4_PiiiibPKf
	.p2align	8
	.type	_ZN4vllm3moe10topkGatingILi8ELi32ELi4ELi16ELi64El14__hip_bfloat16LNS0_11ScoringFuncE0EEEvPKT5_PKbPfiPT4_PiiiibPKf,@function
_ZN4vllm3moe10topkGatingILi8ELi32ELi4ELi16ELi64El14__hip_bfloat16LNS0_11ScoringFuncE0EEEvPKT5_PKbPfiPT4_PiiiibPKf: ; @_ZN4vllm3moe10topkGatingILi8ELi32ELi4ELi16ELi64El14__hip_bfloat16LNS0_11ScoringFuncE0EEEvPKT5_PKbPfiPT4_PiiiibPKf
; %bb.0:
	s_load_dword s22, s[4:5], 0x18
	v_bfe_u32 v1, v0, 10, 10
	v_and_b32_e32 v0, 0x3ff, v0
	s_lshl_b32 s0, s6, 6
	v_lshlrev_b32_e32 v1, 4, v1
	v_lshrrev_b32_e32 v2, 2, v0
	v_add3_u32 v16, s0, v1, v2
	s_waitcnt lgkmcnt(0)
	v_cmp_gt_i32_e32 vcc, s22, v16
	s_and_saveexec_b64 s[0:1], vcc
	s_cbranch_execz .LBB178_26
; %bb.1:
	s_load_dwordx4 s[0:3], s[4:5], 0x0
	s_load_dwordx2 s[16:17], s[4:5], 0x10
	s_mov_b64 s[6:7], -1
	s_mov_b64 s[18:19], -1
	s_waitcnt lgkmcnt(0)
	s_cmp_eq_u64 s[2:3], 0
	s_cbranch_scc1 .LBB178_3
; %bb.2:
	v_ashrrev_i32_e32 v1, 31, v16
	v_mov_b32_e32 v3, s3
	v_add_co_u32_e32 v2, vcc, s2, v16
	v_addc_co_u32_e32 v3, vcc, v3, v1, vcc
	global_load_ubyte v1, v[2:3], off
	s_waitcnt vmcnt(0)
	v_and_b32_e32 v1, 1, v1
	v_cmp_eq_u32_e32 vcc, 1, v1
	s_xor_b64 s[2:3], vcc, -1
	s_orn2_b64 s[18:19], s[2:3], exec
.LBB178_3:
	v_lshlrev_b32_e32 v2, 5, v16
	v_ashrrev_i32_e32 v3, 31, v2
	v_lshlrev_b64 v[2:3], 1, v[2:3]
	v_mov_b32_e32 v1, s1
	v_add_co_u32_e32 v2, vcc, s0, v2
	v_and_b32_e32 v17, 3, v0
	v_addc_co_u32_e32 v1, vcc, v1, v3, vcc
	v_lshlrev_b32_e32 v0, 4, v17
	v_add_co_u32_e32 v0, vcc, v2, v0
	v_addc_co_u32_e32 v1, vcc, 0, v1, vcc
	global_load_dwordx4 v[0:3], v[0:1], off
	v_mbcnt_lo_u32_b32 v4, -1, 0
	v_mbcnt_hi_u32_b32 v6, -1, v4
	v_and_b32_e32 v4, 0x7c, v6
	v_xor_b32_e32 v5, 2, v6
	v_add_u32_e32 v7, 4, v4
	v_cmp_lt_i32_e32 vcc, v5, v7
	v_cndmask_b32_e32 v4, v6, v5, vcc
	v_lshlrev_b32_e32 v18, 2, v4
	v_xor_b32_e32 v12, 1, v6
	v_cmp_lt_i32_e32 vcc, v12, v7
	v_cndmask_b32_e32 v6, v6, v12, vcc
	v_lshlrev_b32_e32 v19, 2, v6
	s_mov_b32 s0, 0x3fb8aa3b
	s_mov_b32 s1, 0xc2ce8ed0
	;; [unrolled: 1-line block ×3, first 2 shown]
	s_waitcnt vmcnt(0)
	v_lshlrev_b32_e32 v8, 16, v1
	v_and_b32_e32 v4, 0xffff0000, v1
	v_and_b32_e32 v1, 0xffff0000, v0
	v_lshlrev_b32_e32 v0, 16, v0
	v_max_f32_e32 v10, v1, v1
	v_max_f32_e32 v11, v0, v0
	;; [unrolled: 1-line block ×3, first 2 shown]
	v_lshlrev_b32_e32 v5, 16, v2
	v_and_b32_e32 v2, 0xffff0000, v2
	v_max3_f32 v10, v10, v8, v4
	v_and_b32_e32 v9, 0xffff0000, v3
	v_lshlrev_b32_e32 v3, 16, v3
	v_max3_f32 v10, v10, v5, v2
	v_max3_f32 v10, v10, v3, v9
	ds_bpermute_b32 v11, v18, v10
	s_waitcnt lgkmcnt(0)
	v_max_f32_e32 v6, v11, v11
	v_max_f32_e32 v6, v10, v6
	ds_bpermute_b32 v7, v19, v6
	v_mov_b32_e32 v10, 0x7f800000
	s_waitcnt lgkmcnt(0)
	v_max_f32_e32 v7, v7, v7
	v_max_f32_e32 v6, v6, v7
	v_pk_add_f32 v[0:1], v[0:1], v[6:7] op_sel_hi:[1,0] neg_lo:[0,1] neg_hi:[0,1]
	v_sub_f32_e32 v7, v8, v6
	v_mul_f32_e32 v8, 0x3fb8aa3b, v1
	v_mul_f32_e32 v11, 0x3fb8aa3b, v0
	v_fma_f32 v15, v1, s0, -v8
	v_rndne_f32_e32 v20, v8
	v_pk_add_f32 v[4:5], v[4:5], v[6:7] op_sel_hi:[1,0] neg_lo:[0,1] neg_hi:[0,1]
	v_mul_f32_e32 v12, 0x3fb8aa3b, v7
	v_fma_f32 v21, v0, s0, -v11
	v_rndne_f32_e32 v22, v11
	v_fmac_f32_e32 v15, 0x32a5705f, v1
	v_sub_f32_e32 v8, v8, v20
	v_mul_f32_e32 v13, 0x3fb8aa3b, v5
	v_fma_f32 v23, v7, s0, -v12
	v_rndne_f32_e32 v24, v12
	v_fmac_f32_e32 v21, 0x32a5705f, v0
	v_sub_f32_e32 v11, v11, v22
	v_add_f32_e32 v8, v8, v15
	v_mul_f32_e32 v14, 0x3fb8aa3b, v4
	v_fma_f32 v25, v5, s0, -v13
	v_rndne_f32_e32 v26, v13
	v_cvt_i32_f32_e32 v20, v20
	v_fmac_f32_e32 v23, 0x32a5705f, v7
	v_sub_f32_e32 v12, v12, v24
	v_add_f32_e32 v11, v11, v21
	v_exp_f32_e32 v8, v8
	v_fma_f32 v27, v4, s0, -v14
	v_rndne_f32_e32 v28, v14
	v_cvt_i32_f32_e32 v22, v22
	v_fmac_f32_e32 v25, 0x32a5705f, v5
	v_sub_f32_e32 v13, v13, v26
	v_add_f32_e32 v12, v12, v23
	v_exp_f32_e32 v11, v11
	v_cvt_i32_f32_e32 v24, v24
	v_fmac_f32_e32 v27, 0x32a5705f, v4
	v_sub_f32_e32 v14, v14, v28
	v_add_f32_e32 v13, v13, v25
	v_exp_f32_e32 v12, v12
	v_cvt_i32_f32_e32 v26, v26
	v_add_f32_e32 v14, v14, v27
	v_exp_f32_e32 v13, v13
	v_cvt_i32_f32_e32 v28, v28
	v_exp_f32_e32 v14, v14
	v_ldexp_f32 v8, v8, v20
	v_cmp_ngt_f32_e32 vcc, s1, v1
	v_ldexp_f32 v11, v11, v22
	v_cndmask_b32_e32 v8, 0, v8, vcc
	v_cmp_ngt_f32_e32 vcc, s1, v0
	v_ldexp_f32 v12, v12, v24
	v_cndmask_b32_e32 v11, 0, v11, vcc
	;; [unrolled: 3-line block ×4, first 2 shown]
	v_cmp_ngt_f32_e32 vcc, s1, v4
	v_cndmask_b32_e32 v14, 0, v14, vcc
	v_cmp_nlt_f32_e32 vcc, s2, v1
	v_cndmask_b32_e32 v8, v10, v8, vcc
	v_cmp_nlt_f32_e32 vcc, s2, v0
	v_cndmask_b32_e32 v11, v10, v11, vcc
	v_cmp_nlt_f32_e32 vcc, s2, v7
	v_cndmask_b32_e32 v7, v10, v12, vcc
	v_add_f32_e32 v0, v11, v8
	v_pk_add_f32 v[2:3], v[2:3], v[6:7] op_sel_hi:[1,0] neg_lo:[0,1] neg_hi:[0,1]
	v_cmp_nlt_f32_e32 vcc, s2, v5
	v_add_f32_e32 v5, v0, v7
	v_mul_f32_e32 v0, 0x3fb8aa3b, v3
	v_cndmask_b32_e32 v1, v10, v13, vcc
	v_fma_f32 v12, v3, s0, -v0
	v_rndne_f32_e32 v13, v0
	v_fmac_f32_e32 v12, 0x32a5705f, v3
	v_sub_f32_e32 v0, v0, v13
	v_add_f32_e32 v0, v0, v12
	v_exp_f32_e32 v12, v0
	v_cvt_i32_f32_e32 v13, v13
	v_cmp_nlt_f32_e32 vcc, s2, v4
	v_cndmask_b32_e32 v0, v10, v14, vcc
	v_add_f32_e32 v4, v5, v0
	v_ldexp_f32 v5, v12, v13
	v_mul_f32_e32 v12, 0x3fb8aa3b, v2
	v_fma_f32 v13, v2, s0, -v12
	v_rndne_f32_e32 v14, v12
	v_fmac_f32_e32 v13, 0x32a5705f, v2
	v_sub_f32_e32 v12, v12, v14
	v_add_f32_e32 v12, v12, v13
	v_exp_f32_e32 v12, v12
	v_cvt_i32_f32_e32 v13, v14
	v_cmp_ngt_f32_e32 vcc, s1, v3
	v_sub_f32_e32 v6, v9, v6
	v_cndmask_b32_e32 v5, 0, v5, vcc
	v_cmp_nlt_f32_e32 vcc, s2, v3
	v_mul_f32_e32 v9, 0x3fb8aa3b, v6
	v_cndmask_b32_e32 v3, v10, v5, vcc
	v_ldexp_f32 v5, v12, v13
	v_fma_f32 v12, v6, s0, -v9
	v_rndne_f32_e32 v13, v9
	v_fmac_f32_e32 v12, 0x32a5705f, v6
	v_sub_f32_e32 v9, v9, v13
	v_add_f32_e32 v9, v9, v12
	v_exp_f32_e32 v9, v9
	v_cvt_i32_f32_e32 v12, v13
	v_cmp_ngt_f32_e32 vcc, s1, v2
	v_cndmask_b32_e32 v5, 0, v5, vcc
	v_cmp_nlt_f32_e32 vcc, s2, v2
	v_add_f32_e32 v4, v4, v1
	v_cndmask_b32_e32 v2, v10, v5, vcc
	v_ldexp_f32 v5, v9, v12
	v_cmp_ngt_f32_e32 vcc, s1, v6
	v_add_f32_e32 v4, v4, v2
	v_cndmask_b32_e32 v5, 0, v5, vcc
	v_cmp_nlt_f32_e32 vcc, s2, v6
	v_add_f32_e32 v4, v4, v3
	v_cndmask_b32_e32 v5, v10, v5, vcc
	v_add_f32_e32 v4, v4, v5
	ds_bpermute_b32 v6, v18, v4
	s_movk_i32 s2, 0x1f8
	v_lshlrev_b32_e32 v20, 3, v17
	s_waitcnt lgkmcnt(0)
	v_add_f32_e32 v4, v4, v6
	ds_bpermute_b32 v6, v19, v4
	s_waitcnt lgkmcnt(0)
	v_add_f32_e32 v4, v4, v6
	v_div_scale_f32 v6, s[0:1], v4, v4, 1.0
	v_rcp_f32_e32 v9, v6
	s_load_dwordx2 s[0:1], s[4:5], 0x40
	v_fma_f32 v10, -v6, v9, 1.0
	v_fmac_f32_e32 v9, v10, v9
	v_div_scale_f32 v10, vcc, 1.0, v4, 1.0
	v_mul_f32_e32 v12, v10, v9
	v_fma_f32 v13, -v6, v12, v10
	v_fmac_f32_e32 v12, v13, v9
	v_fma_f32 v6, -v6, v12, v10
	v_div_fmas_f32 v6, v6, v9, v12
	v_div_fixup_f32 v4, v6, v4, 1.0
	v_mul_f32_e32 v10, v4, v11
	v_mul_f32_e32 v11, v4, v8
	v_cmp_class_f32_e64 vcc, v10, s2
	v_mul_f32_e32 v12, v4, v7
	v_pk_mul_f32 v[6:7], v[4:5], v[0:1] op_sel_hi:[0,1]
	v_cndmask_b32_e32 v0, 0, v10, vcc
	v_cmp_class_f32_e64 vcc, v11, s2
	v_pk_mul_f32 v[8:9], v[4:5], v[2:3] op_sel_hi:[0,1]
	v_mul_f32_e32 v13, v4, v5
	v_cndmask_b32_e32 v1, 0, v11, vcc
	v_cmp_class_f32_e64 vcc, v12, s2
	v_mov_b32_e32 v5, 0x207
	v_cndmask_b32_e32 v2, 0, v12, vcc
	v_cmp_class_f32_e32 vcc, v7, v5
	v_cndmask_b32_e64 v4, v7, 0, vcc
	v_cmp_class_f32_e32 vcc, v6, v5
	v_cndmask_b32_e64 v3, v6, 0, vcc
	;; [unrolled: 2-line block ×4, first 2 shown]
	v_cmp_class_f32_e64 vcc, v13, s2
	s_waitcnt lgkmcnt(0)
	s_cmp_eq_u64 s[0:1], 0
	v_cndmask_b32_e32 v7, 0, v13, vcc
	s_cbranch_scc1 .LBB178_15
; %bb.4:
	v_lshlrev_b32_e32 v21, 2, v20
	global_load_dwordx4 v[8:11], v21, s[0:1]
	global_load_dwordx4 v[12:15], v21, s[0:1] offset:16
	s_waitcnt vmcnt(1)
	v_pk_add_f32 v[8:9], v[8:9], v[0:1]
	v_pk_add_f32 v[10:11], v[10:11], v[2:3]
	s_waitcnt vmcnt(0)
	v_pk_add_f32 v[12:13], v[12:13], v[4:5]
	v_pk_add_f32 v[14:15], v[14:15], v[6:7]
	s_cbranch_execnz .LBB178_6
.LBB178_5:
	v_pk_mov_b32 v[14:15], v[6:7], v[6:7] op_sel:[0,1]
	v_pk_mov_b32 v[12:13], v[4:5], v[4:5] op_sel:[0,1]
	;; [unrolled: 1-line block ×4, first 2 shown]
.LBB178_6:
	s_load_dwordx4 s[8:11], s[4:5], 0x30
	s_mov_b32 s23, 0
	v_cmp_eq_u32_e64 s[0:1], 0, v17
	s_waitcnt lgkmcnt(0)
	s_bitcmp1_b32 s11, 0
	s_cselect_b64 vcc, -1, 0
	s_cmp_gt_i32 s8, 0
	s_cselect_b64 s[20:21], -1, 0
	s_cmp_lt_i32 s8, 1
	s_cbranch_scc1 .LBB178_16
; %bb.7:
	s_load_dwordx4 s[12:15], s[4:5], 0x20
	v_mul_lo_u32 v22, v16, s8
	v_mov_b32_e32 v21, 0
	v_mov_b32_e32 v23, 0xc61c4000
	;; [unrolled: 1-line block ×3, first 2 shown]
	s_branch .LBB178_10
.LBB178_8:                              ;   in Loop: Header=BB178_10 Depth=1
	s_or_b64 exec, exec, s[4:5]
.LBB178_9:                              ;   in Loop: Header=BB178_10 Depth=1
	s_cmp_eq_u32 s8, s23
	v_add_u32_e32 v24, s22, v24
	s_cbranch_scc1 .LBB178_17
.LBB178_10:                             ; =>This Inner Loop Header: Depth=1
	v_cmp_gt_f32_e64 s[2:3], v9, v8
	v_cndmask_b32_e64 v25, v8, v9, s[2:3]
	v_cndmask_b32_e64 v26, v0, v1, s[2:3]
	s_waitcnt lgkmcnt(0)
	v_cndmask_b32_e64 v27, 0, 1, s[2:3]
	v_cmp_gt_f32_e64 s[2:3], v10, v25
	v_cndmask_b32_e64 v25, v25, v10, s[2:3]
	v_cndmask_b32_e64 v26, v26, v2, s[2:3]
	v_cndmask_b32_e64 v27, v27, 2, s[2:3]
	v_cmp_gt_f32_e64 s[2:3], v11, v25
	v_cndmask_b32_e64 v25, v25, v11, s[2:3]
	v_cndmask_b32_e64 v26, v26, v3, s[2:3]
	;; [unrolled: 4-line block ×6, first 2 shown]
	v_or_b32_e32 v27, v20, v27
	ds_bpermute_b32 v28, v18, v25
	ds_bpermute_b32 v29, v18, v27
	v_cndmask_b32_e64 v26, v26, v7, s[2:3]
	ds_bpermute_b32 v30, v18, v26
	s_waitcnt lgkmcnt(0)
	v_cmp_eq_f32_e64 s[4:5], v25, v28
	v_cmp_lt_i32_e64 s[6:7], v29, v27
	v_cmp_lt_f32_e64 s[2:3], v25, v28
	s_and_b64 s[4:5], s[4:5], s[6:7]
	s_or_b64 s[2:3], s[2:3], s[4:5]
	v_cndmask_b32_e64 v29, v27, v29, s[2:3]
	v_cndmask_b32_e64 v25, v25, v28, s[2:3]
	ds_bpermute_b32 v28, v19, v25
	ds_bpermute_b32 v31, v19, v29
	v_cndmask_b32_e64 v26, v26, v30, s[2:3]
	ds_bpermute_b32 v27, v19, v26
	s_waitcnt lgkmcnt(2)
	v_cmp_eq_f32_e64 s[4:5], v25, v28
	s_waitcnt lgkmcnt(1)
	v_cmp_lt_i32_e64 s[6:7], v31, v29
	v_cmp_lt_f32_e64 s[2:3], v25, v28
	s_and_b64 s[4:5], s[4:5], s[6:7]
	s_or_b64 s[2:3], s[2:3], s[4:5]
	v_cndmask_b32_e64 v25, v29, v31, s[2:3]
	s_and_saveexec_b64 s[6:7], s[0:1]
	s_cbranch_execnz .LBB178_12
; %bb.11:                               ;   in Loop: Header=BB178_10 Depth=1
	s_or_b64 exec, exec, s[6:7]
	s_add_i32 s23, s23, 1
	s_cmp_ge_i32 s23, s8
	s_cbranch_scc1 .LBB178_9
	s_branch .LBB178_13
.LBB178_12:                             ;   in Loop: Header=BB178_10 Depth=1
	s_waitcnt lgkmcnt(0)
	v_cndmask_b32_e64 v32, v26, v27, s[2:3]
	v_add_u32_e32 v26, s23, v22
	v_ashrrev_i32_e32 v27, 31, v26
	v_cmp_le_i32_e64 s[2:3], s9, v25
	v_cmp_gt_i32_e64 s[4:5], s10, v25
	v_lshlrev_b64 v[28:29], 2, v[26:27]
	s_and_b64 s[4:5], s[2:3], s[4:5]
	v_mov_b32_e32 v31, s17
	v_add_co_u32_e64 v30, s[2:3], s16, v28
	v_addc_co_u32_e64 v31, s[2:3], v31, v29, s[2:3]
	global_store_dword v[30:31], v32, off
	v_subrev_u32_e32 v30, s9, v25
	v_ashrrev_i32_e32 v31, 31, v30
	s_and_b64 s[2:3], s[18:19], s[4:5]
	v_lshlrev_b64 v[26:27], 3, v[26:27]
	v_cndmask_b32_e64 v31, 0, v31, s[2:3]
	v_cndmask_b32_e64 v30, 32, v30, s[2:3]
	v_mov_b32_e32 v33, s13
	v_add_co_u32_e64 v26, s[2:3], s12, v26
	v_addc_co_u32_e64 v27, s[2:3], v33, v27, s[2:3]
	global_store_dwordx2 v[26:27], v[30:31], off
	v_mov_b32_e32 v27, s15
	v_add_co_u32_e64 v26, s[2:3], s14, v28
	v_addc_co_u32_e64 v27, s[2:3], v27, v29, s[2:3]
	global_store_dword v[26:27], v24, off
	v_add_f32_e32 v26, v21, v32
	v_cndmask_b32_e32 v21, v21, v26, vcc
	s_or_b64 exec, exec, s[6:7]
	s_add_i32 s23, s23, 1
	s_cmp_ge_i32 s23, s8
	s_cbranch_scc1 .LBB178_9
.LBB178_13:                             ;   in Loop: Header=BB178_10 Depth=1
	s_waitcnt lgkmcnt(0)
	v_ashrrev_i32_e32 v27, 31, v25
	v_lshrrev_b32_e32 v26, 29, v27
	v_add_u32_e32 v26, v25, v26
	v_ashrrev_i32_e32 v26, 3, v26
	v_lshrrev_b32_e32 v28, 30, v26
	v_add_u32_e32 v28, v26, v28
	v_and_b32_e32 v28, -4, v28
	v_sub_u32_e32 v28, v26, v28
	v_cmp_eq_u32_e64 s[2:3], v17, v28
	s_and_saveexec_b64 s[4:5], s[2:3]
	s_cbranch_execz .LBB178_8
; %bb.14:                               ;   in Loop: Header=BB178_10 Depth=1
	v_lshrrev_b32_e32 v27, 27, v27
	v_add_u32_e32 v27, v25, v27
	v_lshlrev_b32_e32 v26, 3, v26
	v_ashrrev_i32_e32 v27, 5, v27
	v_sub_u32_e32 v25, v25, v26
	v_lshl_add_u32 v25, v27, 3, v25
	v_cmp_ne_u32_e64 s[2:3], 7, v25
	v_cndmask_b32_e64 v15, v23, v15, s[2:3]
	v_cmp_ne_u32_e64 s[2:3], 6, v25
	v_cndmask_b32_e64 v14, v23, v14, s[2:3]
	;; [unrolled: 2-line block ×8, first 2 shown]
	s_branch .LBB178_8
.LBB178_15:
                                        ; implicit-def: $vgpr8_vgpr9_vgpr10_vgpr11_vgpr12_vgpr13_vgpr14_vgpr15
	s_andn2_b64 vcc, exec, s[6:7]
	s_cbranch_vccz .LBB178_5
	s_branch .LBB178_6
.LBB178_16:
	v_mov_b32_e32 v21, 0
.LBB178_17:
	v_cmp_eq_u32_e64 s[0:1], 0, v17
	s_and_b64 s[0:1], s[0:1], vcc
	s_and_b64 exec, exec, s[0:1]
	s_cbranch_execz .LBB178_26
; %bb.18:
	s_andn2_b64 vcc, exec, s[20:21]
	s_cbranch_vccnz .LBB178_26
; %bb.19:
	v_cmp_lt_f32_e32 vcc, 0, v21
	s_mov_b32 s2, 0
	v_cndmask_b32_e32 v0, 1.0, v21, vcc
	v_mul_lo_u32 v4, v16, s8
	s_cmp_eq_u32 s8, 1
	s_mov_b64 s[0:1], -1
	s_cbranch_scc1 .LBB178_23
; %bb.20:
	s_and_b32 s2, s8, 0x7ffffffe
	v_mov_b32_e32 v1, v0
	v_mov_b32_e32 v5, s17
	s_mov_b32 s3, s2
	v_mov_b32_e32 v2, v4
.LBB178_21:                             ; =>This Inner Loop Header: Depth=1
	v_ashrrev_i32_e32 v3, 31, v2
	v_lshlrev_b64 v[6:7], 2, v[2:3]
	v_add_co_u32_e32 v6, vcc, s16, v6
	v_addc_co_u32_e32 v7, vcc, v5, v7, vcc
	global_load_dwordx2 v[8:9], v[6:7], off
	s_add_i32 s3, s3, -2
	s_cmp_lg_u32 s3, 0
	v_add_u32_e32 v2, 2, v2
	s_waitcnt vmcnt(0)
	v_div_scale_f32 v3, s[0:1], v1, v1, v9
	v_div_scale_f32 v11, s[0:1], v0, v0, v8
	v_rcp_f32_e32 v12, v3
	v_rcp_f32_e32 v13, v11
	v_div_scale_f32 v10, vcc, v9, v1, v9
	v_fma_f32 v15, -v3, v12, 1.0
	v_fma_f32 v16, -v11, v13, 1.0
	v_fmac_f32_e32 v12, v15, v12
	v_div_scale_f32 v14, s[0:1], v8, v0, v8
	v_fmac_f32_e32 v13, v16, v13
	v_mul_f32_e32 v15, v10, v12
	v_mul_f32_e32 v16, v14, v13
	v_fma_f32 v17, -v3, v15, v10
	v_fma_f32 v18, -v11, v16, v14
	v_fmac_f32_e32 v15, v17, v12
	v_fmac_f32_e32 v16, v18, v13
	v_fma_f32 v3, -v3, v15, v10
	v_fma_f32 v10, -v11, v16, v14
	v_div_fmas_f32 v3, v3, v12, v15
	s_mov_b64 vcc, s[0:1]
	v_div_fixup_f32 v9, v3, v1, v9
	v_div_fmas_f32 v3, v10, v13, v16
	v_div_fixup_f32 v8, v3, v0, v8
	global_store_dwordx2 v[6:7], v[8:9], off
	s_cbranch_scc1 .LBB178_21
; %bb.22:
	s_cmp_lg_u32 s2, s8
	s_cselect_b64 s[0:1], -1, 0
.LBB178_23:
	s_and_b64 vcc, exec, s[0:1]
	s_cbranch_vccz .LBB178_26
; %bb.24:
	v_ashrrev_i32_e32 v1, 31, v4
	v_add_co_u32_e32 v2, vcc, s2, v4
	v_addc_co_u32_e32 v3, vcc, 0, v1, vcc
	v_lshlrev_b64 v[2:3], 2, v[2:3]
	v_mov_b32_e32 v1, s17
	v_add_co_u32_e32 v2, vcc, s16, v2
	s_sub_i32 s0, s8, s2
	v_addc_co_u32_e32 v3, vcc, v1, v3, vcc
.LBB178_25:                             ; =>This Inner Loop Header: Depth=1
	global_load_dword v1, v[2:3], off
	s_add_i32 s0, s0, -1
	s_cmp_lg_u32 s0, 0
	s_waitcnt vmcnt(0)
	v_div_scale_f32 v4, s[2:3], v0, v0, v1
	v_rcp_f32_e32 v5, v4
	v_div_scale_f32 v6, vcc, v1, v0, v1
	v_fma_f32 v7, -v4, v5, 1.0
	v_fmac_f32_e32 v5, v7, v5
	v_mul_f32_e32 v7, v6, v5
	v_fma_f32 v8, -v4, v7, v6
	v_fmac_f32_e32 v7, v8, v5
	v_fma_f32 v4, -v4, v7, v6
	v_div_fmas_f32 v4, v4, v5, v7
	v_div_fixup_f32 v1, v4, v0, v1
	global_store_dword v[2:3], v1, off
	v_add_co_u32_e32 v2, vcc, 4, v2
	v_addc_co_u32_e32 v3, vcc, 0, v3, vcc
	s_cbranch_scc1 .LBB178_25
.LBB178_26:
	s_endpgm
	.section	.rodata,"a",@progbits
	.p2align	6, 0x0
	.amdhsa_kernel _ZN4vllm3moe10topkGatingILi8ELi32ELi4ELi16ELi64El14__hip_bfloat16LNS0_11ScoringFuncE0EEEvPKT5_PKbPfiPT4_PiiiibPKf
		.amdhsa_group_segment_fixed_size 0
		.amdhsa_private_segment_fixed_size 0
		.amdhsa_kernarg_size 72
		.amdhsa_user_sgpr_count 6
		.amdhsa_user_sgpr_private_segment_buffer 1
		.amdhsa_user_sgpr_dispatch_ptr 0
		.amdhsa_user_sgpr_queue_ptr 0
		.amdhsa_user_sgpr_kernarg_segment_ptr 1
		.amdhsa_user_sgpr_dispatch_id 0
		.amdhsa_user_sgpr_flat_scratch_init 0
		.amdhsa_user_sgpr_kernarg_preload_length 0
		.amdhsa_user_sgpr_kernarg_preload_offset 0
		.amdhsa_user_sgpr_private_segment_size 0
		.amdhsa_uses_dynamic_stack 0
		.amdhsa_system_sgpr_private_segment_wavefront_offset 0
		.amdhsa_system_sgpr_workgroup_id_x 1
		.amdhsa_system_sgpr_workgroup_id_y 0
		.amdhsa_system_sgpr_workgroup_id_z 0
		.amdhsa_system_sgpr_workgroup_info 0
		.amdhsa_system_vgpr_workitem_id 1
		.amdhsa_next_free_vgpr 34
		.amdhsa_next_free_sgpr 24
		.amdhsa_accum_offset 36
		.amdhsa_reserve_vcc 1
		.amdhsa_reserve_flat_scratch 0
		.amdhsa_float_round_mode_32 0
		.amdhsa_float_round_mode_16_64 0
		.amdhsa_float_denorm_mode_32 3
		.amdhsa_float_denorm_mode_16_64 3
		.amdhsa_dx10_clamp 1
		.amdhsa_ieee_mode 1
		.amdhsa_fp16_overflow 0
		.amdhsa_tg_split 0
		.amdhsa_exception_fp_ieee_invalid_op 0
		.amdhsa_exception_fp_denorm_src 0
		.amdhsa_exception_fp_ieee_div_zero 0
		.amdhsa_exception_fp_ieee_overflow 0
		.amdhsa_exception_fp_ieee_underflow 0
		.amdhsa_exception_fp_ieee_inexact 0
		.amdhsa_exception_int_div_zero 0
	.end_amdhsa_kernel
	.section	.text._ZN4vllm3moe10topkGatingILi8ELi32ELi4ELi16ELi64El14__hip_bfloat16LNS0_11ScoringFuncE0EEEvPKT5_PKbPfiPT4_PiiiibPKf,"axG",@progbits,_ZN4vllm3moe10topkGatingILi8ELi32ELi4ELi16ELi64El14__hip_bfloat16LNS0_11ScoringFuncE0EEEvPKT5_PKbPfiPT4_PiiiibPKf,comdat
.Lfunc_end178:
	.size	_ZN4vllm3moe10topkGatingILi8ELi32ELi4ELi16ELi64El14__hip_bfloat16LNS0_11ScoringFuncE0EEEvPKT5_PKbPfiPT4_PiiiibPKf, .Lfunc_end178-_ZN4vllm3moe10topkGatingILi8ELi32ELi4ELi16ELi64El14__hip_bfloat16LNS0_11ScoringFuncE0EEEvPKT5_PKbPfiPT4_PiiiibPKf
                                        ; -- End function
	.section	.AMDGPU.csdata,"",@progbits
; Kernel info:
; codeLenInByte = 2772
; NumSgprs: 28
; NumVgprs: 34
; NumAgprs: 0
; TotalNumVgprs: 34
; ScratchSize: 0
; MemoryBound: 0
; FloatMode: 240
; IeeeMode: 1
; LDSByteSize: 0 bytes/workgroup (compile time only)
; SGPRBlocks: 3
; VGPRBlocks: 4
; NumSGPRsForWavesPerEU: 28
; NumVGPRsForWavesPerEU: 34
; AccumOffset: 36
; Occupancy: 8
; WaveLimiterHint : 0
; COMPUTE_PGM_RSRC2:SCRATCH_EN: 0
; COMPUTE_PGM_RSRC2:USER_SGPR: 6
; COMPUTE_PGM_RSRC2:TRAP_HANDLER: 0
; COMPUTE_PGM_RSRC2:TGID_X_EN: 1
; COMPUTE_PGM_RSRC2:TGID_Y_EN: 0
; COMPUTE_PGM_RSRC2:TGID_Z_EN: 0
; COMPUTE_PGM_RSRC2:TIDIG_COMP_CNT: 1
; COMPUTE_PGM_RSRC3_GFX90A:ACCUM_OFFSET: 8
; COMPUTE_PGM_RSRC3_GFX90A:TG_SPLIT: 0
	.section	.text._ZN4vllm3moe10topkGatingILi8ELi32ELi4ELi16ELi32El14__hip_bfloat16LNS0_11ScoringFuncE0EEEvPKT5_PKbPfiPT4_PiiiibPKf,"axG",@progbits,_ZN4vllm3moe10topkGatingILi8ELi32ELi4ELi16ELi32El14__hip_bfloat16LNS0_11ScoringFuncE0EEEvPKT5_PKbPfiPT4_PiiiibPKf,comdat
	.protected	_ZN4vllm3moe10topkGatingILi8ELi32ELi4ELi16ELi32El14__hip_bfloat16LNS0_11ScoringFuncE0EEEvPKT5_PKbPfiPT4_PiiiibPKf ; -- Begin function _ZN4vllm3moe10topkGatingILi8ELi32ELi4ELi16ELi32El14__hip_bfloat16LNS0_11ScoringFuncE0EEEvPKT5_PKbPfiPT4_PiiiibPKf
	.globl	_ZN4vllm3moe10topkGatingILi8ELi32ELi4ELi16ELi32El14__hip_bfloat16LNS0_11ScoringFuncE0EEEvPKT5_PKbPfiPT4_PiiiibPKf
	.p2align	8
	.type	_ZN4vllm3moe10topkGatingILi8ELi32ELi4ELi16ELi32El14__hip_bfloat16LNS0_11ScoringFuncE0EEEvPKT5_PKbPfiPT4_PiiiibPKf,@function
_ZN4vllm3moe10topkGatingILi8ELi32ELi4ELi16ELi32El14__hip_bfloat16LNS0_11ScoringFuncE0EEEvPKT5_PKbPfiPT4_PiiiibPKf: ; @_ZN4vllm3moe10topkGatingILi8ELi32ELi4ELi16ELi32El14__hip_bfloat16LNS0_11ScoringFuncE0EEEvPKT5_PKbPfiPT4_PiiiibPKf
; %bb.0:
	s_load_dword s22, s[4:5], 0x18
	v_bfe_u32 v1, v0, 10, 10
	v_and_b32_e32 v0, 0x3ff, v0
	s_lshl_b32 s0, s6, 5
	v_lshlrev_b32_e32 v1, 3, v1
	v_lshrrev_b32_e32 v2, 2, v0
	v_add3_u32 v16, s0, v1, v2
	s_waitcnt lgkmcnt(0)
	v_cmp_gt_i32_e32 vcc, s22, v16
	s_and_saveexec_b64 s[0:1], vcc
	s_cbranch_execz .LBB179_26
; %bb.1:
	s_load_dwordx4 s[0:3], s[4:5], 0x0
	s_load_dwordx2 s[16:17], s[4:5], 0x10
	s_mov_b64 s[6:7], -1
	s_mov_b64 s[18:19], -1
	s_waitcnt lgkmcnt(0)
	s_cmp_eq_u64 s[2:3], 0
	s_cbranch_scc1 .LBB179_3
; %bb.2:
	v_ashrrev_i32_e32 v1, 31, v16
	v_mov_b32_e32 v3, s3
	v_add_co_u32_e32 v2, vcc, s2, v16
	v_addc_co_u32_e32 v3, vcc, v3, v1, vcc
	global_load_ubyte v1, v[2:3], off
	s_waitcnt vmcnt(0)
	v_and_b32_e32 v1, 1, v1
	v_cmp_eq_u32_e32 vcc, 1, v1
	s_xor_b64 s[2:3], vcc, -1
	s_orn2_b64 s[18:19], s[2:3], exec
.LBB179_3:
	v_lshlrev_b32_e32 v2, 5, v16
	v_ashrrev_i32_e32 v3, 31, v2
	v_lshlrev_b64 v[2:3], 1, v[2:3]
	v_mov_b32_e32 v1, s1
	v_add_co_u32_e32 v2, vcc, s0, v2
	v_and_b32_e32 v17, 3, v0
	v_addc_co_u32_e32 v1, vcc, v1, v3, vcc
	v_lshlrev_b32_e32 v0, 4, v17
	v_add_co_u32_e32 v0, vcc, v2, v0
	v_addc_co_u32_e32 v1, vcc, 0, v1, vcc
	global_load_dwordx4 v[0:3], v[0:1], off
	v_mbcnt_lo_u32_b32 v4, -1, 0
	v_mbcnt_hi_u32_b32 v6, -1, v4
	v_and_b32_e32 v4, 0x7c, v6
	v_xor_b32_e32 v5, 2, v6
	v_add_u32_e32 v7, 4, v4
	v_cmp_lt_i32_e32 vcc, v5, v7
	v_cndmask_b32_e32 v4, v6, v5, vcc
	v_lshlrev_b32_e32 v18, 2, v4
	v_xor_b32_e32 v12, 1, v6
	v_cmp_lt_i32_e32 vcc, v12, v7
	v_cndmask_b32_e32 v6, v6, v12, vcc
	v_lshlrev_b32_e32 v19, 2, v6
	s_mov_b32 s0, 0x3fb8aa3b
	s_mov_b32 s1, 0xc2ce8ed0
	;; [unrolled: 1-line block ×3, first 2 shown]
	s_waitcnt vmcnt(0)
	v_lshlrev_b32_e32 v8, 16, v1
	v_and_b32_e32 v4, 0xffff0000, v1
	v_and_b32_e32 v1, 0xffff0000, v0
	v_lshlrev_b32_e32 v0, 16, v0
	v_max_f32_e32 v10, v1, v1
	v_max_f32_e32 v11, v0, v0
	;; [unrolled: 1-line block ×3, first 2 shown]
	v_lshlrev_b32_e32 v5, 16, v2
	v_and_b32_e32 v2, 0xffff0000, v2
	v_max3_f32 v10, v10, v8, v4
	v_and_b32_e32 v9, 0xffff0000, v3
	v_lshlrev_b32_e32 v3, 16, v3
	v_max3_f32 v10, v10, v5, v2
	v_max3_f32 v10, v10, v3, v9
	ds_bpermute_b32 v11, v18, v10
	s_waitcnt lgkmcnt(0)
	v_max_f32_e32 v6, v11, v11
	v_max_f32_e32 v6, v10, v6
	ds_bpermute_b32 v7, v19, v6
	v_mov_b32_e32 v10, 0x7f800000
	s_waitcnt lgkmcnt(0)
	v_max_f32_e32 v7, v7, v7
	v_max_f32_e32 v6, v6, v7
	v_pk_add_f32 v[0:1], v[0:1], v[6:7] op_sel_hi:[1,0] neg_lo:[0,1] neg_hi:[0,1]
	v_sub_f32_e32 v7, v8, v6
	v_mul_f32_e32 v8, 0x3fb8aa3b, v1
	v_mul_f32_e32 v11, 0x3fb8aa3b, v0
	v_fma_f32 v15, v1, s0, -v8
	v_rndne_f32_e32 v20, v8
	v_pk_add_f32 v[4:5], v[4:5], v[6:7] op_sel_hi:[1,0] neg_lo:[0,1] neg_hi:[0,1]
	v_mul_f32_e32 v12, 0x3fb8aa3b, v7
	v_fma_f32 v21, v0, s0, -v11
	v_rndne_f32_e32 v22, v11
	v_fmac_f32_e32 v15, 0x32a5705f, v1
	v_sub_f32_e32 v8, v8, v20
	v_mul_f32_e32 v13, 0x3fb8aa3b, v5
	v_fma_f32 v23, v7, s0, -v12
	v_rndne_f32_e32 v24, v12
	v_fmac_f32_e32 v21, 0x32a5705f, v0
	v_sub_f32_e32 v11, v11, v22
	v_add_f32_e32 v8, v8, v15
	v_mul_f32_e32 v14, 0x3fb8aa3b, v4
	v_fma_f32 v25, v5, s0, -v13
	v_rndne_f32_e32 v26, v13
	v_cvt_i32_f32_e32 v20, v20
	v_fmac_f32_e32 v23, 0x32a5705f, v7
	v_sub_f32_e32 v12, v12, v24
	v_add_f32_e32 v11, v11, v21
	v_exp_f32_e32 v8, v8
	v_fma_f32 v27, v4, s0, -v14
	v_rndne_f32_e32 v28, v14
	v_cvt_i32_f32_e32 v22, v22
	v_fmac_f32_e32 v25, 0x32a5705f, v5
	v_sub_f32_e32 v13, v13, v26
	v_add_f32_e32 v12, v12, v23
	v_exp_f32_e32 v11, v11
	v_cvt_i32_f32_e32 v24, v24
	v_fmac_f32_e32 v27, 0x32a5705f, v4
	v_sub_f32_e32 v14, v14, v28
	v_add_f32_e32 v13, v13, v25
	v_exp_f32_e32 v12, v12
	v_cvt_i32_f32_e32 v26, v26
	v_add_f32_e32 v14, v14, v27
	v_exp_f32_e32 v13, v13
	v_cvt_i32_f32_e32 v28, v28
	v_exp_f32_e32 v14, v14
	v_ldexp_f32 v8, v8, v20
	v_cmp_ngt_f32_e32 vcc, s1, v1
	v_ldexp_f32 v11, v11, v22
	v_cndmask_b32_e32 v8, 0, v8, vcc
	v_cmp_ngt_f32_e32 vcc, s1, v0
	v_ldexp_f32 v12, v12, v24
	v_cndmask_b32_e32 v11, 0, v11, vcc
	;; [unrolled: 3-line block ×4, first 2 shown]
	v_cmp_ngt_f32_e32 vcc, s1, v4
	v_cndmask_b32_e32 v14, 0, v14, vcc
	v_cmp_nlt_f32_e32 vcc, s2, v1
	v_cndmask_b32_e32 v8, v10, v8, vcc
	v_cmp_nlt_f32_e32 vcc, s2, v0
	v_cndmask_b32_e32 v11, v10, v11, vcc
	v_cmp_nlt_f32_e32 vcc, s2, v7
	v_cndmask_b32_e32 v7, v10, v12, vcc
	v_add_f32_e32 v0, v11, v8
	v_pk_add_f32 v[2:3], v[2:3], v[6:7] op_sel_hi:[1,0] neg_lo:[0,1] neg_hi:[0,1]
	v_cmp_nlt_f32_e32 vcc, s2, v5
	v_add_f32_e32 v5, v0, v7
	v_mul_f32_e32 v0, 0x3fb8aa3b, v3
	v_cndmask_b32_e32 v1, v10, v13, vcc
	v_fma_f32 v12, v3, s0, -v0
	v_rndne_f32_e32 v13, v0
	v_fmac_f32_e32 v12, 0x32a5705f, v3
	v_sub_f32_e32 v0, v0, v13
	v_add_f32_e32 v0, v0, v12
	v_exp_f32_e32 v12, v0
	v_cvt_i32_f32_e32 v13, v13
	v_cmp_nlt_f32_e32 vcc, s2, v4
	v_cndmask_b32_e32 v0, v10, v14, vcc
	v_add_f32_e32 v4, v5, v0
	v_ldexp_f32 v5, v12, v13
	v_mul_f32_e32 v12, 0x3fb8aa3b, v2
	v_fma_f32 v13, v2, s0, -v12
	v_rndne_f32_e32 v14, v12
	v_fmac_f32_e32 v13, 0x32a5705f, v2
	v_sub_f32_e32 v12, v12, v14
	v_add_f32_e32 v12, v12, v13
	v_exp_f32_e32 v12, v12
	v_cvt_i32_f32_e32 v13, v14
	v_cmp_ngt_f32_e32 vcc, s1, v3
	v_sub_f32_e32 v6, v9, v6
	v_cndmask_b32_e32 v5, 0, v5, vcc
	v_cmp_nlt_f32_e32 vcc, s2, v3
	v_mul_f32_e32 v9, 0x3fb8aa3b, v6
	v_cndmask_b32_e32 v3, v10, v5, vcc
	v_ldexp_f32 v5, v12, v13
	v_fma_f32 v12, v6, s0, -v9
	v_rndne_f32_e32 v13, v9
	v_fmac_f32_e32 v12, 0x32a5705f, v6
	v_sub_f32_e32 v9, v9, v13
	v_add_f32_e32 v9, v9, v12
	v_exp_f32_e32 v9, v9
	v_cvt_i32_f32_e32 v12, v13
	v_cmp_ngt_f32_e32 vcc, s1, v2
	v_cndmask_b32_e32 v5, 0, v5, vcc
	v_cmp_nlt_f32_e32 vcc, s2, v2
	v_add_f32_e32 v4, v4, v1
	v_cndmask_b32_e32 v2, v10, v5, vcc
	v_ldexp_f32 v5, v9, v12
	v_cmp_ngt_f32_e32 vcc, s1, v6
	v_add_f32_e32 v4, v4, v2
	v_cndmask_b32_e32 v5, 0, v5, vcc
	v_cmp_nlt_f32_e32 vcc, s2, v6
	v_add_f32_e32 v4, v4, v3
	v_cndmask_b32_e32 v5, v10, v5, vcc
	v_add_f32_e32 v4, v4, v5
	ds_bpermute_b32 v6, v18, v4
	s_movk_i32 s2, 0x1f8
	v_lshlrev_b32_e32 v20, 3, v17
	s_waitcnt lgkmcnt(0)
	v_add_f32_e32 v4, v4, v6
	ds_bpermute_b32 v6, v19, v4
	s_waitcnt lgkmcnt(0)
	v_add_f32_e32 v4, v4, v6
	v_div_scale_f32 v6, s[0:1], v4, v4, 1.0
	v_rcp_f32_e32 v9, v6
	s_load_dwordx2 s[0:1], s[4:5], 0x40
	v_fma_f32 v10, -v6, v9, 1.0
	v_fmac_f32_e32 v9, v10, v9
	v_div_scale_f32 v10, vcc, 1.0, v4, 1.0
	v_mul_f32_e32 v12, v10, v9
	v_fma_f32 v13, -v6, v12, v10
	v_fmac_f32_e32 v12, v13, v9
	v_fma_f32 v6, -v6, v12, v10
	v_div_fmas_f32 v6, v6, v9, v12
	v_div_fixup_f32 v4, v6, v4, 1.0
	v_mul_f32_e32 v10, v4, v11
	v_mul_f32_e32 v11, v4, v8
	v_cmp_class_f32_e64 vcc, v10, s2
	v_mul_f32_e32 v12, v4, v7
	v_pk_mul_f32 v[6:7], v[4:5], v[0:1] op_sel_hi:[0,1]
	v_cndmask_b32_e32 v0, 0, v10, vcc
	v_cmp_class_f32_e64 vcc, v11, s2
	v_pk_mul_f32 v[8:9], v[4:5], v[2:3] op_sel_hi:[0,1]
	v_mul_f32_e32 v13, v4, v5
	v_cndmask_b32_e32 v1, 0, v11, vcc
	v_cmp_class_f32_e64 vcc, v12, s2
	v_mov_b32_e32 v5, 0x207
	v_cndmask_b32_e32 v2, 0, v12, vcc
	v_cmp_class_f32_e32 vcc, v7, v5
	v_cndmask_b32_e64 v4, v7, 0, vcc
	v_cmp_class_f32_e32 vcc, v6, v5
	v_cndmask_b32_e64 v3, v6, 0, vcc
	;; [unrolled: 2-line block ×4, first 2 shown]
	v_cmp_class_f32_e64 vcc, v13, s2
	s_waitcnt lgkmcnt(0)
	s_cmp_eq_u64 s[0:1], 0
	v_cndmask_b32_e32 v7, 0, v13, vcc
	s_cbranch_scc1 .LBB179_15
; %bb.4:
	v_lshlrev_b32_e32 v21, 2, v20
	global_load_dwordx4 v[8:11], v21, s[0:1]
	global_load_dwordx4 v[12:15], v21, s[0:1] offset:16
	s_waitcnt vmcnt(1)
	v_pk_add_f32 v[8:9], v[8:9], v[0:1]
	v_pk_add_f32 v[10:11], v[10:11], v[2:3]
	s_waitcnt vmcnt(0)
	v_pk_add_f32 v[12:13], v[12:13], v[4:5]
	v_pk_add_f32 v[14:15], v[14:15], v[6:7]
	s_cbranch_execnz .LBB179_6
.LBB179_5:
	v_pk_mov_b32 v[14:15], v[6:7], v[6:7] op_sel:[0,1]
	v_pk_mov_b32 v[12:13], v[4:5], v[4:5] op_sel:[0,1]
	;; [unrolled: 1-line block ×4, first 2 shown]
.LBB179_6:
	s_load_dwordx4 s[8:11], s[4:5], 0x30
	s_mov_b32 s23, 0
	v_cmp_eq_u32_e64 s[0:1], 0, v17
	s_waitcnt lgkmcnt(0)
	s_bitcmp1_b32 s11, 0
	s_cselect_b64 vcc, -1, 0
	s_cmp_gt_i32 s8, 0
	s_cselect_b64 s[20:21], -1, 0
	s_cmp_lt_i32 s8, 1
	s_cbranch_scc1 .LBB179_16
; %bb.7:
	s_load_dwordx4 s[12:15], s[4:5], 0x20
	v_mul_lo_u32 v22, v16, s8
	v_mov_b32_e32 v21, 0
	v_mov_b32_e32 v23, 0xc61c4000
	;; [unrolled: 1-line block ×3, first 2 shown]
	s_branch .LBB179_10
.LBB179_8:                              ;   in Loop: Header=BB179_10 Depth=1
	s_or_b64 exec, exec, s[4:5]
.LBB179_9:                              ;   in Loop: Header=BB179_10 Depth=1
	s_cmp_eq_u32 s8, s23
	v_add_u32_e32 v24, s22, v24
	s_cbranch_scc1 .LBB179_17
.LBB179_10:                             ; =>This Inner Loop Header: Depth=1
	v_cmp_gt_f32_e64 s[2:3], v9, v8
	v_cndmask_b32_e64 v25, v8, v9, s[2:3]
	v_cndmask_b32_e64 v26, v0, v1, s[2:3]
	s_waitcnt lgkmcnt(0)
	v_cndmask_b32_e64 v27, 0, 1, s[2:3]
	v_cmp_gt_f32_e64 s[2:3], v10, v25
	v_cndmask_b32_e64 v25, v25, v10, s[2:3]
	v_cndmask_b32_e64 v26, v26, v2, s[2:3]
	v_cndmask_b32_e64 v27, v27, 2, s[2:3]
	v_cmp_gt_f32_e64 s[2:3], v11, v25
	v_cndmask_b32_e64 v25, v25, v11, s[2:3]
	v_cndmask_b32_e64 v26, v26, v3, s[2:3]
	;; [unrolled: 4-line block ×6, first 2 shown]
	v_or_b32_e32 v27, v20, v27
	ds_bpermute_b32 v28, v18, v25
	ds_bpermute_b32 v29, v18, v27
	v_cndmask_b32_e64 v26, v26, v7, s[2:3]
	ds_bpermute_b32 v30, v18, v26
	s_waitcnt lgkmcnt(0)
	v_cmp_eq_f32_e64 s[4:5], v25, v28
	v_cmp_lt_i32_e64 s[6:7], v29, v27
	v_cmp_lt_f32_e64 s[2:3], v25, v28
	s_and_b64 s[4:5], s[4:5], s[6:7]
	s_or_b64 s[2:3], s[2:3], s[4:5]
	v_cndmask_b32_e64 v29, v27, v29, s[2:3]
	v_cndmask_b32_e64 v25, v25, v28, s[2:3]
	ds_bpermute_b32 v28, v19, v25
	ds_bpermute_b32 v31, v19, v29
	v_cndmask_b32_e64 v26, v26, v30, s[2:3]
	ds_bpermute_b32 v27, v19, v26
	s_waitcnt lgkmcnt(2)
	v_cmp_eq_f32_e64 s[4:5], v25, v28
	s_waitcnt lgkmcnt(1)
	v_cmp_lt_i32_e64 s[6:7], v31, v29
	v_cmp_lt_f32_e64 s[2:3], v25, v28
	s_and_b64 s[4:5], s[4:5], s[6:7]
	s_or_b64 s[2:3], s[2:3], s[4:5]
	v_cndmask_b32_e64 v25, v29, v31, s[2:3]
	s_and_saveexec_b64 s[6:7], s[0:1]
	s_cbranch_execnz .LBB179_12
; %bb.11:                               ;   in Loop: Header=BB179_10 Depth=1
	s_or_b64 exec, exec, s[6:7]
	s_add_i32 s23, s23, 1
	s_cmp_ge_i32 s23, s8
	s_cbranch_scc1 .LBB179_9
	s_branch .LBB179_13
.LBB179_12:                             ;   in Loop: Header=BB179_10 Depth=1
	s_waitcnt lgkmcnt(0)
	v_cndmask_b32_e64 v32, v26, v27, s[2:3]
	v_add_u32_e32 v26, s23, v22
	v_ashrrev_i32_e32 v27, 31, v26
	v_cmp_le_i32_e64 s[2:3], s9, v25
	v_cmp_gt_i32_e64 s[4:5], s10, v25
	v_lshlrev_b64 v[28:29], 2, v[26:27]
	s_and_b64 s[4:5], s[2:3], s[4:5]
	v_mov_b32_e32 v31, s17
	v_add_co_u32_e64 v30, s[2:3], s16, v28
	v_addc_co_u32_e64 v31, s[2:3], v31, v29, s[2:3]
	global_store_dword v[30:31], v32, off
	v_subrev_u32_e32 v30, s9, v25
	v_ashrrev_i32_e32 v31, 31, v30
	s_and_b64 s[2:3], s[18:19], s[4:5]
	v_lshlrev_b64 v[26:27], 3, v[26:27]
	v_cndmask_b32_e64 v31, 0, v31, s[2:3]
	v_cndmask_b32_e64 v30, 32, v30, s[2:3]
	v_mov_b32_e32 v33, s13
	v_add_co_u32_e64 v26, s[2:3], s12, v26
	v_addc_co_u32_e64 v27, s[2:3], v33, v27, s[2:3]
	global_store_dwordx2 v[26:27], v[30:31], off
	v_mov_b32_e32 v27, s15
	v_add_co_u32_e64 v26, s[2:3], s14, v28
	v_addc_co_u32_e64 v27, s[2:3], v27, v29, s[2:3]
	global_store_dword v[26:27], v24, off
	v_add_f32_e32 v26, v21, v32
	v_cndmask_b32_e32 v21, v21, v26, vcc
	s_or_b64 exec, exec, s[6:7]
	s_add_i32 s23, s23, 1
	s_cmp_ge_i32 s23, s8
	s_cbranch_scc1 .LBB179_9
.LBB179_13:                             ;   in Loop: Header=BB179_10 Depth=1
	s_waitcnt lgkmcnt(0)
	v_ashrrev_i32_e32 v27, 31, v25
	v_lshrrev_b32_e32 v26, 29, v27
	v_add_u32_e32 v26, v25, v26
	v_ashrrev_i32_e32 v26, 3, v26
	v_lshrrev_b32_e32 v28, 30, v26
	v_add_u32_e32 v28, v26, v28
	v_and_b32_e32 v28, -4, v28
	v_sub_u32_e32 v28, v26, v28
	v_cmp_eq_u32_e64 s[2:3], v17, v28
	s_and_saveexec_b64 s[4:5], s[2:3]
	s_cbranch_execz .LBB179_8
; %bb.14:                               ;   in Loop: Header=BB179_10 Depth=1
	v_lshrrev_b32_e32 v27, 27, v27
	v_add_u32_e32 v27, v25, v27
	v_lshlrev_b32_e32 v26, 3, v26
	v_ashrrev_i32_e32 v27, 5, v27
	v_sub_u32_e32 v25, v25, v26
	v_lshl_add_u32 v25, v27, 3, v25
	v_cmp_ne_u32_e64 s[2:3], 7, v25
	v_cndmask_b32_e64 v15, v23, v15, s[2:3]
	v_cmp_ne_u32_e64 s[2:3], 6, v25
	v_cndmask_b32_e64 v14, v23, v14, s[2:3]
	;; [unrolled: 2-line block ×8, first 2 shown]
	s_branch .LBB179_8
.LBB179_15:
                                        ; implicit-def: $vgpr8_vgpr9_vgpr10_vgpr11_vgpr12_vgpr13_vgpr14_vgpr15
	s_andn2_b64 vcc, exec, s[6:7]
	s_cbranch_vccz .LBB179_5
	s_branch .LBB179_6
.LBB179_16:
	v_mov_b32_e32 v21, 0
.LBB179_17:
	v_cmp_eq_u32_e64 s[0:1], 0, v17
	s_and_b64 s[0:1], s[0:1], vcc
	s_and_b64 exec, exec, s[0:1]
	s_cbranch_execz .LBB179_26
; %bb.18:
	s_andn2_b64 vcc, exec, s[20:21]
	s_cbranch_vccnz .LBB179_26
; %bb.19:
	v_cmp_lt_f32_e32 vcc, 0, v21
	s_mov_b32 s2, 0
	v_cndmask_b32_e32 v0, 1.0, v21, vcc
	v_mul_lo_u32 v4, v16, s8
	s_cmp_eq_u32 s8, 1
	s_mov_b64 s[0:1], -1
	s_cbranch_scc1 .LBB179_23
; %bb.20:
	s_and_b32 s2, s8, 0x7ffffffe
	v_mov_b32_e32 v1, v0
	v_mov_b32_e32 v5, s17
	s_mov_b32 s3, s2
	v_mov_b32_e32 v2, v4
.LBB179_21:                             ; =>This Inner Loop Header: Depth=1
	v_ashrrev_i32_e32 v3, 31, v2
	v_lshlrev_b64 v[6:7], 2, v[2:3]
	v_add_co_u32_e32 v6, vcc, s16, v6
	v_addc_co_u32_e32 v7, vcc, v5, v7, vcc
	global_load_dwordx2 v[8:9], v[6:7], off
	s_add_i32 s3, s3, -2
	s_cmp_lg_u32 s3, 0
	v_add_u32_e32 v2, 2, v2
	s_waitcnt vmcnt(0)
	v_div_scale_f32 v3, s[0:1], v1, v1, v9
	v_div_scale_f32 v11, s[0:1], v0, v0, v8
	v_rcp_f32_e32 v12, v3
	v_rcp_f32_e32 v13, v11
	v_div_scale_f32 v10, vcc, v9, v1, v9
	v_fma_f32 v15, -v3, v12, 1.0
	v_fma_f32 v16, -v11, v13, 1.0
	v_fmac_f32_e32 v12, v15, v12
	v_div_scale_f32 v14, s[0:1], v8, v0, v8
	v_fmac_f32_e32 v13, v16, v13
	v_mul_f32_e32 v15, v10, v12
	v_mul_f32_e32 v16, v14, v13
	v_fma_f32 v17, -v3, v15, v10
	v_fma_f32 v18, -v11, v16, v14
	v_fmac_f32_e32 v15, v17, v12
	v_fmac_f32_e32 v16, v18, v13
	v_fma_f32 v3, -v3, v15, v10
	v_fma_f32 v10, -v11, v16, v14
	v_div_fmas_f32 v3, v3, v12, v15
	s_mov_b64 vcc, s[0:1]
	v_div_fixup_f32 v9, v3, v1, v9
	v_div_fmas_f32 v3, v10, v13, v16
	v_div_fixup_f32 v8, v3, v0, v8
	global_store_dwordx2 v[6:7], v[8:9], off
	s_cbranch_scc1 .LBB179_21
; %bb.22:
	s_cmp_lg_u32 s2, s8
	s_cselect_b64 s[0:1], -1, 0
.LBB179_23:
	s_and_b64 vcc, exec, s[0:1]
	s_cbranch_vccz .LBB179_26
; %bb.24:
	v_ashrrev_i32_e32 v1, 31, v4
	v_add_co_u32_e32 v2, vcc, s2, v4
	v_addc_co_u32_e32 v3, vcc, 0, v1, vcc
	v_lshlrev_b64 v[2:3], 2, v[2:3]
	v_mov_b32_e32 v1, s17
	v_add_co_u32_e32 v2, vcc, s16, v2
	s_sub_i32 s0, s8, s2
	v_addc_co_u32_e32 v3, vcc, v1, v3, vcc
.LBB179_25:                             ; =>This Inner Loop Header: Depth=1
	global_load_dword v1, v[2:3], off
	s_add_i32 s0, s0, -1
	s_cmp_lg_u32 s0, 0
	s_waitcnt vmcnt(0)
	v_div_scale_f32 v4, s[2:3], v0, v0, v1
	v_rcp_f32_e32 v5, v4
	v_div_scale_f32 v6, vcc, v1, v0, v1
	v_fma_f32 v7, -v4, v5, 1.0
	v_fmac_f32_e32 v5, v7, v5
	v_mul_f32_e32 v7, v6, v5
	v_fma_f32 v8, -v4, v7, v6
	v_fmac_f32_e32 v7, v8, v5
	v_fma_f32 v4, -v4, v7, v6
	v_div_fmas_f32 v4, v4, v5, v7
	v_div_fixup_f32 v1, v4, v0, v1
	global_store_dword v[2:3], v1, off
	v_add_co_u32_e32 v2, vcc, 4, v2
	v_addc_co_u32_e32 v3, vcc, 0, v3, vcc
	s_cbranch_scc1 .LBB179_25
.LBB179_26:
	s_endpgm
	.section	.rodata,"a",@progbits
	.p2align	6, 0x0
	.amdhsa_kernel _ZN4vllm3moe10topkGatingILi8ELi32ELi4ELi16ELi32El14__hip_bfloat16LNS0_11ScoringFuncE0EEEvPKT5_PKbPfiPT4_PiiiibPKf
		.amdhsa_group_segment_fixed_size 0
		.amdhsa_private_segment_fixed_size 0
		.amdhsa_kernarg_size 72
		.amdhsa_user_sgpr_count 6
		.amdhsa_user_sgpr_private_segment_buffer 1
		.amdhsa_user_sgpr_dispatch_ptr 0
		.amdhsa_user_sgpr_queue_ptr 0
		.amdhsa_user_sgpr_kernarg_segment_ptr 1
		.amdhsa_user_sgpr_dispatch_id 0
		.amdhsa_user_sgpr_flat_scratch_init 0
		.amdhsa_user_sgpr_kernarg_preload_length 0
		.amdhsa_user_sgpr_kernarg_preload_offset 0
		.amdhsa_user_sgpr_private_segment_size 0
		.amdhsa_uses_dynamic_stack 0
		.amdhsa_system_sgpr_private_segment_wavefront_offset 0
		.amdhsa_system_sgpr_workgroup_id_x 1
		.amdhsa_system_sgpr_workgroup_id_y 0
		.amdhsa_system_sgpr_workgroup_id_z 0
		.amdhsa_system_sgpr_workgroup_info 0
		.amdhsa_system_vgpr_workitem_id 1
		.amdhsa_next_free_vgpr 34
		.amdhsa_next_free_sgpr 24
		.amdhsa_accum_offset 36
		.amdhsa_reserve_vcc 1
		.amdhsa_reserve_flat_scratch 0
		.amdhsa_float_round_mode_32 0
		.amdhsa_float_round_mode_16_64 0
		.amdhsa_float_denorm_mode_32 3
		.amdhsa_float_denorm_mode_16_64 3
		.amdhsa_dx10_clamp 1
		.amdhsa_ieee_mode 1
		.amdhsa_fp16_overflow 0
		.amdhsa_tg_split 0
		.amdhsa_exception_fp_ieee_invalid_op 0
		.amdhsa_exception_fp_denorm_src 0
		.amdhsa_exception_fp_ieee_div_zero 0
		.amdhsa_exception_fp_ieee_overflow 0
		.amdhsa_exception_fp_ieee_underflow 0
		.amdhsa_exception_fp_ieee_inexact 0
		.amdhsa_exception_int_div_zero 0
	.end_amdhsa_kernel
	.section	.text._ZN4vllm3moe10topkGatingILi8ELi32ELi4ELi16ELi32El14__hip_bfloat16LNS0_11ScoringFuncE0EEEvPKT5_PKbPfiPT4_PiiiibPKf,"axG",@progbits,_ZN4vllm3moe10topkGatingILi8ELi32ELi4ELi16ELi32El14__hip_bfloat16LNS0_11ScoringFuncE0EEEvPKT5_PKbPfiPT4_PiiiibPKf,comdat
.Lfunc_end179:
	.size	_ZN4vllm3moe10topkGatingILi8ELi32ELi4ELi16ELi32El14__hip_bfloat16LNS0_11ScoringFuncE0EEEvPKT5_PKbPfiPT4_PiiiibPKf, .Lfunc_end179-_ZN4vllm3moe10topkGatingILi8ELi32ELi4ELi16ELi32El14__hip_bfloat16LNS0_11ScoringFuncE0EEEvPKT5_PKbPfiPT4_PiiiibPKf
                                        ; -- End function
	.section	.AMDGPU.csdata,"",@progbits
; Kernel info:
; codeLenInByte = 2772
; NumSgprs: 28
; NumVgprs: 34
; NumAgprs: 0
; TotalNumVgprs: 34
; ScratchSize: 0
; MemoryBound: 0
; FloatMode: 240
; IeeeMode: 1
; LDSByteSize: 0 bytes/workgroup (compile time only)
; SGPRBlocks: 3
; VGPRBlocks: 4
; NumSGPRsForWavesPerEU: 28
; NumVGPRsForWavesPerEU: 34
; AccumOffset: 36
; Occupancy: 8
; WaveLimiterHint : 0
; COMPUTE_PGM_RSRC2:SCRATCH_EN: 0
; COMPUTE_PGM_RSRC2:USER_SGPR: 6
; COMPUTE_PGM_RSRC2:TRAP_HANDLER: 0
; COMPUTE_PGM_RSRC2:TGID_X_EN: 1
; COMPUTE_PGM_RSRC2:TGID_Y_EN: 0
; COMPUTE_PGM_RSRC2:TGID_Z_EN: 0
; COMPUTE_PGM_RSRC2:TIDIG_COMP_CNT: 1
; COMPUTE_PGM_RSRC3_GFX90A:ACCUM_OFFSET: 8
; COMPUTE_PGM_RSRC3_GFX90A:TG_SPLIT: 0
	.section	.text._ZN4vllm3moe10topkGatingILi8ELi64ELi4ELi16ELi64El14__hip_bfloat16LNS0_11ScoringFuncE0EEEvPKT5_PKbPfiPT4_PiiiibPKf,"axG",@progbits,_ZN4vllm3moe10topkGatingILi8ELi64ELi4ELi16ELi64El14__hip_bfloat16LNS0_11ScoringFuncE0EEEvPKT5_PKbPfiPT4_PiiiibPKf,comdat
	.protected	_ZN4vllm3moe10topkGatingILi8ELi64ELi4ELi16ELi64El14__hip_bfloat16LNS0_11ScoringFuncE0EEEvPKT5_PKbPfiPT4_PiiiibPKf ; -- Begin function _ZN4vllm3moe10topkGatingILi8ELi64ELi4ELi16ELi64El14__hip_bfloat16LNS0_11ScoringFuncE0EEEvPKT5_PKbPfiPT4_PiiiibPKf
	.globl	_ZN4vllm3moe10topkGatingILi8ELi64ELi4ELi16ELi64El14__hip_bfloat16LNS0_11ScoringFuncE0EEEvPKT5_PKbPfiPT4_PiiiibPKf
	.p2align	8
	.type	_ZN4vllm3moe10topkGatingILi8ELi64ELi4ELi16ELi64El14__hip_bfloat16LNS0_11ScoringFuncE0EEEvPKT5_PKbPfiPT4_PiiiibPKf,@function
_ZN4vllm3moe10topkGatingILi8ELi64ELi4ELi16ELi64El14__hip_bfloat16LNS0_11ScoringFuncE0EEEvPKT5_PKbPfiPT4_PiiiibPKf: ; @_ZN4vllm3moe10topkGatingILi8ELi64ELi4ELi16ELi64El14__hip_bfloat16LNS0_11ScoringFuncE0EEEvPKT5_PKbPfiPT4_PiiiibPKf
; %bb.0:
	s_load_dword s24, s[4:5], 0x18
	v_bfe_u32 v1, v0, 10, 10
	v_and_b32_e32 v0, 0x3ff, v0
	s_lshl_b32 s0, s6, 5
	v_lshlrev_b32_e32 v1, 3, v1
	v_lshrrev_b32_e32 v2, 3, v0
	v_add3_u32 v17, s0, v1, v2
	s_waitcnt lgkmcnt(0)
	v_cmp_gt_i32_e32 vcc, s24, v17
	s_and_saveexec_b64 s[0:1], vcc
	s_cbranch_execz .LBB180_30
; %bb.1:
	s_load_dwordx4 s[0:3], s[4:5], 0x0
	s_load_dwordx2 s[16:17], s[4:5], 0x10
	s_mov_b64 s[6:7], -1
	s_mov_b64 s[18:19], -1
	s_waitcnt lgkmcnt(0)
	s_cmp_eq_u64 s[2:3], 0
	s_cbranch_scc1 .LBB180_3
; %bb.2:
	v_ashrrev_i32_e32 v1, 31, v17
	v_mov_b32_e32 v3, s3
	v_add_co_u32_e32 v2, vcc, s2, v17
	v_addc_co_u32_e32 v3, vcc, v3, v1, vcc
	global_load_ubyte v1, v[2:3], off
	s_waitcnt vmcnt(0)
	v_and_b32_e32 v1, 1, v1
	v_cmp_eq_u32_e32 vcc, 1, v1
	s_xor_b64 s[2:3], vcc, -1
	s_orn2_b64 s[18:19], s[2:3], exec
.LBB180_3:
	v_lshlrev_b32_e32 v2, 6, v17
	v_ashrrev_i32_e32 v3, 31, v2
	v_lshlrev_b64 v[2:3], 1, v[2:3]
	v_mov_b32_e32 v1, s1
	v_add_co_u32_e32 v2, vcc, s0, v2
	v_and_b32_e32 v21, 7, v0
	v_addc_co_u32_e32 v1, vcc, v1, v3, vcc
	v_lshlrev_b32_e32 v0, 4, v21
	v_add_co_u32_e32 v0, vcc, v2, v0
	v_addc_co_u32_e32 v1, vcc, 0, v1, vcc
	global_load_dwordx4 v[0:3], v[0:1], off
	v_mbcnt_lo_u32_b32 v4, -1, 0
	v_mbcnt_hi_u32_b32 v6, -1, v4
	v_and_b32_e32 v4, 0x78, v6
	v_xor_b32_e32 v5, 4, v6
	v_add_u32_e32 v7, 8, v4
	v_cmp_lt_i32_e32 vcc, v5, v7
	v_cndmask_b32_e32 v4, v6, v5, vcc
	v_lshlrev_b32_e32 v22, 2, v4
	v_xor_b32_e32 v12, 2, v6
	v_cmp_lt_i32_e32 vcc, v12, v7
	v_cndmask_b32_e32 v12, v6, v12, vcc
	v_lshlrev_b32_e32 v23, 2, v12
	v_xor_b32_e32 v12, 1, v6
	v_cmp_lt_i32_e32 vcc, v12, v7
	v_cndmask_b32_e32 v6, v6, v12, vcc
	v_lshlrev_b32_e32 v24, 2, v6
	s_mov_b32 s0, 0x3fb8aa3b
	s_mov_b32 s1, 0xc2ce8ed0
	;; [unrolled: 1-line block ×3, first 2 shown]
	s_waitcnt vmcnt(0)
	v_lshlrev_b32_e32 v8, 16, v1
	v_and_b32_e32 v4, 0xffff0000, v1
	v_and_b32_e32 v1, 0xffff0000, v0
	v_lshlrev_b32_e32 v0, 16, v0
	v_max_f32_e32 v10, v1, v1
	v_max_f32_e32 v11, v0, v0
	;; [unrolled: 1-line block ×3, first 2 shown]
	v_lshlrev_b32_e32 v5, 16, v2
	v_and_b32_e32 v2, 0xffff0000, v2
	v_max3_f32 v10, v10, v8, v4
	v_and_b32_e32 v9, 0xffff0000, v3
	v_lshlrev_b32_e32 v3, 16, v3
	v_max3_f32 v10, v10, v5, v2
	v_max3_f32 v10, v10, v3, v9
	ds_bpermute_b32 v11, v22, v10
	s_waitcnt lgkmcnt(0)
	v_max_f32_e32 v11, v11, v11
	v_max_f32_e32 v10, v10, v11
	ds_bpermute_b32 v11, v23, v10
	s_waitcnt lgkmcnt(0)
	v_max_f32_e32 v6, v11, v11
	v_max_f32_e32 v6, v10, v6
	ds_bpermute_b32 v7, v24, v6
	v_mov_b32_e32 v10, 0x7f800000
	s_waitcnt lgkmcnt(0)
	v_max_f32_e32 v7, v7, v7
	v_max_f32_e32 v6, v6, v7
	v_pk_add_f32 v[0:1], v[0:1], v[6:7] op_sel_hi:[1,0] neg_lo:[0,1] neg_hi:[0,1]
	v_sub_f32_e32 v7, v8, v6
	v_mul_f32_e32 v8, 0x3fb8aa3b, v1
	v_mul_f32_e32 v11, 0x3fb8aa3b, v0
	v_fma_f32 v15, v1, s0, -v8
	v_rndne_f32_e32 v16, v8
	v_pk_add_f32 v[4:5], v[4:5], v[6:7] op_sel_hi:[1,0] neg_lo:[0,1] neg_hi:[0,1]
	v_mul_f32_e32 v12, 0x3fb8aa3b, v7
	v_fma_f32 v18, v0, s0, -v11
	v_rndne_f32_e32 v19, v11
	v_fmac_f32_e32 v15, 0x32a5705f, v1
	v_sub_f32_e32 v8, v8, v16
	v_mul_f32_e32 v13, 0x3fb8aa3b, v5
	v_fma_f32 v20, v7, s0, -v12
	v_rndne_f32_e32 v25, v12
	v_fmac_f32_e32 v18, 0x32a5705f, v0
	v_sub_f32_e32 v11, v11, v19
	v_add_f32_e32 v8, v8, v15
	v_mul_f32_e32 v14, 0x3fb8aa3b, v4
	v_fma_f32 v26, v5, s0, -v13
	v_rndne_f32_e32 v27, v13
	v_cvt_i32_f32_e32 v16, v16
	v_fmac_f32_e32 v20, 0x32a5705f, v7
	v_sub_f32_e32 v12, v12, v25
	v_add_f32_e32 v11, v11, v18
	v_exp_f32_e32 v8, v8
	v_fma_f32 v28, v4, s0, -v14
	v_rndne_f32_e32 v29, v14
	v_cvt_i32_f32_e32 v19, v19
	v_fmac_f32_e32 v26, 0x32a5705f, v5
	v_sub_f32_e32 v13, v13, v27
	v_add_f32_e32 v12, v12, v20
	v_exp_f32_e32 v11, v11
	v_cvt_i32_f32_e32 v25, v25
	v_fmac_f32_e32 v28, 0x32a5705f, v4
	v_sub_f32_e32 v14, v14, v29
	v_add_f32_e32 v13, v13, v26
	v_exp_f32_e32 v12, v12
	v_cvt_i32_f32_e32 v27, v27
	v_add_f32_e32 v14, v14, v28
	v_exp_f32_e32 v13, v13
	v_cvt_i32_f32_e32 v29, v29
	v_exp_f32_e32 v14, v14
	v_ldexp_f32 v8, v8, v16
	v_cmp_ngt_f32_e32 vcc, s1, v1
	v_ldexp_f32 v11, v11, v19
	v_cndmask_b32_e32 v8, 0, v8, vcc
	v_cmp_ngt_f32_e32 vcc, s1, v0
	v_ldexp_f32 v12, v12, v25
	v_cndmask_b32_e32 v11, 0, v11, vcc
	;; [unrolled: 3-line block ×4, first 2 shown]
	v_cmp_ngt_f32_e32 vcc, s1, v4
	v_cndmask_b32_e32 v14, 0, v14, vcc
	v_cmp_nlt_f32_e32 vcc, s2, v1
	v_cndmask_b32_e32 v8, v10, v8, vcc
	v_cmp_nlt_f32_e32 vcc, s2, v0
	;; [unrolled: 2-line block ×3, first 2 shown]
	v_cndmask_b32_e32 v7, v10, v12, vcc
	v_add_f32_e32 v0, v11, v8
	v_pk_add_f32 v[2:3], v[2:3], v[6:7] op_sel_hi:[1,0] neg_lo:[0,1] neg_hi:[0,1]
	v_cmp_nlt_f32_e32 vcc, s2, v5
	v_add_f32_e32 v5, v0, v7
	v_mul_f32_e32 v0, 0x3fb8aa3b, v3
	v_cndmask_b32_e32 v1, v10, v13, vcc
	v_fma_f32 v12, v3, s0, -v0
	v_rndne_f32_e32 v13, v0
	v_fmac_f32_e32 v12, 0x32a5705f, v3
	v_sub_f32_e32 v0, v0, v13
	v_add_f32_e32 v0, v0, v12
	v_exp_f32_e32 v12, v0
	v_cvt_i32_f32_e32 v13, v13
	v_cmp_nlt_f32_e32 vcc, s2, v4
	v_cndmask_b32_e32 v0, v10, v14, vcc
	v_add_f32_e32 v4, v5, v0
	v_ldexp_f32 v5, v12, v13
	v_mul_f32_e32 v12, 0x3fb8aa3b, v2
	v_fma_f32 v13, v2, s0, -v12
	v_rndne_f32_e32 v14, v12
	v_fmac_f32_e32 v13, 0x32a5705f, v2
	v_sub_f32_e32 v12, v12, v14
	v_add_f32_e32 v12, v12, v13
	v_exp_f32_e32 v12, v12
	v_cvt_i32_f32_e32 v13, v14
	v_cmp_ngt_f32_e32 vcc, s1, v3
	v_sub_f32_e32 v6, v9, v6
	v_cndmask_b32_e32 v5, 0, v5, vcc
	v_cmp_nlt_f32_e32 vcc, s2, v3
	v_mul_f32_e32 v9, 0x3fb8aa3b, v6
	v_cndmask_b32_e32 v3, v10, v5, vcc
	v_ldexp_f32 v5, v12, v13
	v_fma_f32 v12, v6, s0, -v9
	v_rndne_f32_e32 v13, v9
	v_fmac_f32_e32 v12, 0x32a5705f, v6
	v_sub_f32_e32 v9, v9, v13
	v_add_f32_e32 v9, v9, v12
	v_exp_f32_e32 v9, v9
	v_cvt_i32_f32_e32 v12, v13
	v_cmp_ngt_f32_e32 vcc, s1, v2
	v_cndmask_b32_e32 v5, 0, v5, vcc
	v_cmp_nlt_f32_e32 vcc, s2, v2
	v_add_f32_e32 v4, v4, v1
	v_cndmask_b32_e32 v2, v10, v5, vcc
	v_ldexp_f32 v5, v9, v12
	v_cmp_ngt_f32_e32 vcc, s1, v6
	v_add_f32_e32 v4, v4, v2
	v_cndmask_b32_e32 v5, 0, v5, vcc
	v_cmp_nlt_f32_e32 vcc, s2, v6
	v_add_f32_e32 v4, v4, v3
	v_cndmask_b32_e32 v5, v10, v5, vcc
	v_add_f32_e32 v4, v4, v5
	ds_bpermute_b32 v6, v22, v4
	s_movk_i32 s2, 0x1f8
	v_lshlrev_b32_e32 v25, 3, v21
	s_waitcnt lgkmcnt(0)
	v_add_f32_e32 v4, v4, v6
	ds_bpermute_b32 v6, v23, v4
	s_waitcnt lgkmcnt(0)
	v_add_f32_e32 v4, v4, v6
	ds_bpermute_b32 v6, v24, v4
	s_waitcnt lgkmcnt(0)
	v_add_f32_e32 v4, v4, v6
	v_div_scale_f32 v6, s[0:1], v4, v4, 1.0
	v_rcp_f32_e32 v9, v6
	s_load_dwordx2 s[0:1], s[4:5], 0x40
	v_fma_f32 v10, -v6, v9, 1.0
	v_fmac_f32_e32 v9, v10, v9
	v_div_scale_f32 v10, vcc, 1.0, v4, 1.0
	v_mul_f32_e32 v12, v10, v9
	v_fma_f32 v13, -v6, v12, v10
	v_fmac_f32_e32 v12, v13, v9
	v_fma_f32 v6, -v6, v12, v10
	v_div_fmas_f32 v6, v6, v9, v12
	v_div_fixup_f32 v4, v6, v4, 1.0
	v_mul_f32_e32 v10, v4, v11
	v_mul_f32_e32 v11, v4, v8
	v_cmp_class_f32_e64 vcc, v10, s2
	v_mul_f32_e32 v12, v4, v7
	v_pk_mul_f32 v[6:7], v[4:5], v[0:1] op_sel_hi:[0,1]
	v_cndmask_b32_e32 v0, 0, v10, vcc
	v_cmp_class_f32_e64 vcc, v11, s2
	v_pk_mul_f32 v[8:9], v[4:5], v[2:3] op_sel_hi:[0,1]
	v_mul_f32_e32 v13, v4, v5
	v_cndmask_b32_e32 v1, 0, v11, vcc
	v_cmp_class_f32_e64 vcc, v12, s2
	v_mov_b32_e32 v5, 0x207
	v_cndmask_b32_e32 v2, 0, v12, vcc
	v_cmp_class_f32_e32 vcc, v7, v5
	v_cndmask_b32_e64 v4, v7, 0, vcc
	v_cmp_class_f32_e32 vcc, v6, v5
	v_cndmask_b32_e64 v3, v6, 0, vcc
	v_cmp_class_f32_e32 vcc, v9, v5
	v_cndmask_b32_e64 v6, v9, 0, vcc
	v_cmp_class_f32_e32 vcc, v8, v5
	v_cndmask_b32_e64 v5, v8, 0, vcc
	v_cmp_class_f32_e64 vcc, v13, s2
	s_waitcnt lgkmcnt(0)
	s_cmp_eq_u64 s[0:1], 0
	v_cndmask_b32_e32 v7, 0, v13, vcc
	s_cbranch_scc1 .LBB180_19
; %bb.4:
	v_lshlrev_b32_e32 v16, 2, v25
	global_load_dwordx4 v[8:11], v16, s[0:1]
	global_load_dwordx4 v[12:15], v16, s[0:1] offset:16
	s_waitcnt vmcnt(1)
	v_pk_add_f32 v[8:9], v[8:9], v[0:1]
	v_pk_add_f32 v[10:11], v[10:11], v[2:3]
	s_waitcnt vmcnt(0)
	v_pk_add_f32 v[12:13], v[12:13], v[4:5]
	v_pk_add_f32 v[14:15], v[14:15], v[6:7]
	s_cbranch_execnz .LBB180_6
.LBB180_5:
	v_pk_mov_b32 v[14:15], v[6:7], v[6:7] op_sel:[0,1]
	v_pk_mov_b32 v[12:13], v[4:5], v[4:5] op_sel:[0,1]
	v_pk_mov_b32 v[10:11], v[2:3], v[2:3] op_sel:[0,1]
	v_pk_mov_b32 v[8:9], v[0:1], v[0:1] op_sel:[0,1]
.LBB180_6:
	s_load_dwordx4 s[8:11], s[4:5], 0x30
	s_mov_b32 s25, 0
	v_cmp_eq_u32_e64 s[0:1], 0, v21
	s_waitcnt lgkmcnt(0)
	s_bitcmp1_b32 s11, 0
	s_cselect_b64 vcc, -1, 0
	s_cmp_gt_i32 s8, 0
	s_cselect_b64 s[20:21], -1, 0
	s_cmp_lt_i32 s8, 1
	s_cbranch_scc1 .LBB180_20
; %bb.7:
	s_load_dwordx4 s[12:15], s[4:5], 0x20
	v_mul_lo_u32 v27, v17, s8
	v_mov_b32_e32 v26, 0
	v_mov_b32_e32 v28, 0xc61c4000
	;; [unrolled: 1-line block ×3, first 2 shown]
	s_branch .LBB180_10
.LBB180_8:                              ;   in Loop: Header=BB180_10 Depth=1
	s_or_b64 exec, exec, s[4:5]
.LBB180_9:                              ;   in Loop: Header=BB180_10 Depth=1
	s_cmp_eq_u32 s8, s25
	v_add_u32_e32 v29, s24, v29
	s_cbranch_scc1 .LBB180_21
.LBB180_10:                             ; =>This Inner Loop Header: Depth=1
	v_cmp_gt_f32_e64 s[2:3], v9, v8
	v_cndmask_b32_e64 v16, v8, v9, s[2:3]
	v_cndmask_b32_e64 v18, v0, v1, s[2:3]
	s_waitcnt lgkmcnt(0)
	v_cndmask_b32_e64 v19, 0, 1, s[2:3]
	v_cmp_gt_f32_e64 s[2:3], v10, v16
	v_cndmask_b32_e64 v16, v16, v10, s[2:3]
	v_cndmask_b32_e64 v18, v18, v2, s[2:3]
	v_cndmask_b32_e64 v19, v19, 2, s[2:3]
	v_cmp_gt_f32_e64 s[2:3], v11, v16
	v_cndmask_b32_e64 v16, v16, v11, s[2:3]
	v_cndmask_b32_e64 v18, v18, v3, s[2:3]
	;; [unrolled: 4-line block ×6, first 2 shown]
	v_or_b32_e32 v19, v25, v19
	ds_bpermute_b32 v20, v22, v16
	ds_bpermute_b32 v30, v22, v19
	v_cndmask_b32_e64 v18, v18, v7, s[2:3]
	ds_bpermute_b32 v32, v22, v18
	s_waitcnt lgkmcnt(0)
	v_cmp_eq_f32_e64 s[4:5], v16, v20
	v_cmp_lt_i32_e64 s[6:7], v30, v19
	v_cmp_lt_f32_e64 s[2:3], v16, v20
	s_and_b64 s[4:5], s[4:5], s[6:7]
	s_or_b64 s[2:3], s[2:3], s[4:5]
	v_cndmask_b32_e64 v31, v16, v20, s[2:3]
	v_cndmask_b32_e64 v30, v19, v30, s[2:3]
	;; [unrolled: 1-line block ×3, first 2 shown]
	ds_bpermute_b32 v33, v23, v31
	ds_bpermute_b32 v20, v23, v16
	;; [unrolled: 1-line block ×3, first 2 shown]
                                        ; implicit-def: $vgpr18_vgpr19
	s_waitcnt lgkmcnt(2)
	v_cmp_lt_f32_e64 s[6:7], v31, v33
	v_cmp_nlt_f32_e64 s[2:3], v31, v33
	s_and_saveexec_b64 s[22:23], s[2:3]
	s_cbranch_execz .LBB180_12
; %bb.11:                               ;   in Loop: Header=BB180_10 Depth=1
	v_cmp_eq_f32_e64 s[2:3], v31, v33
	s_waitcnt lgkmcnt(0)
	v_cmp_lt_i32_e64 s[4:5], v32, v30
	s_and_b64 s[2:3], s[2:3], s[4:5]
	s_andn2_b64 s[4:5], s[6:7], exec
	s_and_b64 s[2:3], s[2:3], exec
	s_or_b64 s[6:7], s[4:5], s[2:3]
	v_pk_mov_b32 v[18:19], v[16:17], v[16:17] op_sel:[0,1]
.LBB180_12:                             ;   in Loop: Header=BB180_10 Depth=1
	s_or_b64 exec, exec, s[22:23]
	s_and_saveexec_b64 s[2:3], s[6:7]
	s_cbranch_execz .LBB180_14
; %bb.13:                               ;   in Loop: Header=BB180_10 Depth=1
	v_mov_b32_e32 v31, v33
	s_waitcnt lgkmcnt(1)
	v_mov_b32_e32 v16, v20
	s_waitcnt lgkmcnt(0)
	v_mov_b32_e32 v30, v32
	v_pk_mov_b32 v[18:19], v[20:21], v[20:21] op_sel:[0,1]
.LBB180_14:                             ;   in Loop: Header=BB180_10 Depth=1
	s_or_b64 exec, exec, s[2:3]
	s_waitcnt lgkmcnt(1)
	ds_bpermute_b32 v20, v24, v31
	s_waitcnt lgkmcnt(1)
	ds_bpermute_b32 v32, v24, v30
	ds_bpermute_b32 v19, v24, v16
	s_waitcnt lgkmcnt(2)
	v_cmp_eq_f32_e64 s[4:5], v31, v20
	s_waitcnt lgkmcnt(1)
	v_cmp_lt_i32_e64 s[6:7], v32, v30
	v_cmp_lt_f32_e64 s[2:3], v31, v20
	s_and_b64 s[4:5], s[4:5], s[6:7]
	s_or_b64 s[2:3], s[2:3], s[4:5]
	v_cndmask_b32_e64 v16, v30, v32, s[2:3]
	s_and_saveexec_b64 s[6:7], s[0:1]
	s_cbranch_execnz .LBB180_16
; %bb.15:                               ;   in Loop: Header=BB180_10 Depth=1
	s_or_b64 exec, exec, s[6:7]
	s_add_i32 s25, s25, 1
	s_cmp_ge_i32 s25, s8
	s_cbranch_scc1 .LBB180_9
	s_branch .LBB180_17
.LBB180_16:                             ;   in Loop: Header=BB180_10 Depth=1
	s_waitcnt lgkmcnt(0)
	v_cndmask_b32_e64 v20, v18, v19, s[2:3]
	v_add_u32_e32 v18, s25, v27
	v_ashrrev_i32_e32 v19, 31, v18
	v_cmp_le_i32_e64 s[2:3], s9, v16
	v_cmp_gt_i32_e64 s[4:5], s10, v16
	v_lshlrev_b64 v[30:31], 2, v[18:19]
	s_and_b64 s[4:5], s[2:3], s[4:5]
	v_mov_b32_e32 v33, s17
	v_add_co_u32_e64 v32, s[2:3], s16, v30
	v_addc_co_u32_e64 v33, s[2:3], v33, v31, s[2:3]
	global_store_dword v[32:33], v20, off
	v_subrev_u32_e32 v32, s9, v16
	v_ashrrev_i32_e32 v33, 31, v32
	s_and_b64 s[2:3], s[18:19], s[4:5]
	v_lshlrev_b64 v[18:19], 3, v[18:19]
	v_cndmask_b32_e64 v33, 0, v33, s[2:3]
	v_cndmask_b32_e64 v32, 64, v32, s[2:3]
	v_mov_b32_e32 v34, s13
	v_add_co_u32_e64 v18, s[2:3], s12, v18
	v_addc_co_u32_e64 v19, s[2:3], v34, v19, s[2:3]
	global_store_dwordx2 v[18:19], v[32:33], off
	v_mov_b32_e32 v19, s15
	v_add_co_u32_e64 v18, s[2:3], s14, v30
	v_addc_co_u32_e64 v19, s[2:3], v19, v31, s[2:3]
	global_store_dword v[18:19], v29, off
	v_add_f32_e32 v18, v26, v20
	v_cndmask_b32_e32 v26, v26, v18, vcc
	s_or_b64 exec, exec, s[6:7]
	s_add_i32 s25, s25, 1
	s_cmp_ge_i32 s25, s8
	s_cbranch_scc1 .LBB180_9
.LBB180_17:                             ;   in Loop: Header=BB180_10 Depth=1
	s_waitcnt lgkmcnt(0)
	v_ashrrev_i32_e32 v19, 31, v16
	v_lshrrev_b32_e32 v18, 29, v19
	v_add_u32_e32 v18, v16, v18
	v_ashrrev_i32_e32 v18, 3, v18
	v_lshrrev_b32_e32 v20, 29, v18
	v_add_u32_e32 v20, v18, v20
	v_and_b32_e32 v20, -8, v20
	v_sub_u32_e32 v20, v18, v20
	v_cmp_eq_u32_e64 s[2:3], v21, v20
	s_and_saveexec_b64 s[4:5], s[2:3]
	s_cbranch_execz .LBB180_8
; %bb.18:                               ;   in Loop: Header=BB180_10 Depth=1
	v_lshrrev_b32_e32 v19, 26, v19
	v_add_u32_e32 v19, v16, v19
	v_lshlrev_b32_e32 v18, 3, v18
	v_ashrrev_i32_e32 v19, 6, v19
	v_sub_u32_e32 v16, v16, v18
	v_lshl_add_u32 v16, v19, 3, v16
	v_cmp_ne_u32_e64 s[2:3], 7, v16
	v_cndmask_b32_e64 v15, v28, v15, s[2:3]
	v_cmp_ne_u32_e64 s[2:3], 6, v16
	v_cndmask_b32_e64 v14, v28, v14, s[2:3]
	;; [unrolled: 2-line block ×8, first 2 shown]
	s_branch .LBB180_8
.LBB180_19:
                                        ; implicit-def: $vgpr8_vgpr9_vgpr10_vgpr11_vgpr12_vgpr13_vgpr14_vgpr15
	s_andn2_b64 vcc, exec, s[6:7]
	s_cbranch_vccz .LBB180_5
	s_branch .LBB180_6
.LBB180_20:
	v_mov_b32_e32 v26, 0
.LBB180_21:
	v_cmp_eq_u32_e64 s[0:1], 0, v21
	s_and_b64 s[0:1], s[0:1], vcc
	s_and_b64 exec, exec, s[0:1]
	s_cbranch_execz .LBB180_30
; %bb.22:
	s_andn2_b64 vcc, exec, s[20:21]
	s_cbranch_vccnz .LBB180_30
; %bb.23:
	v_cmp_lt_f32_e32 vcc, 0, v26
	s_mov_b32 s2, 0
	v_cndmask_b32_e32 v0, 1.0, v26, vcc
	v_mul_lo_u32 v4, v17, s8
	s_cmp_eq_u32 s8, 1
	s_mov_b64 s[0:1], -1
	s_cbranch_scc1 .LBB180_27
; %bb.24:
	s_and_b32 s2, s8, 0x7ffffffe
	v_mov_b32_e32 v1, v0
	v_mov_b32_e32 v5, s17
	s_mov_b32 s3, s2
	v_mov_b32_e32 v2, v4
.LBB180_25:                             ; =>This Inner Loop Header: Depth=1
	v_ashrrev_i32_e32 v3, 31, v2
	v_lshlrev_b64 v[6:7], 2, v[2:3]
	v_add_co_u32_e32 v6, vcc, s16, v6
	v_addc_co_u32_e32 v7, vcc, v5, v7, vcc
	global_load_dwordx2 v[8:9], v[6:7], off
	s_add_i32 s3, s3, -2
	s_cmp_lg_u32 s3, 0
	v_add_u32_e32 v2, 2, v2
	s_waitcnt vmcnt(0)
	v_div_scale_f32 v3, s[0:1], v1, v1, v9
	v_div_scale_f32 v11, s[0:1], v0, v0, v8
	v_rcp_f32_e32 v12, v3
	v_rcp_f32_e32 v13, v11
	v_div_scale_f32 v10, vcc, v9, v1, v9
	v_fma_f32 v15, -v3, v12, 1.0
	v_fma_f32 v16, -v11, v13, 1.0
	v_fmac_f32_e32 v12, v15, v12
	v_div_scale_f32 v14, s[0:1], v8, v0, v8
	v_fmac_f32_e32 v13, v16, v13
	v_mul_f32_e32 v15, v10, v12
	v_mul_f32_e32 v16, v14, v13
	v_fma_f32 v17, -v3, v15, v10
	v_fma_f32 v18, -v11, v16, v14
	v_fmac_f32_e32 v15, v17, v12
	v_fmac_f32_e32 v16, v18, v13
	v_fma_f32 v3, -v3, v15, v10
	v_fma_f32 v10, -v11, v16, v14
	v_div_fmas_f32 v3, v3, v12, v15
	s_mov_b64 vcc, s[0:1]
	v_div_fixup_f32 v9, v3, v1, v9
	v_div_fmas_f32 v3, v10, v13, v16
	v_div_fixup_f32 v8, v3, v0, v8
	global_store_dwordx2 v[6:7], v[8:9], off
	s_cbranch_scc1 .LBB180_25
; %bb.26:
	s_cmp_lg_u32 s2, s8
	s_cselect_b64 s[0:1], -1, 0
.LBB180_27:
	s_and_b64 vcc, exec, s[0:1]
	s_cbranch_vccz .LBB180_30
; %bb.28:
	v_ashrrev_i32_e32 v1, 31, v4
	v_add_co_u32_e32 v2, vcc, s2, v4
	v_addc_co_u32_e32 v3, vcc, 0, v1, vcc
	v_lshlrev_b64 v[2:3], 2, v[2:3]
	v_mov_b32_e32 v1, s17
	v_add_co_u32_e32 v2, vcc, s16, v2
	s_sub_i32 s0, s8, s2
	v_addc_co_u32_e32 v3, vcc, v1, v3, vcc
.LBB180_29:                             ; =>This Inner Loop Header: Depth=1
	global_load_dword v1, v[2:3], off
	s_add_i32 s0, s0, -1
	s_cmp_lg_u32 s0, 0
	s_waitcnt vmcnt(0)
	v_div_scale_f32 v4, s[2:3], v0, v0, v1
	v_rcp_f32_e32 v5, v4
	v_div_scale_f32 v6, vcc, v1, v0, v1
	v_fma_f32 v7, -v4, v5, 1.0
	v_fmac_f32_e32 v5, v7, v5
	v_mul_f32_e32 v7, v6, v5
	v_fma_f32 v8, -v4, v7, v6
	v_fmac_f32_e32 v7, v8, v5
	v_fma_f32 v4, -v4, v7, v6
	v_div_fmas_f32 v4, v4, v5, v7
	v_div_fixup_f32 v1, v4, v0, v1
	global_store_dword v[2:3], v1, off
	v_add_co_u32_e32 v2, vcc, 4, v2
	v_addc_co_u32_e32 v3, vcc, 0, v3, vcc
	s_cbranch_scc1 .LBB180_29
.LBB180_30:
	s_endpgm
	.section	.rodata,"a",@progbits
	.p2align	6, 0x0
	.amdhsa_kernel _ZN4vllm3moe10topkGatingILi8ELi64ELi4ELi16ELi64El14__hip_bfloat16LNS0_11ScoringFuncE0EEEvPKT5_PKbPfiPT4_PiiiibPKf
		.amdhsa_group_segment_fixed_size 0
		.amdhsa_private_segment_fixed_size 0
		.amdhsa_kernarg_size 72
		.amdhsa_user_sgpr_count 6
		.amdhsa_user_sgpr_private_segment_buffer 1
		.amdhsa_user_sgpr_dispatch_ptr 0
		.amdhsa_user_sgpr_queue_ptr 0
		.amdhsa_user_sgpr_kernarg_segment_ptr 1
		.amdhsa_user_sgpr_dispatch_id 0
		.amdhsa_user_sgpr_flat_scratch_init 0
		.amdhsa_user_sgpr_kernarg_preload_length 0
		.amdhsa_user_sgpr_kernarg_preload_offset 0
		.amdhsa_user_sgpr_private_segment_size 0
		.amdhsa_uses_dynamic_stack 0
		.amdhsa_system_sgpr_private_segment_wavefront_offset 0
		.amdhsa_system_sgpr_workgroup_id_x 1
		.amdhsa_system_sgpr_workgroup_id_y 0
		.amdhsa_system_sgpr_workgroup_id_z 0
		.amdhsa_system_sgpr_workgroup_info 0
		.amdhsa_system_vgpr_workitem_id 1
		.amdhsa_next_free_vgpr 35
		.amdhsa_next_free_sgpr 26
		.amdhsa_accum_offset 36
		.amdhsa_reserve_vcc 1
		.amdhsa_reserve_flat_scratch 0
		.amdhsa_float_round_mode_32 0
		.amdhsa_float_round_mode_16_64 0
		.amdhsa_float_denorm_mode_32 3
		.amdhsa_float_denorm_mode_16_64 3
		.amdhsa_dx10_clamp 1
		.amdhsa_ieee_mode 1
		.amdhsa_fp16_overflow 0
		.amdhsa_tg_split 0
		.amdhsa_exception_fp_ieee_invalid_op 0
		.amdhsa_exception_fp_denorm_src 0
		.amdhsa_exception_fp_ieee_div_zero 0
		.amdhsa_exception_fp_ieee_overflow 0
		.amdhsa_exception_fp_ieee_underflow 0
		.amdhsa_exception_fp_ieee_inexact 0
		.amdhsa_exception_int_div_zero 0
	.end_amdhsa_kernel
	.section	.text._ZN4vllm3moe10topkGatingILi8ELi64ELi4ELi16ELi64El14__hip_bfloat16LNS0_11ScoringFuncE0EEEvPKT5_PKbPfiPT4_PiiiibPKf,"axG",@progbits,_ZN4vllm3moe10topkGatingILi8ELi64ELi4ELi16ELi64El14__hip_bfloat16LNS0_11ScoringFuncE0EEEvPKT5_PKbPfiPT4_PiiiibPKf,comdat
.Lfunc_end180:
	.size	_ZN4vllm3moe10topkGatingILi8ELi64ELi4ELi16ELi64El14__hip_bfloat16LNS0_11ScoringFuncE0EEEvPKT5_PKbPfiPT4_PiiiibPKf, .Lfunc_end180-_ZN4vllm3moe10topkGatingILi8ELi64ELi4ELi16ELi64El14__hip_bfloat16LNS0_11ScoringFuncE0EEEvPKT5_PKbPfiPT4_PiiiibPKf
                                        ; -- End function
	.section	.AMDGPU.csdata,"",@progbits
; Kernel info:
; codeLenInByte = 2972
; NumSgprs: 30
; NumVgprs: 35
; NumAgprs: 0
; TotalNumVgprs: 35
; ScratchSize: 0
; MemoryBound: 0
; FloatMode: 240
; IeeeMode: 1
; LDSByteSize: 0 bytes/workgroup (compile time only)
; SGPRBlocks: 3
; VGPRBlocks: 4
; NumSGPRsForWavesPerEU: 30
; NumVGPRsForWavesPerEU: 35
; AccumOffset: 36
; Occupancy: 8
; WaveLimiterHint : 0
; COMPUTE_PGM_RSRC2:SCRATCH_EN: 0
; COMPUTE_PGM_RSRC2:USER_SGPR: 6
; COMPUTE_PGM_RSRC2:TRAP_HANDLER: 0
; COMPUTE_PGM_RSRC2:TGID_X_EN: 1
; COMPUTE_PGM_RSRC2:TGID_Y_EN: 0
; COMPUTE_PGM_RSRC2:TGID_Z_EN: 0
; COMPUTE_PGM_RSRC2:TIDIG_COMP_CNT: 1
; COMPUTE_PGM_RSRC3_GFX90A:ACCUM_OFFSET: 8
; COMPUTE_PGM_RSRC3_GFX90A:TG_SPLIT: 0
	.section	.text._ZN4vllm3moe10topkGatingILi8ELi64ELi4ELi16ELi32El14__hip_bfloat16LNS0_11ScoringFuncE0EEEvPKT5_PKbPfiPT4_PiiiibPKf,"axG",@progbits,_ZN4vllm3moe10topkGatingILi8ELi64ELi4ELi16ELi32El14__hip_bfloat16LNS0_11ScoringFuncE0EEEvPKT5_PKbPfiPT4_PiiiibPKf,comdat
	.protected	_ZN4vllm3moe10topkGatingILi8ELi64ELi4ELi16ELi32El14__hip_bfloat16LNS0_11ScoringFuncE0EEEvPKT5_PKbPfiPT4_PiiiibPKf ; -- Begin function _ZN4vllm3moe10topkGatingILi8ELi64ELi4ELi16ELi32El14__hip_bfloat16LNS0_11ScoringFuncE0EEEvPKT5_PKbPfiPT4_PiiiibPKf
	.globl	_ZN4vllm3moe10topkGatingILi8ELi64ELi4ELi16ELi32El14__hip_bfloat16LNS0_11ScoringFuncE0EEEvPKT5_PKbPfiPT4_PiiiibPKf
	.p2align	8
	.type	_ZN4vllm3moe10topkGatingILi8ELi64ELi4ELi16ELi32El14__hip_bfloat16LNS0_11ScoringFuncE0EEEvPKT5_PKbPfiPT4_PiiiibPKf,@function
_ZN4vllm3moe10topkGatingILi8ELi64ELi4ELi16ELi32El14__hip_bfloat16LNS0_11ScoringFuncE0EEEvPKT5_PKbPfiPT4_PiiiibPKf: ; @_ZN4vllm3moe10topkGatingILi8ELi64ELi4ELi16ELi32El14__hip_bfloat16LNS0_11ScoringFuncE0EEEvPKT5_PKbPfiPT4_PiiiibPKf
; %bb.0:
	s_load_dword s24, s[4:5], 0x18
	v_bfe_u32 v1, v0, 10, 10
	v_and_b32_e32 v0, 0x3ff, v0
	s_lshl_b32 s0, s6, 4
	v_lshlrev_b32_e32 v1, 2, v1
	v_lshrrev_b32_e32 v2, 3, v0
	v_add3_u32 v17, s0, v1, v2
	s_waitcnt lgkmcnt(0)
	v_cmp_gt_i32_e32 vcc, s24, v17
	s_and_saveexec_b64 s[0:1], vcc
	s_cbranch_execz .LBB181_30
; %bb.1:
	s_load_dwordx4 s[0:3], s[4:5], 0x0
	s_load_dwordx2 s[16:17], s[4:5], 0x10
	s_mov_b64 s[6:7], -1
	s_mov_b64 s[18:19], -1
	s_waitcnt lgkmcnt(0)
	s_cmp_eq_u64 s[2:3], 0
	s_cbranch_scc1 .LBB181_3
; %bb.2:
	v_ashrrev_i32_e32 v1, 31, v17
	v_mov_b32_e32 v3, s3
	v_add_co_u32_e32 v2, vcc, s2, v17
	v_addc_co_u32_e32 v3, vcc, v3, v1, vcc
	global_load_ubyte v1, v[2:3], off
	s_waitcnt vmcnt(0)
	v_and_b32_e32 v1, 1, v1
	v_cmp_eq_u32_e32 vcc, 1, v1
	s_xor_b64 s[2:3], vcc, -1
	s_orn2_b64 s[18:19], s[2:3], exec
.LBB181_3:
	v_lshlrev_b32_e32 v2, 6, v17
	v_ashrrev_i32_e32 v3, 31, v2
	v_lshlrev_b64 v[2:3], 1, v[2:3]
	v_mov_b32_e32 v1, s1
	v_add_co_u32_e32 v2, vcc, s0, v2
	v_and_b32_e32 v21, 7, v0
	v_addc_co_u32_e32 v1, vcc, v1, v3, vcc
	v_lshlrev_b32_e32 v0, 4, v21
	v_add_co_u32_e32 v0, vcc, v2, v0
	v_addc_co_u32_e32 v1, vcc, 0, v1, vcc
	global_load_dwordx4 v[0:3], v[0:1], off
	v_mbcnt_lo_u32_b32 v4, -1, 0
	v_mbcnt_hi_u32_b32 v6, -1, v4
	v_and_b32_e32 v4, 0x78, v6
	v_xor_b32_e32 v5, 4, v6
	v_add_u32_e32 v7, 8, v4
	v_cmp_lt_i32_e32 vcc, v5, v7
	v_cndmask_b32_e32 v4, v6, v5, vcc
	v_lshlrev_b32_e32 v22, 2, v4
	v_xor_b32_e32 v12, 2, v6
	v_cmp_lt_i32_e32 vcc, v12, v7
	v_cndmask_b32_e32 v12, v6, v12, vcc
	v_lshlrev_b32_e32 v23, 2, v12
	v_xor_b32_e32 v12, 1, v6
	v_cmp_lt_i32_e32 vcc, v12, v7
	v_cndmask_b32_e32 v6, v6, v12, vcc
	v_lshlrev_b32_e32 v24, 2, v6
	s_mov_b32 s0, 0x3fb8aa3b
	s_mov_b32 s1, 0xc2ce8ed0
	;; [unrolled: 1-line block ×3, first 2 shown]
	s_waitcnt vmcnt(0)
	v_lshlrev_b32_e32 v8, 16, v1
	v_and_b32_e32 v4, 0xffff0000, v1
	v_and_b32_e32 v1, 0xffff0000, v0
	v_lshlrev_b32_e32 v0, 16, v0
	v_max_f32_e32 v10, v1, v1
	v_max_f32_e32 v11, v0, v0
	;; [unrolled: 1-line block ×3, first 2 shown]
	v_lshlrev_b32_e32 v5, 16, v2
	v_and_b32_e32 v2, 0xffff0000, v2
	v_max3_f32 v10, v10, v8, v4
	v_and_b32_e32 v9, 0xffff0000, v3
	v_lshlrev_b32_e32 v3, 16, v3
	v_max3_f32 v10, v10, v5, v2
	v_max3_f32 v10, v10, v3, v9
	ds_bpermute_b32 v11, v22, v10
	s_waitcnt lgkmcnt(0)
	v_max_f32_e32 v11, v11, v11
	v_max_f32_e32 v10, v10, v11
	ds_bpermute_b32 v11, v23, v10
	s_waitcnt lgkmcnt(0)
	v_max_f32_e32 v6, v11, v11
	v_max_f32_e32 v6, v10, v6
	ds_bpermute_b32 v7, v24, v6
	v_mov_b32_e32 v10, 0x7f800000
	s_waitcnt lgkmcnt(0)
	v_max_f32_e32 v7, v7, v7
	v_max_f32_e32 v6, v6, v7
	v_pk_add_f32 v[0:1], v[0:1], v[6:7] op_sel_hi:[1,0] neg_lo:[0,1] neg_hi:[0,1]
	v_sub_f32_e32 v7, v8, v6
	v_mul_f32_e32 v8, 0x3fb8aa3b, v1
	v_mul_f32_e32 v11, 0x3fb8aa3b, v0
	v_fma_f32 v15, v1, s0, -v8
	v_rndne_f32_e32 v16, v8
	v_pk_add_f32 v[4:5], v[4:5], v[6:7] op_sel_hi:[1,0] neg_lo:[0,1] neg_hi:[0,1]
	v_mul_f32_e32 v12, 0x3fb8aa3b, v7
	v_fma_f32 v18, v0, s0, -v11
	v_rndne_f32_e32 v19, v11
	v_fmac_f32_e32 v15, 0x32a5705f, v1
	v_sub_f32_e32 v8, v8, v16
	v_mul_f32_e32 v13, 0x3fb8aa3b, v5
	v_fma_f32 v20, v7, s0, -v12
	v_rndne_f32_e32 v25, v12
	v_fmac_f32_e32 v18, 0x32a5705f, v0
	v_sub_f32_e32 v11, v11, v19
	v_add_f32_e32 v8, v8, v15
	v_mul_f32_e32 v14, 0x3fb8aa3b, v4
	v_fma_f32 v26, v5, s0, -v13
	v_rndne_f32_e32 v27, v13
	v_cvt_i32_f32_e32 v16, v16
	v_fmac_f32_e32 v20, 0x32a5705f, v7
	v_sub_f32_e32 v12, v12, v25
	v_add_f32_e32 v11, v11, v18
	v_exp_f32_e32 v8, v8
	v_fma_f32 v28, v4, s0, -v14
	v_rndne_f32_e32 v29, v14
	v_cvt_i32_f32_e32 v19, v19
	v_fmac_f32_e32 v26, 0x32a5705f, v5
	v_sub_f32_e32 v13, v13, v27
	v_add_f32_e32 v12, v12, v20
	v_exp_f32_e32 v11, v11
	v_cvt_i32_f32_e32 v25, v25
	v_fmac_f32_e32 v28, 0x32a5705f, v4
	v_sub_f32_e32 v14, v14, v29
	v_add_f32_e32 v13, v13, v26
	v_exp_f32_e32 v12, v12
	v_cvt_i32_f32_e32 v27, v27
	v_add_f32_e32 v14, v14, v28
	v_exp_f32_e32 v13, v13
	v_cvt_i32_f32_e32 v29, v29
	v_exp_f32_e32 v14, v14
	v_ldexp_f32 v8, v8, v16
	v_cmp_ngt_f32_e32 vcc, s1, v1
	v_ldexp_f32 v11, v11, v19
	v_cndmask_b32_e32 v8, 0, v8, vcc
	v_cmp_ngt_f32_e32 vcc, s1, v0
	v_ldexp_f32 v12, v12, v25
	v_cndmask_b32_e32 v11, 0, v11, vcc
	;; [unrolled: 3-line block ×4, first 2 shown]
	v_cmp_ngt_f32_e32 vcc, s1, v4
	v_cndmask_b32_e32 v14, 0, v14, vcc
	v_cmp_nlt_f32_e32 vcc, s2, v1
	v_cndmask_b32_e32 v8, v10, v8, vcc
	v_cmp_nlt_f32_e32 vcc, s2, v0
	;; [unrolled: 2-line block ×3, first 2 shown]
	v_cndmask_b32_e32 v7, v10, v12, vcc
	v_add_f32_e32 v0, v11, v8
	v_pk_add_f32 v[2:3], v[2:3], v[6:7] op_sel_hi:[1,0] neg_lo:[0,1] neg_hi:[0,1]
	v_cmp_nlt_f32_e32 vcc, s2, v5
	v_add_f32_e32 v5, v0, v7
	v_mul_f32_e32 v0, 0x3fb8aa3b, v3
	v_cndmask_b32_e32 v1, v10, v13, vcc
	v_fma_f32 v12, v3, s0, -v0
	v_rndne_f32_e32 v13, v0
	v_fmac_f32_e32 v12, 0x32a5705f, v3
	v_sub_f32_e32 v0, v0, v13
	v_add_f32_e32 v0, v0, v12
	v_exp_f32_e32 v12, v0
	v_cvt_i32_f32_e32 v13, v13
	v_cmp_nlt_f32_e32 vcc, s2, v4
	v_cndmask_b32_e32 v0, v10, v14, vcc
	v_add_f32_e32 v4, v5, v0
	v_ldexp_f32 v5, v12, v13
	v_mul_f32_e32 v12, 0x3fb8aa3b, v2
	v_fma_f32 v13, v2, s0, -v12
	v_rndne_f32_e32 v14, v12
	v_fmac_f32_e32 v13, 0x32a5705f, v2
	v_sub_f32_e32 v12, v12, v14
	v_add_f32_e32 v12, v12, v13
	v_exp_f32_e32 v12, v12
	v_cvt_i32_f32_e32 v13, v14
	v_cmp_ngt_f32_e32 vcc, s1, v3
	v_sub_f32_e32 v6, v9, v6
	v_cndmask_b32_e32 v5, 0, v5, vcc
	v_cmp_nlt_f32_e32 vcc, s2, v3
	v_mul_f32_e32 v9, 0x3fb8aa3b, v6
	v_cndmask_b32_e32 v3, v10, v5, vcc
	v_ldexp_f32 v5, v12, v13
	v_fma_f32 v12, v6, s0, -v9
	v_rndne_f32_e32 v13, v9
	v_fmac_f32_e32 v12, 0x32a5705f, v6
	v_sub_f32_e32 v9, v9, v13
	v_add_f32_e32 v9, v9, v12
	v_exp_f32_e32 v9, v9
	v_cvt_i32_f32_e32 v12, v13
	v_cmp_ngt_f32_e32 vcc, s1, v2
	v_cndmask_b32_e32 v5, 0, v5, vcc
	v_cmp_nlt_f32_e32 vcc, s2, v2
	v_add_f32_e32 v4, v4, v1
	v_cndmask_b32_e32 v2, v10, v5, vcc
	v_ldexp_f32 v5, v9, v12
	v_cmp_ngt_f32_e32 vcc, s1, v6
	v_add_f32_e32 v4, v4, v2
	v_cndmask_b32_e32 v5, 0, v5, vcc
	v_cmp_nlt_f32_e32 vcc, s2, v6
	v_add_f32_e32 v4, v4, v3
	v_cndmask_b32_e32 v5, v10, v5, vcc
	v_add_f32_e32 v4, v4, v5
	ds_bpermute_b32 v6, v22, v4
	s_movk_i32 s2, 0x1f8
	v_lshlrev_b32_e32 v25, 3, v21
	s_waitcnt lgkmcnt(0)
	v_add_f32_e32 v4, v4, v6
	ds_bpermute_b32 v6, v23, v4
	s_waitcnt lgkmcnt(0)
	v_add_f32_e32 v4, v4, v6
	ds_bpermute_b32 v6, v24, v4
	s_waitcnt lgkmcnt(0)
	v_add_f32_e32 v4, v4, v6
	v_div_scale_f32 v6, s[0:1], v4, v4, 1.0
	v_rcp_f32_e32 v9, v6
	s_load_dwordx2 s[0:1], s[4:5], 0x40
	v_fma_f32 v10, -v6, v9, 1.0
	v_fmac_f32_e32 v9, v10, v9
	v_div_scale_f32 v10, vcc, 1.0, v4, 1.0
	v_mul_f32_e32 v12, v10, v9
	v_fma_f32 v13, -v6, v12, v10
	v_fmac_f32_e32 v12, v13, v9
	v_fma_f32 v6, -v6, v12, v10
	v_div_fmas_f32 v6, v6, v9, v12
	v_div_fixup_f32 v4, v6, v4, 1.0
	v_mul_f32_e32 v10, v4, v11
	v_mul_f32_e32 v11, v4, v8
	v_cmp_class_f32_e64 vcc, v10, s2
	v_mul_f32_e32 v12, v4, v7
	v_pk_mul_f32 v[6:7], v[4:5], v[0:1] op_sel_hi:[0,1]
	v_cndmask_b32_e32 v0, 0, v10, vcc
	v_cmp_class_f32_e64 vcc, v11, s2
	v_pk_mul_f32 v[8:9], v[4:5], v[2:3] op_sel_hi:[0,1]
	v_mul_f32_e32 v13, v4, v5
	v_cndmask_b32_e32 v1, 0, v11, vcc
	v_cmp_class_f32_e64 vcc, v12, s2
	v_mov_b32_e32 v5, 0x207
	v_cndmask_b32_e32 v2, 0, v12, vcc
	v_cmp_class_f32_e32 vcc, v7, v5
	v_cndmask_b32_e64 v4, v7, 0, vcc
	v_cmp_class_f32_e32 vcc, v6, v5
	v_cndmask_b32_e64 v3, v6, 0, vcc
	;; [unrolled: 2-line block ×4, first 2 shown]
	v_cmp_class_f32_e64 vcc, v13, s2
	s_waitcnt lgkmcnt(0)
	s_cmp_eq_u64 s[0:1], 0
	v_cndmask_b32_e32 v7, 0, v13, vcc
	s_cbranch_scc1 .LBB181_19
; %bb.4:
	v_lshlrev_b32_e32 v16, 2, v25
	global_load_dwordx4 v[8:11], v16, s[0:1]
	global_load_dwordx4 v[12:15], v16, s[0:1] offset:16
	s_waitcnt vmcnt(1)
	v_pk_add_f32 v[8:9], v[8:9], v[0:1]
	v_pk_add_f32 v[10:11], v[10:11], v[2:3]
	s_waitcnt vmcnt(0)
	v_pk_add_f32 v[12:13], v[12:13], v[4:5]
	v_pk_add_f32 v[14:15], v[14:15], v[6:7]
	s_cbranch_execnz .LBB181_6
.LBB181_5:
	v_pk_mov_b32 v[14:15], v[6:7], v[6:7] op_sel:[0,1]
	v_pk_mov_b32 v[12:13], v[4:5], v[4:5] op_sel:[0,1]
	;; [unrolled: 1-line block ×4, first 2 shown]
.LBB181_6:
	s_load_dwordx4 s[8:11], s[4:5], 0x30
	s_mov_b32 s25, 0
	v_cmp_eq_u32_e64 s[0:1], 0, v21
	s_waitcnt lgkmcnt(0)
	s_bitcmp1_b32 s11, 0
	s_cselect_b64 vcc, -1, 0
	s_cmp_gt_i32 s8, 0
	s_cselect_b64 s[20:21], -1, 0
	s_cmp_lt_i32 s8, 1
	s_cbranch_scc1 .LBB181_20
; %bb.7:
	s_load_dwordx4 s[12:15], s[4:5], 0x20
	v_mul_lo_u32 v27, v17, s8
	v_mov_b32_e32 v26, 0
	v_mov_b32_e32 v28, 0xc61c4000
	;; [unrolled: 1-line block ×3, first 2 shown]
	s_branch .LBB181_10
.LBB181_8:                              ;   in Loop: Header=BB181_10 Depth=1
	s_or_b64 exec, exec, s[4:5]
.LBB181_9:                              ;   in Loop: Header=BB181_10 Depth=1
	s_cmp_eq_u32 s8, s25
	v_add_u32_e32 v29, s24, v29
	s_cbranch_scc1 .LBB181_21
.LBB181_10:                             ; =>This Inner Loop Header: Depth=1
	v_cmp_gt_f32_e64 s[2:3], v9, v8
	v_cndmask_b32_e64 v16, v8, v9, s[2:3]
	v_cndmask_b32_e64 v18, v0, v1, s[2:3]
	s_waitcnt lgkmcnt(0)
	v_cndmask_b32_e64 v19, 0, 1, s[2:3]
	v_cmp_gt_f32_e64 s[2:3], v10, v16
	v_cndmask_b32_e64 v16, v16, v10, s[2:3]
	v_cndmask_b32_e64 v18, v18, v2, s[2:3]
	v_cndmask_b32_e64 v19, v19, 2, s[2:3]
	v_cmp_gt_f32_e64 s[2:3], v11, v16
	v_cndmask_b32_e64 v16, v16, v11, s[2:3]
	v_cndmask_b32_e64 v18, v18, v3, s[2:3]
	v_cndmask_b32_e64 v19, v19, 3, s[2:3]
	v_cmp_gt_f32_e64 s[2:3], v12, v16
	v_cndmask_b32_e64 v16, v16, v12, s[2:3]
	v_cndmask_b32_e64 v18, v18, v4, s[2:3]
	v_cndmask_b32_e64 v19, v19, 4, s[2:3]
	v_cmp_gt_f32_e64 s[2:3], v13, v16
	v_cndmask_b32_e64 v16, v16, v13, s[2:3]
	v_cndmask_b32_e64 v18, v18, v5, s[2:3]
	v_cndmask_b32_e64 v19, v19, 5, s[2:3]
	v_cmp_gt_f32_e64 s[2:3], v14, v16
	v_cndmask_b32_e64 v16, v16, v14, s[2:3]
	v_cndmask_b32_e64 v18, v18, v6, s[2:3]
	v_cndmask_b32_e64 v19, v19, 6, s[2:3]
	v_cmp_gt_f32_e64 s[2:3], v15, v16
	v_cndmask_b32_e64 v19, v19, 7, s[2:3]
	v_cndmask_b32_e64 v16, v16, v15, s[2:3]
	v_or_b32_e32 v19, v25, v19
	ds_bpermute_b32 v20, v22, v16
	ds_bpermute_b32 v30, v22, v19
	v_cndmask_b32_e64 v18, v18, v7, s[2:3]
	ds_bpermute_b32 v32, v22, v18
	s_waitcnt lgkmcnt(0)
	v_cmp_eq_f32_e64 s[4:5], v16, v20
	v_cmp_lt_i32_e64 s[6:7], v30, v19
	v_cmp_lt_f32_e64 s[2:3], v16, v20
	s_and_b64 s[4:5], s[4:5], s[6:7]
	s_or_b64 s[2:3], s[2:3], s[4:5]
	v_cndmask_b32_e64 v31, v16, v20, s[2:3]
	v_cndmask_b32_e64 v30, v19, v30, s[2:3]
	;; [unrolled: 1-line block ×3, first 2 shown]
	ds_bpermute_b32 v33, v23, v31
	ds_bpermute_b32 v20, v23, v16
	;; [unrolled: 1-line block ×3, first 2 shown]
                                        ; implicit-def: $vgpr18_vgpr19
	s_waitcnt lgkmcnt(2)
	v_cmp_lt_f32_e64 s[6:7], v31, v33
	v_cmp_nlt_f32_e64 s[2:3], v31, v33
	s_and_saveexec_b64 s[22:23], s[2:3]
	s_cbranch_execz .LBB181_12
; %bb.11:                               ;   in Loop: Header=BB181_10 Depth=1
	v_cmp_eq_f32_e64 s[2:3], v31, v33
	s_waitcnt lgkmcnt(0)
	v_cmp_lt_i32_e64 s[4:5], v32, v30
	s_and_b64 s[2:3], s[2:3], s[4:5]
	s_andn2_b64 s[4:5], s[6:7], exec
	s_and_b64 s[2:3], s[2:3], exec
	s_or_b64 s[6:7], s[4:5], s[2:3]
	v_pk_mov_b32 v[18:19], v[16:17], v[16:17] op_sel:[0,1]
.LBB181_12:                             ;   in Loop: Header=BB181_10 Depth=1
	s_or_b64 exec, exec, s[22:23]
	s_and_saveexec_b64 s[2:3], s[6:7]
	s_cbranch_execz .LBB181_14
; %bb.13:                               ;   in Loop: Header=BB181_10 Depth=1
	v_mov_b32_e32 v31, v33
	s_waitcnt lgkmcnt(1)
	v_mov_b32_e32 v16, v20
	s_waitcnt lgkmcnt(0)
	v_mov_b32_e32 v30, v32
	v_pk_mov_b32 v[18:19], v[20:21], v[20:21] op_sel:[0,1]
.LBB181_14:                             ;   in Loop: Header=BB181_10 Depth=1
	s_or_b64 exec, exec, s[2:3]
	s_waitcnt lgkmcnt(1)
	ds_bpermute_b32 v20, v24, v31
	s_waitcnt lgkmcnt(1)
	ds_bpermute_b32 v32, v24, v30
	ds_bpermute_b32 v19, v24, v16
	s_waitcnt lgkmcnt(2)
	v_cmp_eq_f32_e64 s[4:5], v31, v20
	s_waitcnt lgkmcnt(1)
	v_cmp_lt_i32_e64 s[6:7], v32, v30
	v_cmp_lt_f32_e64 s[2:3], v31, v20
	s_and_b64 s[4:5], s[4:5], s[6:7]
	s_or_b64 s[2:3], s[2:3], s[4:5]
	v_cndmask_b32_e64 v16, v30, v32, s[2:3]
	s_and_saveexec_b64 s[6:7], s[0:1]
	s_cbranch_execnz .LBB181_16
; %bb.15:                               ;   in Loop: Header=BB181_10 Depth=1
	s_or_b64 exec, exec, s[6:7]
	s_add_i32 s25, s25, 1
	s_cmp_ge_i32 s25, s8
	s_cbranch_scc1 .LBB181_9
	s_branch .LBB181_17
.LBB181_16:                             ;   in Loop: Header=BB181_10 Depth=1
	s_waitcnt lgkmcnt(0)
	v_cndmask_b32_e64 v20, v18, v19, s[2:3]
	v_add_u32_e32 v18, s25, v27
	v_ashrrev_i32_e32 v19, 31, v18
	v_cmp_le_i32_e64 s[2:3], s9, v16
	v_cmp_gt_i32_e64 s[4:5], s10, v16
	v_lshlrev_b64 v[30:31], 2, v[18:19]
	s_and_b64 s[4:5], s[2:3], s[4:5]
	v_mov_b32_e32 v33, s17
	v_add_co_u32_e64 v32, s[2:3], s16, v30
	v_addc_co_u32_e64 v33, s[2:3], v33, v31, s[2:3]
	global_store_dword v[32:33], v20, off
	v_subrev_u32_e32 v32, s9, v16
	v_ashrrev_i32_e32 v33, 31, v32
	s_and_b64 s[2:3], s[18:19], s[4:5]
	v_lshlrev_b64 v[18:19], 3, v[18:19]
	v_cndmask_b32_e64 v33, 0, v33, s[2:3]
	v_cndmask_b32_e64 v32, 64, v32, s[2:3]
	v_mov_b32_e32 v34, s13
	v_add_co_u32_e64 v18, s[2:3], s12, v18
	v_addc_co_u32_e64 v19, s[2:3], v34, v19, s[2:3]
	global_store_dwordx2 v[18:19], v[32:33], off
	v_mov_b32_e32 v19, s15
	v_add_co_u32_e64 v18, s[2:3], s14, v30
	v_addc_co_u32_e64 v19, s[2:3], v19, v31, s[2:3]
	global_store_dword v[18:19], v29, off
	v_add_f32_e32 v18, v26, v20
	v_cndmask_b32_e32 v26, v26, v18, vcc
	s_or_b64 exec, exec, s[6:7]
	s_add_i32 s25, s25, 1
	s_cmp_ge_i32 s25, s8
	s_cbranch_scc1 .LBB181_9
.LBB181_17:                             ;   in Loop: Header=BB181_10 Depth=1
	s_waitcnt lgkmcnt(0)
	v_ashrrev_i32_e32 v19, 31, v16
	v_lshrrev_b32_e32 v18, 29, v19
	v_add_u32_e32 v18, v16, v18
	v_ashrrev_i32_e32 v18, 3, v18
	v_lshrrev_b32_e32 v20, 29, v18
	v_add_u32_e32 v20, v18, v20
	v_and_b32_e32 v20, -8, v20
	v_sub_u32_e32 v20, v18, v20
	v_cmp_eq_u32_e64 s[2:3], v21, v20
	s_and_saveexec_b64 s[4:5], s[2:3]
	s_cbranch_execz .LBB181_8
; %bb.18:                               ;   in Loop: Header=BB181_10 Depth=1
	v_lshrrev_b32_e32 v19, 26, v19
	v_add_u32_e32 v19, v16, v19
	v_lshlrev_b32_e32 v18, 3, v18
	v_ashrrev_i32_e32 v19, 6, v19
	v_sub_u32_e32 v16, v16, v18
	v_lshl_add_u32 v16, v19, 3, v16
	v_cmp_ne_u32_e64 s[2:3], 7, v16
	v_cndmask_b32_e64 v15, v28, v15, s[2:3]
	v_cmp_ne_u32_e64 s[2:3], 6, v16
	v_cndmask_b32_e64 v14, v28, v14, s[2:3]
	;; [unrolled: 2-line block ×8, first 2 shown]
	s_branch .LBB181_8
.LBB181_19:
                                        ; implicit-def: $vgpr8_vgpr9_vgpr10_vgpr11_vgpr12_vgpr13_vgpr14_vgpr15
	s_andn2_b64 vcc, exec, s[6:7]
	s_cbranch_vccz .LBB181_5
	s_branch .LBB181_6
.LBB181_20:
	v_mov_b32_e32 v26, 0
.LBB181_21:
	v_cmp_eq_u32_e64 s[0:1], 0, v21
	s_and_b64 s[0:1], s[0:1], vcc
	s_and_b64 exec, exec, s[0:1]
	s_cbranch_execz .LBB181_30
; %bb.22:
	s_andn2_b64 vcc, exec, s[20:21]
	s_cbranch_vccnz .LBB181_30
; %bb.23:
	v_cmp_lt_f32_e32 vcc, 0, v26
	s_mov_b32 s2, 0
	v_cndmask_b32_e32 v0, 1.0, v26, vcc
	v_mul_lo_u32 v4, v17, s8
	s_cmp_eq_u32 s8, 1
	s_mov_b64 s[0:1], -1
	s_cbranch_scc1 .LBB181_27
; %bb.24:
	s_and_b32 s2, s8, 0x7ffffffe
	v_mov_b32_e32 v1, v0
	v_mov_b32_e32 v5, s17
	s_mov_b32 s3, s2
	v_mov_b32_e32 v2, v4
.LBB181_25:                             ; =>This Inner Loop Header: Depth=1
	v_ashrrev_i32_e32 v3, 31, v2
	v_lshlrev_b64 v[6:7], 2, v[2:3]
	v_add_co_u32_e32 v6, vcc, s16, v6
	v_addc_co_u32_e32 v7, vcc, v5, v7, vcc
	global_load_dwordx2 v[8:9], v[6:7], off
	s_add_i32 s3, s3, -2
	s_cmp_lg_u32 s3, 0
	v_add_u32_e32 v2, 2, v2
	s_waitcnt vmcnt(0)
	v_div_scale_f32 v3, s[0:1], v1, v1, v9
	v_div_scale_f32 v11, s[0:1], v0, v0, v8
	v_rcp_f32_e32 v12, v3
	v_rcp_f32_e32 v13, v11
	v_div_scale_f32 v10, vcc, v9, v1, v9
	v_fma_f32 v15, -v3, v12, 1.0
	v_fma_f32 v16, -v11, v13, 1.0
	v_fmac_f32_e32 v12, v15, v12
	v_div_scale_f32 v14, s[0:1], v8, v0, v8
	v_fmac_f32_e32 v13, v16, v13
	v_mul_f32_e32 v15, v10, v12
	v_mul_f32_e32 v16, v14, v13
	v_fma_f32 v17, -v3, v15, v10
	v_fma_f32 v18, -v11, v16, v14
	v_fmac_f32_e32 v15, v17, v12
	v_fmac_f32_e32 v16, v18, v13
	v_fma_f32 v3, -v3, v15, v10
	v_fma_f32 v10, -v11, v16, v14
	v_div_fmas_f32 v3, v3, v12, v15
	s_mov_b64 vcc, s[0:1]
	v_div_fixup_f32 v9, v3, v1, v9
	v_div_fmas_f32 v3, v10, v13, v16
	v_div_fixup_f32 v8, v3, v0, v8
	global_store_dwordx2 v[6:7], v[8:9], off
	s_cbranch_scc1 .LBB181_25
; %bb.26:
	s_cmp_lg_u32 s2, s8
	s_cselect_b64 s[0:1], -1, 0
.LBB181_27:
	s_and_b64 vcc, exec, s[0:1]
	s_cbranch_vccz .LBB181_30
; %bb.28:
	v_ashrrev_i32_e32 v1, 31, v4
	v_add_co_u32_e32 v2, vcc, s2, v4
	v_addc_co_u32_e32 v3, vcc, 0, v1, vcc
	v_lshlrev_b64 v[2:3], 2, v[2:3]
	v_mov_b32_e32 v1, s17
	v_add_co_u32_e32 v2, vcc, s16, v2
	s_sub_i32 s0, s8, s2
	v_addc_co_u32_e32 v3, vcc, v1, v3, vcc
.LBB181_29:                             ; =>This Inner Loop Header: Depth=1
	global_load_dword v1, v[2:3], off
	s_add_i32 s0, s0, -1
	s_cmp_lg_u32 s0, 0
	s_waitcnt vmcnt(0)
	v_div_scale_f32 v4, s[2:3], v0, v0, v1
	v_rcp_f32_e32 v5, v4
	v_div_scale_f32 v6, vcc, v1, v0, v1
	v_fma_f32 v7, -v4, v5, 1.0
	v_fmac_f32_e32 v5, v7, v5
	v_mul_f32_e32 v7, v6, v5
	v_fma_f32 v8, -v4, v7, v6
	v_fmac_f32_e32 v7, v8, v5
	v_fma_f32 v4, -v4, v7, v6
	v_div_fmas_f32 v4, v4, v5, v7
	v_div_fixup_f32 v1, v4, v0, v1
	global_store_dword v[2:3], v1, off
	v_add_co_u32_e32 v2, vcc, 4, v2
	v_addc_co_u32_e32 v3, vcc, 0, v3, vcc
	s_cbranch_scc1 .LBB181_29
.LBB181_30:
	s_endpgm
	.section	.rodata,"a",@progbits
	.p2align	6, 0x0
	.amdhsa_kernel _ZN4vllm3moe10topkGatingILi8ELi64ELi4ELi16ELi32El14__hip_bfloat16LNS0_11ScoringFuncE0EEEvPKT5_PKbPfiPT4_PiiiibPKf
		.amdhsa_group_segment_fixed_size 0
		.amdhsa_private_segment_fixed_size 0
		.amdhsa_kernarg_size 72
		.amdhsa_user_sgpr_count 6
		.amdhsa_user_sgpr_private_segment_buffer 1
		.amdhsa_user_sgpr_dispatch_ptr 0
		.amdhsa_user_sgpr_queue_ptr 0
		.amdhsa_user_sgpr_kernarg_segment_ptr 1
		.amdhsa_user_sgpr_dispatch_id 0
		.amdhsa_user_sgpr_flat_scratch_init 0
		.amdhsa_user_sgpr_kernarg_preload_length 0
		.amdhsa_user_sgpr_kernarg_preload_offset 0
		.amdhsa_user_sgpr_private_segment_size 0
		.amdhsa_uses_dynamic_stack 0
		.amdhsa_system_sgpr_private_segment_wavefront_offset 0
		.amdhsa_system_sgpr_workgroup_id_x 1
		.amdhsa_system_sgpr_workgroup_id_y 0
		.amdhsa_system_sgpr_workgroup_id_z 0
		.amdhsa_system_sgpr_workgroup_info 0
		.amdhsa_system_vgpr_workitem_id 1
		.amdhsa_next_free_vgpr 35
		.amdhsa_next_free_sgpr 26
		.amdhsa_accum_offset 36
		.amdhsa_reserve_vcc 1
		.amdhsa_reserve_flat_scratch 0
		.amdhsa_float_round_mode_32 0
		.amdhsa_float_round_mode_16_64 0
		.amdhsa_float_denorm_mode_32 3
		.amdhsa_float_denorm_mode_16_64 3
		.amdhsa_dx10_clamp 1
		.amdhsa_ieee_mode 1
		.amdhsa_fp16_overflow 0
		.amdhsa_tg_split 0
		.amdhsa_exception_fp_ieee_invalid_op 0
		.amdhsa_exception_fp_denorm_src 0
		.amdhsa_exception_fp_ieee_div_zero 0
		.amdhsa_exception_fp_ieee_overflow 0
		.amdhsa_exception_fp_ieee_underflow 0
		.amdhsa_exception_fp_ieee_inexact 0
		.amdhsa_exception_int_div_zero 0
	.end_amdhsa_kernel
	.section	.text._ZN4vllm3moe10topkGatingILi8ELi64ELi4ELi16ELi32El14__hip_bfloat16LNS0_11ScoringFuncE0EEEvPKT5_PKbPfiPT4_PiiiibPKf,"axG",@progbits,_ZN4vllm3moe10topkGatingILi8ELi64ELi4ELi16ELi32El14__hip_bfloat16LNS0_11ScoringFuncE0EEEvPKT5_PKbPfiPT4_PiiiibPKf,comdat
.Lfunc_end181:
	.size	_ZN4vllm3moe10topkGatingILi8ELi64ELi4ELi16ELi32El14__hip_bfloat16LNS0_11ScoringFuncE0EEEvPKT5_PKbPfiPT4_PiiiibPKf, .Lfunc_end181-_ZN4vllm3moe10topkGatingILi8ELi64ELi4ELi16ELi32El14__hip_bfloat16LNS0_11ScoringFuncE0EEEvPKT5_PKbPfiPT4_PiiiibPKf
                                        ; -- End function
	.section	.AMDGPU.csdata,"",@progbits
; Kernel info:
; codeLenInByte = 2972
; NumSgprs: 30
; NumVgprs: 35
; NumAgprs: 0
; TotalNumVgprs: 35
; ScratchSize: 0
; MemoryBound: 0
; FloatMode: 240
; IeeeMode: 1
; LDSByteSize: 0 bytes/workgroup (compile time only)
; SGPRBlocks: 3
; VGPRBlocks: 4
; NumSGPRsForWavesPerEU: 30
; NumVGPRsForWavesPerEU: 35
; AccumOffset: 36
; Occupancy: 8
; WaveLimiterHint : 0
; COMPUTE_PGM_RSRC2:SCRATCH_EN: 0
; COMPUTE_PGM_RSRC2:USER_SGPR: 6
; COMPUTE_PGM_RSRC2:TRAP_HANDLER: 0
; COMPUTE_PGM_RSRC2:TGID_X_EN: 1
; COMPUTE_PGM_RSRC2:TGID_Y_EN: 0
; COMPUTE_PGM_RSRC2:TGID_Z_EN: 0
; COMPUTE_PGM_RSRC2:TIDIG_COMP_CNT: 1
; COMPUTE_PGM_RSRC3_GFX90A:ACCUM_OFFSET: 8
; COMPUTE_PGM_RSRC3_GFX90A:TG_SPLIT: 0
	.section	.text._ZN4vllm3moe10topkGatingILi8ELi128ELi4ELi16ELi64El14__hip_bfloat16LNS0_11ScoringFuncE0EEEvPKT5_PKbPfiPT4_PiiiibPKf,"axG",@progbits,_ZN4vllm3moe10topkGatingILi8ELi128ELi4ELi16ELi64El14__hip_bfloat16LNS0_11ScoringFuncE0EEEvPKT5_PKbPfiPT4_PiiiibPKf,comdat
	.protected	_ZN4vllm3moe10topkGatingILi8ELi128ELi4ELi16ELi64El14__hip_bfloat16LNS0_11ScoringFuncE0EEEvPKT5_PKbPfiPT4_PiiiibPKf ; -- Begin function _ZN4vllm3moe10topkGatingILi8ELi128ELi4ELi16ELi64El14__hip_bfloat16LNS0_11ScoringFuncE0EEEvPKT5_PKbPfiPT4_PiiiibPKf
	.globl	_ZN4vllm3moe10topkGatingILi8ELi128ELi4ELi16ELi64El14__hip_bfloat16LNS0_11ScoringFuncE0EEEvPKT5_PKbPfiPT4_PiiiibPKf
	.p2align	8
	.type	_ZN4vllm3moe10topkGatingILi8ELi128ELi4ELi16ELi64El14__hip_bfloat16LNS0_11ScoringFuncE0EEEvPKT5_PKbPfiPT4_PiiiibPKf,@function
_ZN4vllm3moe10topkGatingILi8ELi128ELi4ELi16ELi64El14__hip_bfloat16LNS0_11ScoringFuncE0EEEvPKT5_PKbPfiPT4_PiiiibPKf: ; @_ZN4vllm3moe10topkGatingILi8ELi128ELi4ELi16ELi64El14__hip_bfloat16LNS0_11ScoringFuncE0EEEvPKT5_PKbPfiPT4_PiiiibPKf
; %bb.0:
	s_load_dword s24, s[4:5], 0x18
	v_bfe_u32 v1, v0, 10, 10
	v_and_b32_e32 v0, 0x3ff, v0
	s_lshl_b32 s0, s6, 4
	v_lshlrev_b32_e32 v1, 2, v1
	v_lshrrev_b32_e32 v2, 4, v0
	v_add3_u32 v17, s0, v1, v2
	s_waitcnt lgkmcnt(0)
	v_cmp_gt_i32_e32 vcc, s24, v17
	s_and_saveexec_b64 s[0:1], vcc
	s_cbranch_execz .LBB182_34
; %bb.1:
	s_load_dwordx4 s[0:3], s[4:5], 0x0
	s_load_dwordx2 s[16:17], s[4:5], 0x10
	s_mov_b64 s[6:7], -1
	s_mov_b64 s[18:19], -1
	s_waitcnt lgkmcnt(0)
	s_cmp_eq_u64 s[2:3], 0
	s_cbranch_scc1 .LBB182_3
; %bb.2:
	v_ashrrev_i32_e32 v1, 31, v17
	v_mov_b32_e32 v3, s3
	v_add_co_u32_e32 v2, vcc, s2, v17
	v_addc_co_u32_e32 v3, vcc, v3, v1, vcc
	global_load_ubyte v1, v[2:3], off
	s_waitcnt vmcnt(0)
	v_and_b32_e32 v1, 1, v1
	v_cmp_eq_u32_e32 vcc, 1, v1
	s_xor_b64 s[2:3], vcc, -1
	s_orn2_b64 s[18:19], s[2:3], exec
.LBB182_3:
	v_lshlrev_b32_e32 v2, 7, v17
	v_ashrrev_i32_e32 v3, 31, v2
	v_lshlrev_b64 v[2:3], 1, v[2:3]
	v_mov_b32_e32 v1, s1
	v_add_co_u32_e32 v2, vcc, s0, v2
	v_and_b32_e32 v21, 15, v0
	v_addc_co_u32_e32 v1, vcc, v1, v3, vcc
	v_lshlrev_b32_e32 v0, 4, v21
	v_add_co_u32_e32 v0, vcc, v2, v0
	v_addc_co_u32_e32 v1, vcc, 0, v1, vcc
	global_load_dwordx4 v[0:3], v[0:1], off
	v_mbcnt_lo_u32_b32 v4, -1, 0
	v_mbcnt_hi_u32_b32 v4, -1, v4
	v_and_b32_e32 v5, 0x70, v4
	v_xor_b32_e32 v6, 8, v4
	v_add_u32_e32 v5, 16, v5
	v_cmp_lt_i32_e32 vcc, v6, v5
	v_cndmask_b32_e32 v6, v4, v6, vcc
	v_lshlrev_b32_e32 v22, 2, v6
	v_xor_b32_e32 v12, 4, v4
	v_cmp_lt_i32_e32 vcc, v12, v5
	v_cndmask_b32_e32 v12, v4, v12, vcc
	v_lshlrev_b32_e32 v23, 2, v12
	v_xor_b32_e32 v12, 2, v4
	;; [unrolled: 4-line block ×3, first 2 shown]
	v_cmp_lt_i32_e32 vcc, v12, v5
	v_cndmask_b32_e32 v4, v4, v12, vcc
	v_lshlrev_b32_e32 v25, 2, v4
	s_mov_b32 s0, 0x3fb8aa3b
	s_mov_b32 s1, 0xc2ce8ed0
	;; [unrolled: 1-line block ×3, first 2 shown]
	s_waitcnt vmcnt(0)
	v_lshlrev_b32_e32 v6, 16, v0
	v_and_b32_e32 v7, 0xffff0000, v0
	v_max_f32_e32 v10, v7, v7
	v_max_f32_e32 v11, v6, v6
	v_lshlrev_b32_e32 v8, 16, v1
	v_and_b32_e32 v0, 0xffff0000, v1
	v_max_f32_e32 v10, v11, v10
	v_lshlrev_b32_e32 v1, 16, v2
	v_and_b32_e32 v2, 0xffff0000, v2
	v_max3_f32 v10, v10, v8, v0
	v_and_b32_e32 v9, 0xffff0000, v3
	v_lshlrev_b32_e32 v3, 16, v3
	v_max3_f32 v10, v10, v1, v2
	v_max3_f32 v10, v10, v3, v9
	ds_bpermute_b32 v11, v22, v10
	s_waitcnt lgkmcnt(0)
	v_max_f32_e32 v11, v11, v11
	v_max_f32_e32 v10, v10, v11
	ds_bpermute_b32 v11, v23, v10
	s_waitcnt lgkmcnt(0)
	v_max_f32_e32 v11, v11, v11
	v_max_f32_e32 v10, v10, v11
	;; [unrolled: 4-line block ×3, first 2 shown]
	ds_bpermute_b32 v5, v25, v4
	v_mov_b32_e32 v10, 0x7f800000
	s_waitcnt lgkmcnt(0)
	v_max_f32_e32 v5, v5, v5
	v_max_f32_e32 v4, v4, v5
	v_sub_f32_e32 v5, v6, v4
	v_sub_f32_e32 v6, v7, v4
	;; [unrolled: 1-line block ×3, first 2 shown]
	v_mul_f32_e32 v8, 0x3fb8aa3b, v5
	v_mul_f32_e32 v11, 0x3fb8aa3b, v6
	v_fma_f32 v15, v5, s0, -v8
	v_rndne_f32_e32 v16, v8
	v_pk_add_f32 v[0:1], v[0:1], v[4:5] op_sel_hi:[1,0] neg_lo:[0,1] neg_hi:[0,1]
	v_mul_f32_e32 v12, 0x3fb8aa3b, v7
	v_fma_f32 v18, v6, s0, -v11
	v_rndne_f32_e32 v19, v11
	v_fmac_f32_e32 v15, 0x32a5705f, v5
	v_sub_f32_e32 v8, v8, v16
	v_mul_f32_e32 v13, 0x3fb8aa3b, v1
	v_fma_f32 v20, v7, s0, -v12
	v_rndne_f32_e32 v26, v12
	v_fmac_f32_e32 v18, 0x32a5705f, v6
	v_sub_f32_e32 v11, v11, v19
	v_add_f32_e32 v8, v8, v15
	v_fma_f32 v27, v1, s0, -v13
	v_rndne_f32_e32 v28, v13
	v_cvt_i32_f32_e32 v16, v16
	v_fmac_f32_e32 v20, 0x32a5705f, v7
	v_sub_f32_e32 v12, v12, v26
	v_add_f32_e32 v11, v11, v18
	v_exp_f32_e32 v8, v8
	v_cvt_i32_f32_e32 v19, v19
	v_fmac_f32_e32 v27, 0x32a5705f, v1
	v_sub_f32_e32 v13, v13, v28
	v_add_f32_e32 v12, v12, v20
	v_exp_f32_e32 v11, v11
	v_cvt_i32_f32_e32 v26, v26
	v_add_f32_e32 v13, v13, v27
	v_exp_f32_e32 v12, v12
	v_cvt_i32_f32_e32 v28, v28
	v_exp_f32_e32 v13, v13
	v_mul_f32_e32 v14, 0x3fb8aa3b, v0
	v_ldexp_f32 v8, v8, v16
	v_cmp_ngt_f32_e32 vcc, s1, v5
	v_fma_f32 v29, v0, s0, -v14
	v_rndne_f32_e32 v30, v14
	v_ldexp_f32 v11, v11, v19
	v_cndmask_b32_e32 v8, 0, v8, vcc
	v_cmp_ngt_f32_e32 vcc, s1, v6
	v_fmac_f32_e32 v29, 0x32a5705f, v0
	v_sub_f32_e32 v14, v14, v30
	v_ldexp_f32 v12, v12, v26
	v_cndmask_b32_e32 v11, 0, v11, vcc
	v_cmp_ngt_f32_e32 vcc, s1, v7
	v_add_f32_e32 v14, v14, v29
	v_ldexp_f32 v13, v13, v28
	v_cndmask_b32_e32 v12, 0, v12, vcc
	v_cmp_ngt_f32_e32 vcc, s1, v1
	v_cvt_i32_f32_e32 v30, v30
	v_exp_f32_e32 v14, v14
	v_cndmask_b32_e32 v13, 0, v13, vcc
	v_cmp_nlt_f32_e32 vcc, s2, v5
	v_cndmask_b32_e32 v5, v10, v8, vcc
	v_cmp_nlt_f32_e32 vcc, s2, v6
	;; [unrolled: 2-line block ×4, first 2 shown]
	v_pk_add_f32 v[2:3], v[2:3], v[4:5] op_sel_hi:[1,0] neg_lo:[0,1] neg_hi:[0,1]
	v_ldexp_f32 v14, v14, v30
	v_cndmask_b32_e32 v1, v10, v13, vcc
	v_cmp_ngt_f32_e32 vcc, s1, v0
	v_mul_f32_e32 v12, 0x3fb8aa3b, v3
	v_cndmask_b32_e32 v11, 0, v14, vcc
	v_fma_f32 v13, v3, s0, -v12
	v_rndne_f32_e32 v14, v12
	v_fmac_f32_e32 v13, 0x32a5705f, v3
	v_sub_f32_e32 v12, v12, v14
	v_add_f32_e32 v12, v12, v13
	v_exp_f32_e32 v12, v12
	v_cvt_i32_f32_e32 v13, v14
	v_cmp_nlt_f32_e32 vcc, s2, v0
	v_cndmask_b32_e32 v0, v10, v11, vcc
	v_cmp_ngt_f32_e32 vcc, s1, v3
	v_ldexp_f32 v11, v12, v13
	v_mul_f32_e32 v12, 0x3fb8aa3b, v2
	v_fma_f32 v13, v2, s0, -v12
	v_rndne_f32_e32 v14, v12
	v_fmac_f32_e32 v13, 0x32a5705f, v2
	v_sub_f32_e32 v12, v12, v14
	v_add_f32_e32 v12, v12, v13
	v_exp_f32_e32 v12, v12
	v_cvt_i32_f32_e32 v13, v14
	v_sub_f32_e32 v4, v9, v4
	v_cndmask_b32_e32 v11, 0, v11, vcc
	v_cmp_nlt_f32_e32 vcc, s2, v3
	v_mul_f32_e32 v9, 0x3fb8aa3b, v4
	v_cndmask_b32_e32 v3, v10, v11, vcc
	v_ldexp_f32 v11, v12, v13
	v_fma_f32 v12, v4, s0, -v9
	v_rndne_f32_e32 v13, v9
	v_fmac_f32_e32 v12, 0x32a5705f, v4
	v_sub_f32_e32 v9, v9, v13
	v_add_f32_e32 v9, v9, v12
	v_exp_f32_e32 v9, v9
	v_cvt_i32_f32_e32 v12, v13
	v_add_f32_e32 v8, v5, v6
	v_add_f32_e32 v8, v8, v7
	v_cmp_ngt_f32_e32 vcc, s1, v2
	v_add_f32_e32 v8, v8, v0
	v_cndmask_b32_e32 v11, 0, v11, vcc
	v_cmp_nlt_f32_e32 vcc, s2, v2
	v_add_f32_e32 v8, v8, v1
	v_cndmask_b32_e32 v2, v10, v11, vcc
	v_ldexp_f32 v9, v9, v12
	v_cmp_ngt_f32_e32 vcc, s1, v4
	v_add_f32_e32 v8, v8, v2
	v_cndmask_b32_e32 v9, 0, v9, vcc
	v_cmp_nlt_f32_e32 vcc, s2, v4
	v_add_f32_e32 v8, v8, v3
	v_cndmask_b32_e32 v10, v10, v9, vcc
	v_add_f32_e32 v4, v8, v10
	ds_bpermute_b32 v8, v22, v4
	s_movk_i32 s2, 0x1f8
	v_lshlrev_b32_e32 v26, 3, v21
	s_waitcnt lgkmcnt(0)
	v_add_f32_e32 v4, v4, v8
	ds_bpermute_b32 v8, v23, v4
	s_waitcnt lgkmcnt(0)
	v_add_f32_e32 v4, v4, v8
	ds_bpermute_b32 v8, v24, v4
	;; [unrolled: 3-line block ×3, first 2 shown]
	s_waitcnt lgkmcnt(0)
	v_add_f32_e32 v4, v4, v8
	v_div_scale_f32 v8, s[0:1], v4, v4, 1.0
	v_rcp_f32_e32 v9, v8
	s_load_dwordx2 s[0:1], s[4:5], 0x40
	v_fma_f32 v11, -v8, v9, 1.0
	v_fmac_f32_e32 v9, v11, v9
	v_div_scale_f32 v11, vcc, 1.0, v4, 1.0
	v_mul_f32_e32 v12, v11, v9
	v_fma_f32 v13, -v8, v12, v11
	v_fmac_f32_e32 v12, v13, v9
	v_fma_f32 v8, -v8, v12, v11
	v_div_fmas_f32 v8, v8, v9, v12
	v_div_fixup_f32 v4, v8, v4, 1.0
	v_mul_f32_e32 v5, v4, v5
	v_mul_f32_e32 v11, v4, v6
	v_cmp_class_f32_e64 vcc, v5, s2
	v_mul_f32_e32 v12, v4, v7
	v_pk_mul_f32 v[6:7], v[4:5], v[0:1] op_sel_hi:[0,1]
	v_cndmask_b32_e32 v0, 0, v5, vcc
	v_cmp_class_f32_e64 vcc, v11, s2
	v_pk_mul_f32 v[8:9], v[4:5], v[2:3] op_sel_hi:[0,1]
	v_cndmask_b32_e32 v1, 0, v11, vcc
	v_cmp_class_f32_e64 vcc, v12, s2
	v_mov_b32_e32 v5, 0x207
	v_cndmask_b32_e32 v2, 0, v12, vcc
	v_cmp_class_f32_e32 vcc, v7, v5
	v_mul_f32_e32 v10, v4, v10
	v_cndmask_b32_e64 v4, v7, 0, vcc
	v_cmp_class_f32_e32 vcc, v6, v5
	v_cndmask_b32_e64 v3, v6, 0, vcc
	v_cmp_class_f32_e32 vcc, v9, v5
	;; [unrolled: 2-line block ×3, first 2 shown]
	v_cndmask_b32_e64 v5, v8, 0, vcc
	v_cmp_class_f32_e64 vcc, v10, s2
	s_waitcnt lgkmcnt(0)
	s_cmp_eq_u64 s[0:1], 0
	v_cndmask_b32_e32 v7, 0, v10, vcc
	s_cbranch_scc1 .LBB182_23
; %bb.4:
	v_lshlrev_b32_e32 v16, 2, v26
	global_load_dwordx4 v[8:11], v16, s[0:1]
	global_load_dwordx4 v[12:15], v16, s[0:1] offset:16
	s_waitcnt vmcnt(1)
	v_pk_add_f32 v[8:9], v[8:9], v[0:1]
	v_pk_add_f32 v[10:11], v[10:11], v[2:3]
	s_waitcnt vmcnt(0)
	v_pk_add_f32 v[12:13], v[12:13], v[4:5]
	v_pk_add_f32 v[14:15], v[14:15], v[6:7]
	s_cbranch_execnz .LBB182_6
.LBB182_5:
	v_pk_mov_b32 v[14:15], v[6:7], v[6:7] op_sel:[0,1]
	v_pk_mov_b32 v[12:13], v[4:5], v[4:5] op_sel:[0,1]
	;; [unrolled: 1-line block ×4, first 2 shown]
.LBB182_6:
	s_load_dwordx4 s[8:11], s[4:5], 0x30
	s_mov_b32 s25, 0
	v_cmp_eq_u32_e64 s[0:1], 0, v21
	s_waitcnt lgkmcnt(0)
	s_bitcmp1_b32 s11, 0
	s_cselect_b64 vcc, -1, 0
	s_cmp_gt_i32 s8, 0
	s_cselect_b64 s[20:21], -1, 0
	s_cmp_lt_i32 s8, 1
	s_cbranch_scc1 .LBB182_24
; %bb.7:
	s_load_dwordx4 s[12:15], s[4:5], 0x20
	v_mul_lo_u32 v28, v17, s8
	v_mov_b32_e32 v27, 0
	v_mov_b32_e32 v29, 0x80
	;; [unrolled: 1-line block ×4, first 2 shown]
	s_branch .LBB182_10
.LBB182_8:                              ;   in Loop: Header=BB182_10 Depth=1
	s_or_b64 exec, exec, s[4:5]
.LBB182_9:                              ;   in Loop: Header=BB182_10 Depth=1
	s_cmp_eq_u32 s8, s25
	v_add_u32_e32 v31, s24, v31
	s_cbranch_scc1 .LBB182_25
.LBB182_10:                             ; =>This Inner Loop Header: Depth=1
	v_cmp_gt_f32_e64 s[2:3], v9, v8
	v_cndmask_b32_e64 v16, v8, v9, s[2:3]
	v_cndmask_b32_e64 v18, v0, v1, s[2:3]
	s_waitcnt lgkmcnt(0)
	v_cndmask_b32_e64 v19, 0, 1, s[2:3]
	v_cmp_gt_f32_e64 s[2:3], v10, v16
	v_cndmask_b32_e64 v16, v16, v10, s[2:3]
	v_cndmask_b32_e64 v18, v18, v2, s[2:3]
	v_cndmask_b32_e64 v19, v19, 2, s[2:3]
	v_cmp_gt_f32_e64 s[2:3], v11, v16
	v_cndmask_b32_e64 v16, v16, v11, s[2:3]
	v_cndmask_b32_e64 v18, v18, v3, s[2:3]
	;; [unrolled: 4-line block ×6, first 2 shown]
	v_or_b32_e32 v19, v26, v19
	ds_bpermute_b32 v20, v22, v16
	ds_bpermute_b32 v32, v22, v19
	v_cndmask_b32_e64 v18, v18, v7, s[2:3]
	ds_bpermute_b32 v34, v22, v18
	s_waitcnt lgkmcnt(0)
	v_cmp_eq_f32_e64 s[4:5], v16, v20
	v_cmp_lt_i32_e64 s[6:7], v32, v19
	v_cmp_lt_f32_e64 s[2:3], v16, v20
	s_and_b64 s[4:5], s[4:5], s[6:7]
	s_or_b64 s[2:3], s[2:3], s[4:5]
	v_cndmask_b32_e64 v33, v19, v32, s[2:3]
	v_cndmask_b32_e64 v32, v16, v20, s[2:3]
	;; [unrolled: 1-line block ×3, first 2 shown]
	ds_bpermute_b32 v35, v23, v32
	ds_bpermute_b32 v20, v23, v16
	;; [unrolled: 1-line block ×3, first 2 shown]
                                        ; implicit-def: $vgpr18_vgpr19
	s_waitcnt lgkmcnt(2)
	v_cmp_lt_f32_e64 s[6:7], v32, v35
	v_cmp_nlt_f32_e64 s[2:3], v32, v35
	s_and_saveexec_b64 s[22:23], s[2:3]
	s_cbranch_execz .LBB182_12
; %bb.11:                               ;   in Loop: Header=BB182_10 Depth=1
	v_cmp_eq_f32_e64 s[2:3], v32, v35
	s_waitcnt lgkmcnt(0)
	v_cmp_lt_i32_e64 s[4:5], v34, v33
	s_and_b64 s[2:3], s[2:3], s[4:5]
	s_andn2_b64 s[4:5], s[6:7], exec
	s_and_b64 s[2:3], s[2:3], exec
	s_or_b64 s[6:7], s[4:5], s[2:3]
	v_pk_mov_b32 v[18:19], v[16:17], v[16:17] op_sel:[0,1]
.LBB182_12:                             ;   in Loop: Header=BB182_10 Depth=1
	s_or_b64 exec, exec, s[22:23]
	s_and_saveexec_b64 s[2:3], s[6:7]
	s_cbranch_execz .LBB182_14
; %bb.13:                               ;   in Loop: Header=BB182_10 Depth=1
	v_mov_b32_e32 v32, v35
	s_waitcnt lgkmcnt(1)
	v_mov_b32_e32 v16, v20
	s_waitcnt lgkmcnt(0)
	v_mov_b32_e32 v33, v34
	v_pk_mov_b32 v[18:19], v[20:21], v[20:21] op_sel:[0,1]
.LBB182_14:                             ;   in Loop: Header=BB182_10 Depth=1
	s_or_b64 exec, exec, s[2:3]
	s_waitcnt lgkmcnt(0)
	ds_bpermute_b32 v34, v24, v32
	ds_bpermute_b32 v20, v24, v16
	;; [unrolled: 1-line block ×3, first 2 shown]
	s_waitcnt lgkmcnt(2)
	v_cmp_lt_f32_e64 s[6:7], v32, v34
	v_cmp_nlt_f32_e64 s[2:3], v32, v34
	s_and_saveexec_b64 s[22:23], s[2:3]
	s_cbranch_execz .LBB182_16
; %bb.15:                               ;   in Loop: Header=BB182_10 Depth=1
	v_cmp_eq_f32_e64 s[2:3], v32, v34
	s_waitcnt lgkmcnt(0)
	v_cmp_lt_i32_e64 s[4:5], v19, v33
	s_and_b64 s[2:3], s[2:3], s[4:5]
	s_andn2_b64 s[4:5], s[6:7], exec
	s_and_b64 s[2:3], s[2:3], exec
	s_or_b64 s[6:7], s[4:5], s[2:3]
.LBB182_16:                             ;   in Loop: Header=BB182_10 Depth=1
	s_or_b64 exec, exec, s[22:23]
	s_and_saveexec_b64 s[2:3], s[6:7]
	s_cbranch_execz .LBB182_18
; %bb.17:                               ;   in Loop: Header=BB182_10 Depth=1
	v_mov_b32_e32 v32, v34
	s_waitcnt lgkmcnt(1)
	v_mov_b32_e32 v16, v20
	s_waitcnt lgkmcnt(0)
	v_mov_b32_e32 v33, v19
	v_pk_mov_b32 v[18:19], v[20:21], v[20:21] op_sel:[0,1]
.LBB182_18:                             ;   in Loop: Header=BB182_10 Depth=1
	s_or_b64 exec, exec, s[2:3]
	s_waitcnt lgkmcnt(1)
	ds_bpermute_b32 v20, v25, v32
	ds_bpermute_b32 v34, v25, v33
	s_waitcnt lgkmcnt(2)
	ds_bpermute_b32 v19, v25, v16
	s_waitcnt lgkmcnt(2)
	v_cmp_eq_f32_e64 s[4:5], v32, v20
	s_waitcnt lgkmcnt(1)
	v_cmp_lt_i32_e64 s[6:7], v34, v33
	v_cmp_lt_f32_e64 s[2:3], v32, v20
	s_and_b64 s[4:5], s[4:5], s[6:7]
	s_or_b64 s[2:3], s[2:3], s[4:5]
	v_cndmask_b32_e64 v16, v33, v34, s[2:3]
	s_and_saveexec_b64 s[6:7], s[0:1]
	s_cbranch_execnz .LBB182_20
; %bb.19:                               ;   in Loop: Header=BB182_10 Depth=1
	s_or_b64 exec, exec, s[6:7]
	s_add_i32 s25, s25, 1
	s_cmp_ge_i32 s25, s8
	s_cbranch_scc1 .LBB182_9
	s_branch .LBB182_21
.LBB182_20:                             ;   in Loop: Header=BB182_10 Depth=1
	s_waitcnt lgkmcnt(0)
	v_cndmask_b32_e64 v20, v18, v19, s[2:3]
	v_add_u32_e32 v18, s25, v28
	v_ashrrev_i32_e32 v19, 31, v18
	v_cmp_le_i32_e64 s[2:3], s9, v16
	v_cmp_gt_i32_e64 s[4:5], s10, v16
	v_lshlrev_b64 v[32:33], 2, v[18:19]
	s_and_b64 s[4:5], s[2:3], s[4:5]
	v_mov_b32_e32 v35, s17
	v_add_co_u32_e64 v34, s[2:3], s16, v32
	v_addc_co_u32_e64 v35, s[2:3], v35, v33, s[2:3]
	global_store_dword v[34:35], v20, off
	v_subrev_u32_e32 v34, s9, v16
	v_ashrrev_i32_e32 v35, 31, v34
	s_and_b64 s[2:3], s[18:19], s[4:5]
	v_lshlrev_b64 v[18:19], 3, v[18:19]
	v_cndmask_b32_e64 v35, 0, v35, s[2:3]
	v_cndmask_b32_e64 v34, v29, v34, s[2:3]
	v_mov_b32_e32 v36, s13
	v_add_co_u32_e64 v18, s[2:3], s12, v18
	v_addc_co_u32_e64 v19, s[2:3], v36, v19, s[2:3]
	global_store_dwordx2 v[18:19], v[34:35], off
	v_mov_b32_e32 v19, s15
	v_add_co_u32_e64 v18, s[2:3], s14, v32
	v_addc_co_u32_e64 v19, s[2:3], v19, v33, s[2:3]
	global_store_dword v[18:19], v31, off
	v_add_f32_e32 v18, v27, v20
	v_cndmask_b32_e32 v27, v27, v18, vcc
	s_or_b64 exec, exec, s[6:7]
	s_add_i32 s25, s25, 1
	s_cmp_ge_i32 s25, s8
	s_cbranch_scc1 .LBB182_9
.LBB182_21:                             ;   in Loop: Header=BB182_10 Depth=1
	s_waitcnt lgkmcnt(0)
	v_ashrrev_i32_e32 v19, 31, v16
	v_lshrrev_b32_e32 v18, 29, v19
	v_add_u32_e32 v18, v16, v18
	v_ashrrev_i32_e32 v18, 3, v18
	v_lshrrev_b32_e32 v20, 28, v18
	v_add_u32_e32 v20, v18, v20
	v_and_b32_e32 v20, -16, v20
	v_sub_u32_e32 v20, v18, v20
	v_cmp_eq_u32_e64 s[2:3], v21, v20
	s_and_saveexec_b64 s[4:5], s[2:3]
	s_cbranch_execz .LBB182_8
; %bb.22:                               ;   in Loop: Header=BB182_10 Depth=1
	v_lshrrev_b32_e32 v19, 25, v19
	v_add_u32_e32 v19, v16, v19
	v_lshlrev_b32_e32 v18, 3, v18
	v_ashrrev_i32_e32 v19, 7, v19
	v_sub_u32_e32 v16, v16, v18
	v_lshl_add_u32 v16, v19, 3, v16
	v_cmp_ne_u32_e64 s[2:3], 7, v16
	v_cndmask_b32_e64 v15, v30, v15, s[2:3]
	v_cmp_ne_u32_e64 s[2:3], 6, v16
	v_cndmask_b32_e64 v14, v30, v14, s[2:3]
	;; [unrolled: 2-line block ×8, first 2 shown]
	s_branch .LBB182_8
.LBB182_23:
                                        ; implicit-def: $vgpr8_vgpr9_vgpr10_vgpr11_vgpr12_vgpr13_vgpr14_vgpr15
	s_andn2_b64 vcc, exec, s[6:7]
	s_cbranch_vccz .LBB182_5
	s_branch .LBB182_6
.LBB182_24:
	v_mov_b32_e32 v27, 0
.LBB182_25:
	v_cmp_eq_u32_e64 s[0:1], 0, v21
	s_and_b64 s[0:1], s[0:1], vcc
	s_and_b64 exec, exec, s[0:1]
	s_cbranch_execz .LBB182_34
; %bb.26:
	s_andn2_b64 vcc, exec, s[20:21]
	s_cbranch_vccnz .LBB182_34
; %bb.27:
	v_cmp_lt_f32_e32 vcc, 0, v27
	s_mov_b32 s2, 0
	v_cndmask_b32_e32 v0, 1.0, v27, vcc
	v_mul_lo_u32 v4, v17, s8
	s_cmp_eq_u32 s8, 1
	s_mov_b64 s[0:1], -1
	s_cbranch_scc1 .LBB182_31
; %bb.28:
	s_and_b32 s2, s8, 0x7ffffffe
	v_mov_b32_e32 v1, v0
	v_mov_b32_e32 v5, s17
	s_mov_b32 s3, s2
	v_mov_b32_e32 v2, v4
.LBB182_29:                             ; =>This Inner Loop Header: Depth=1
	v_ashrrev_i32_e32 v3, 31, v2
	v_lshlrev_b64 v[6:7], 2, v[2:3]
	v_add_co_u32_e32 v6, vcc, s16, v6
	v_addc_co_u32_e32 v7, vcc, v5, v7, vcc
	global_load_dwordx2 v[8:9], v[6:7], off
	s_add_i32 s3, s3, -2
	s_cmp_lg_u32 s3, 0
	v_add_u32_e32 v2, 2, v2
	s_waitcnt vmcnt(0)
	v_div_scale_f32 v3, s[0:1], v1, v1, v9
	v_div_scale_f32 v11, s[0:1], v0, v0, v8
	v_rcp_f32_e32 v12, v3
	v_rcp_f32_e32 v13, v11
	v_div_scale_f32 v10, vcc, v9, v1, v9
	v_fma_f32 v15, -v3, v12, 1.0
	v_fma_f32 v16, -v11, v13, 1.0
	v_fmac_f32_e32 v12, v15, v12
	v_div_scale_f32 v14, s[0:1], v8, v0, v8
	v_fmac_f32_e32 v13, v16, v13
	v_mul_f32_e32 v15, v10, v12
	v_mul_f32_e32 v16, v14, v13
	v_fma_f32 v17, -v3, v15, v10
	v_fma_f32 v18, -v11, v16, v14
	v_fmac_f32_e32 v15, v17, v12
	v_fmac_f32_e32 v16, v18, v13
	v_fma_f32 v3, -v3, v15, v10
	v_fma_f32 v10, -v11, v16, v14
	v_div_fmas_f32 v3, v3, v12, v15
	s_mov_b64 vcc, s[0:1]
	v_div_fixup_f32 v9, v3, v1, v9
	v_div_fmas_f32 v3, v10, v13, v16
	v_div_fixup_f32 v8, v3, v0, v8
	global_store_dwordx2 v[6:7], v[8:9], off
	s_cbranch_scc1 .LBB182_29
; %bb.30:
	s_cmp_lg_u32 s2, s8
	s_cselect_b64 s[0:1], -1, 0
.LBB182_31:
	s_and_b64 vcc, exec, s[0:1]
	s_cbranch_vccz .LBB182_34
; %bb.32:
	v_ashrrev_i32_e32 v1, 31, v4
	v_add_co_u32_e32 v2, vcc, s2, v4
	v_addc_co_u32_e32 v3, vcc, 0, v1, vcc
	v_lshlrev_b64 v[2:3], 2, v[2:3]
	v_mov_b32_e32 v1, s17
	v_add_co_u32_e32 v2, vcc, s16, v2
	s_sub_i32 s0, s8, s2
	v_addc_co_u32_e32 v3, vcc, v1, v3, vcc
.LBB182_33:                             ; =>This Inner Loop Header: Depth=1
	global_load_dword v1, v[2:3], off
	s_add_i32 s0, s0, -1
	s_cmp_lg_u32 s0, 0
	s_waitcnt vmcnt(0)
	v_div_scale_f32 v4, s[2:3], v0, v0, v1
	v_rcp_f32_e32 v5, v4
	v_div_scale_f32 v6, vcc, v1, v0, v1
	v_fma_f32 v7, -v4, v5, 1.0
	v_fmac_f32_e32 v5, v7, v5
	v_mul_f32_e32 v7, v6, v5
	v_fma_f32 v8, -v4, v7, v6
	v_fmac_f32_e32 v7, v8, v5
	v_fma_f32 v4, -v4, v7, v6
	v_div_fmas_f32 v4, v4, v5, v7
	v_div_fixup_f32 v1, v4, v0, v1
	global_store_dword v[2:3], v1, off
	v_add_co_u32_e32 v2, vcc, 4, v2
	v_addc_co_u32_e32 v3, vcc, 0, v3, vcc
	s_cbranch_scc1 .LBB182_33
.LBB182_34:
	s_endpgm
	.section	.rodata,"a",@progbits
	.p2align	6, 0x0
	.amdhsa_kernel _ZN4vllm3moe10topkGatingILi8ELi128ELi4ELi16ELi64El14__hip_bfloat16LNS0_11ScoringFuncE0EEEvPKT5_PKbPfiPT4_PiiiibPKf
		.amdhsa_group_segment_fixed_size 0
		.amdhsa_private_segment_fixed_size 0
		.amdhsa_kernarg_size 72
		.amdhsa_user_sgpr_count 6
		.amdhsa_user_sgpr_private_segment_buffer 1
		.amdhsa_user_sgpr_dispatch_ptr 0
		.amdhsa_user_sgpr_queue_ptr 0
		.amdhsa_user_sgpr_kernarg_segment_ptr 1
		.amdhsa_user_sgpr_dispatch_id 0
		.amdhsa_user_sgpr_flat_scratch_init 0
		.amdhsa_user_sgpr_kernarg_preload_length 0
		.amdhsa_user_sgpr_kernarg_preload_offset 0
		.amdhsa_user_sgpr_private_segment_size 0
		.amdhsa_uses_dynamic_stack 0
		.amdhsa_system_sgpr_private_segment_wavefront_offset 0
		.amdhsa_system_sgpr_workgroup_id_x 1
		.amdhsa_system_sgpr_workgroup_id_y 0
		.amdhsa_system_sgpr_workgroup_id_z 0
		.amdhsa_system_sgpr_workgroup_info 0
		.amdhsa_system_vgpr_workitem_id 1
		.amdhsa_next_free_vgpr 37
		.amdhsa_next_free_sgpr 26
		.amdhsa_accum_offset 40
		.amdhsa_reserve_vcc 1
		.amdhsa_reserve_flat_scratch 0
		.amdhsa_float_round_mode_32 0
		.amdhsa_float_round_mode_16_64 0
		.amdhsa_float_denorm_mode_32 3
		.amdhsa_float_denorm_mode_16_64 3
		.amdhsa_dx10_clamp 1
		.amdhsa_ieee_mode 1
		.amdhsa_fp16_overflow 0
		.amdhsa_tg_split 0
		.amdhsa_exception_fp_ieee_invalid_op 0
		.amdhsa_exception_fp_denorm_src 0
		.amdhsa_exception_fp_ieee_div_zero 0
		.amdhsa_exception_fp_ieee_overflow 0
		.amdhsa_exception_fp_ieee_underflow 0
		.amdhsa_exception_fp_ieee_inexact 0
		.amdhsa_exception_int_div_zero 0
	.end_amdhsa_kernel
	.section	.text._ZN4vllm3moe10topkGatingILi8ELi128ELi4ELi16ELi64El14__hip_bfloat16LNS0_11ScoringFuncE0EEEvPKT5_PKbPfiPT4_PiiiibPKf,"axG",@progbits,_ZN4vllm3moe10topkGatingILi8ELi128ELi4ELi16ELi64El14__hip_bfloat16LNS0_11ScoringFuncE0EEEvPKT5_PKbPfiPT4_PiiiibPKf,comdat
.Lfunc_end182:
	.size	_ZN4vllm3moe10topkGatingILi8ELi128ELi4ELi16ELi64El14__hip_bfloat16LNS0_11ScoringFuncE0EEEvPKT5_PKbPfiPT4_PiiiibPKf, .Lfunc_end182-_ZN4vllm3moe10topkGatingILi8ELi128ELi4ELi16ELi64El14__hip_bfloat16LNS0_11ScoringFuncE0EEEvPKT5_PKbPfiPT4_PiiiibPKf
                                        ; -- End function
	.section	.AMDGPU.csdata,"",@progbits
; Kernel info:
; codeLenInByte = 3168
; NumSgprs: 30
; NumVgprs: 37
; NumAgprs: 0
; TotalNumVgprs: 37
; ScratchSize: 0
; MemoryBound: 0
; FloatMode: 240
; IeeeMode: 1
; LDSByteSize: 0 bytes/workgroup (compile time only)
; SGPRBlocks: 3
; VGPRBlocks: 4
; NumSGPRsForWavesPerEU: 30
; NumVGPRsForWavesPerEU: 37
; AccumOffset: 40
; Occupancy: 8
; WaveLimiterHint : 0
; COMPUTE_PGM_RSRC2:SCRATCH_EN: 0
; COMPUTE_PGM_RSRC2:USER_SGPR: 6
; COMPUTE_PGM_RSRC2:TRAP_HANDLER: 0
; COMPUTE_PGM_RSRC2:TGID_X_EN: 1
; COMPUTE_PGM_RSRC2:TGID_Y_EN: 0
; COMPUTE_PGM_RSRC2:TGID_Z_EN: 0
; COMPUTE_PGM_RSRC2:TIDIG_COMP_CNT: 1
; COMPUTE_PGM_RSRC3_GFX90A:ACCUM_OFFSET: 9
; COMPUTE_PGM_RSRC3_GFX90A:TG_SPLIT: 0
	.section	.text._ZN4vllm3moe10topkGatingILi8ELi128ELi4ELi16ELi32El14__hip_bfloat16LNS0_11ScoringFuncE0EEEvPKT5_PKbPfiPT4_PiiiibPKf,"axG",@progbits,_ZN4vllm3moe10topkGatingILi8ELi128ELi4ELi16ELi32El14__hip_bfloat16LNS0_11ScoringFuncE0EEEvPKT5_PKbPfiPT4_PiiiibPKf,comdat
	.protected	_ZN4vllm3moe10topkGatingILi8ELi128ELi4ELi16ELi32El14__hip_bfloat16LNS0_11ScoringFuncE0EEEvPKT5_PKbPfiPT4_PiiiibPKf ; -- Begin function _ZN4vllm3moe10topkGatingILi8ELi128ELi4ELi16ELi32El14__hip_bfloat16LNS0_11ScoringFuncE0EEEvPKT5_PKbPfiPT4_PiiiibPKf
	.globl	_ZN4vllm3moe10topkGatingILi8ELi128ELi4ELi16ELi32El14__hip_bfloat16LNS0_11ScoringFuncE0EEEvPKT5_PKbPfiPT4_PiiiibPKf
	.p2align	8
	.type	_ZN4vllm3moe10topkGatingILi8ELi128ELi4ELi16ELi32El14__hip_bfloat16LNS0_11ScoringFuncE0EEEvPKT5_PKbPfiPT4_PiiiibPKf,@function
_ZN4vllm3moe10topkGatingILi8ELi128ELi4ELi16ELi32El14__hip_bfloat16LNS0_11ScoringFuncE0EEEvPKT5_PKbPfiPT4_PiiiibPKf: ; @_ZN4vllm3moe10topkGatingILi8ELi128ELi4ELi16ELi32El14__hip_bfloat16LNS0_11ScoringFuncE0EEEvPKT5_PKbPfiPT4_PiiiibPKf
; %bb.0:
	s_load_dword s24, s[4:5], 0x18
	v_bfe_u32 v1, v0, 10, 10
	v_and_b32_e32 v0, 0x3ff, v0
	s_lshl_b32 s0, s6, 3
	v_lshlrev_b32_e32 v1, 1, v1
	v_lshrrev_b32_e32 v2, 4, v0
	v_add3_u32 v17, s0, v1, v2
	s_waitcnt lgkmcnt(0)
	v_cmp_gt_i32_e32 vcc, s24, v17
	s_and_saveexec_b64 s[0:1], vcc
	s_cbranch_execz .LBB183_34
; %bb.1:
	s_load_dwordx4 s[0:3], s[4:5], 0x0
	s_load_dwordx2 s[16:17], s[4:5], 0x10
	s_mov_b64 s[6:7], -1
	s_mov_b64 s[18:19], -1
	s_waitcnt lgkmcnt(0)
	s_cmp_eq_u64 s[2:3], 0
	s_cbranch_scc1 .LBB183_3
; %bb.2:
	v_ashrrev_i32_e32 v1, 31, v17
	v_mov_b32_e32 v3, s3
	v_add_co_u32_e32 v2, vcc, s2, v17
	v_addc_co_u32_e32 v3, vcc, v3, v1, vcc
	global_load_ubyte v1, v[2:3], off
	s_waitcnt vmcnt(0)
	v_and_b32_e32 v1, 1, v1
	v_cmp_eq_u32_e32 vcc, 1, v1
	s_xor_b64 s[2:3], vcc, -1
	s_orn2_b64 s[18:19], s[2:3], exec
.LBB183_3:
	v_lshlrev_b32_e32 v2, 7, v17
	v_ashrrev_i32_e32 v3, 31, v2
	v_lshlrev_b64 v[2:3], 1, v[2:3]
	v_mov_b32_e32 v1, s1
	v_add_co_u32_e32 v2, vcc, s0, v2
	v_and_b32_e32 v21, 15, v0
	v_addc_co_u32_e32 v1, vcc, v1, v3, vcc
	v_lshlrev_b32_e32 v0, 4, v21
	v_add_co_u32_e32 v0, vcc, v2, v0
	v_addc_co_u32_e32 v1, vcc, 0, v1, vcc
	global_load_dwordx4 v[0:3], v[0:1], off
	v_mbcnt_lo_u32_b32 v4, -1, 0
	v_mbcnt_hi_u32_b32 v4, -1, v4
	v_and_b32_e32 v5, 0x70, v4
	v_xor_b32_e32 v6, 8, v4
	v_add_u32_e32 v5, 16, v5
	v_cmp_lt_i32_e32 vcc, v6, v5
	v_cndmask_b32_e32 v6, v4, v6, vcc
	v_lshlrev_b32_e32 v22, 2, v6
	v_xor_b32_e32 v12, 4, v4
	v_cmp_lt_i32_e32 vcc, v12, v5
	v_cndmask_b32_e32 v12, v4, v12, vcc
	v_lshlrev_b32_e32 v23, 2, v12
	v_xor_b32_e32 v12, 2, v4
	;; [unrolled: 4-line block ×3, first 2 shown]
	v_cmp_lt_i32_e32 vcc, v12, v5
	v_cndmask_b32_e32 v4, v4, v12, vcc
	v_lshlrev_b32_e32 v25, 2, v4
	s_mov_b32 s0, 0x3fb8aa3b
	s_mov_b32 s1, 0xc2ce8ed0
	;; [unrolled: 1-line block ×3, first 2 shown]
	s_waitcnt vmcnt(0)
	v_lshlrev_b32_e32 v6, 16, v0
	v_and_b32_e32 v7, 0xffff0000, v0
	v_max_f32_e32 v10, v7, v7
	v_max_f32_e32 v11, v6, v6
	v_lshlrev_b32_e32 v8, 16, v1
	v_and_b32_e32 v0, 0xffff0000, v1
	v_max_f32_e32 v10, v11, v10
	v_lshlrev_b32_e32 v1, 16, v2
	v_and_b32_e32 v2, 0xffff0000, v2
	v_max3_f32 v10, v10, v8, v0
	v_and_b32_e32 v9, 0xffff0000, v3
	v_lshlrev_b32_e32 v3, 16, v3
	v_max3_f32 v10, v10, v1, v2
	v_max3_f32 v10, v10, v3, v9
	ds_bpermute_b32 v11, v22, v10
	s_waitcnt lgkmcnt(0)
	v_max_f32_e32 v11, v11, v11
	v_max_f32_e32 v10, v10, v11
	ds_bpermute_b32 v11, v23, v10
	s_waitcnt lgkmcnt(0)
	v_max_f32_e32 v11, v11, v11
	v_max_f32_e32 v10, v10, v11
	;; [unrolled: 4-line block ×3, first 2 shown]
	ds_bpermute_b32 v5, v25, v4
	v_mov_b32_e32 v10, 0x7f800000
	s_waitcnt lgkmcnt(0)
	v_max_f32_e32 v5, v5, v5
	v_max_f32_e32 v4, v4, v5
	v_sub_f32_e32 v5, v6, v4
	v_sub_f32_e32 v6, v7, v4
	;; [unrolled: 1-line block ×3, first 2 shown]
	v_mul_f32_e32 v8, 0x3fb8aa3b, v5
	v_mul_f32_e32 v11, 0x3fb8aa3b, v6
	v_fma_f32 v15, v5, s0, -v8
	v_rndne_f32_e32 v16, v8
	v_pk_add_f32 v[0:1], v[0:1], v[4:5] op_sel_hi:[1,0] neg_lo:[0,1] neg_hi:[0,1]
	v_mul_f32_e32 v12, 0x3fb8aa3b, v7
	v_fma_f32 v18, v6, s0, -v11
	v_rndne_f32_e32 v19, v11
	v_fmac_f32_e32 v15, 0x32a5705f, v5
	v_sub_f32_e32 v8, v8, v16
	v_mul_f32_e32 v13, 0x3fb8aa3b, v1
	v_fma_f32 v20, v7, s0, -v12
	v_rndne_f32_e32 v26, v12
	v_fmac_f32_e32 v18, 0x32a5705f, v6
	v_sub_f32_e32 v11, v11, v19
	v_add_f32_e32 v8, v8, v15
	v_fma_f32 v27, v1, s0, -v13
	v_rndne_f32_e32 v28, v13
	v_cvt_i32_f32_e32 v16, v16
	v_fmac_f32_e32 v20, 0x32a5705f, v7
	v_sub_f32_e32 v12, v12, v26
	v_add_f32_e32 v11, v11, v18
	v_exp_f32_e32 v8, v8
	v_cvt_i32_f32_e32 v19, v19
	v_fmac_f32_e32 v27, 0x32a5705f, v1
	v_sub_f32_e32 v13, v13, v28
	v_add_f32_e32 v12, v12, v20
	v_exp_f32_e32 v11, v11
	v_cvt_i32_f32_e32 v26, v26
	v_add_f32_e32 v13, v13, v27
	v_exp_f32_e32 v12, v12
	v_cvt_i32_f32_e32 v28, v28
	v_exp_f32_e32 v13, v13
	v_mul_f32_e32 v14, 0x3fb8aa3b, v0
	v_ldexp_f32 v8, v8, v16
	v_cmp_ngt_f32_e32 vcc, s1, v5
	v_fma_f32 v29, v0, s0, -v14
	v_rndne_f32_e32 v30, v14
	v_ldexp_f32 v11, v11, v19
	v_cndmask_b32_e32 v8, 0, v8, vcc
	v_cmp_ngt_f32_e32 vcc, s1, v6
	v_fmac_f32_e32 v29, 0x32a5705f, v0
	v_sub_f32_e32 v14, v14, v30
	v_ldexp_f32 v12, v12, v26
	v_cndmask_b32_e32 v11, 0, v11, vcc
	v_cmp_ngt_f32_e32 vcc, s1, v7
	v_add_f32_e32 v14, v14, v29
	v_ldexp_f32 v13, v13, v28
	v_cndmask_b32_e32 v12, 0, v12, vcc
	v_cmp_ngt_f32_e32 vcc, s1, v1
	v_cvt_i32_f32_e32 v30, v30
	v_exp_f32_e32 v14, v14
	v_cndmask_b32_e32 v13, 0, v13, vcc
	v_cmp_nlt_f32_e32 vcc, s2, v5
	v_cndmask_b32_e32 v5, v10, v8, vcc
	v_cmp_nlt_f32_e32 vcc, s2, v6
	;; [unrolled: 2-line block ×4, first 2 shown]
	v_pk_add_f32 v[2:3], v[2:3], v[4:5] op_sel_hi:[1,0] neg_lo:[0,1] neg_hi:[0,1]
	v_ldexp_f32 v14, v14, v30
	v_cndmask_b32_e32 v1, v10, v13, vcc
	v_cmp_ngt_f32_e32 vcc, s1, v0
	v_mul_f32_e32 v12, 0x3fb8aa3b, v3
	v_cndmask_b32_e32 v11, 0, v14, vcc
	v_fma_f32 v13, v3, s0, -v12
	v_rndne_f32_e32 v14, v12
	v_fmac_f32_e32 v13, 0x32a5705f, v3
	v_sub_f32_e32 v12, v12, v14
	v_add_f32_e32 v12, v12, v13
	v_exp_f32_e32 v12, v12
	v_cvt_i32_f32_e32 v13, v14
	v_cmp_nlt_f32_e32 vcc, s2, v0
	v_cndmask_b32_e32 v0, v10, v11, vcc
	v_cmp_ngt_f32_e32 vcc, s1, v3
	v_ldexp_f32 v11, v12, v13
	v_mul_f32_e32 v12, 0x3fb8aa3b, v2
	v_fma_f32 v13, v2, s0, -v12
	v_rndne_f32_e32 v14, v12
	v_fmac_f32_e32 v13, 0x32a5705f, v2
	v_sub_f32_e32 v12, v12, v14
	v_add_f32_e32 v12, v12, v13
	v_exp_f32_e32 v12, v12
	v_cvt_i32_f32_e32 v13, v14
	v_sub_f32_e32 v4, v9, v4
	v_cndmask_b32_e32 v11, 0, v11, vcc
	v_cmp_nlt_f32_e32 vcc, s2, v3
	v_mul_f32_e32 v9, 0x3fb8aa3b, v4
	v_cndmask_b32_e32 v3, v10, v11, vcc
	v_ldexp_f32 v11, v12, v13
	v_fma_f32 v12, v4, s0, -v9
	v_rndne_f32_e32 v13, v9
	v_fmac_f32_e32 v12, 0x32a5705f, v4
	v_sub_f32_e32 v9, v9, v13
	v_add_f32_e32 v9, v9, v12
	v_exp_f32_e32 v9, v9
	v_cvt_i32_f32_e32 v12, v13
	v_add_f32_e32 v8, v5, v6
	v_add_f32_e32 v8, v8, v7
	v_cmp_ngt_f32_e32 vcc, s1, v2
	v_add_f32_e32 v8, v8, v0
	v_cndmask_b32_e32 v11, 0, v11, vcc
	v_cmp_nlt_f32_e32 vcc, s2, v2
	v_add_f32_e32 v8, v8, v1
	v_cndmask_b32_e32 v2, v10, v11, vcc
	v_ldexp_f32 v9, v9, v12
	v_cmp_ngt_f32_e32 vcc, s1, v4
	v_add_f32_e32 v8, v8, v2
	v_cndmask_b32_e32 v9, 0, v9, vcc
	v_cmp_nlt_f32_e32 vcc, s2, v4
	v_add_f32_e32 v8, v8, v3
	v_cndmask_b32_e32 v10, v10, v9, vcc
	v_add_f32_e32 v4, v8, v10
	ds_bpermute_b32 v8, v22, v4
	s_movk_i32 s2, 0x1f8
	v_lshlrev_b32_e32 v26, 3, v21
	s_waitcnt lgkmcnt(0)
	v_add_f32_e32 v4, v4, v8
	ds_bpermute_b32 v8, v23, v4
	s_waitcnt lgkmcnt(0)
	v_add_f32_e32 v4, v4, v8
	ds_bpermute_b32 v8, v24, v4
	;; [unrolled: 3-line block ×3, first 2 shown]
	s_waitcnt lgkmcnt(0)
	v_add_f32_e32 v4, v4, v8
	v_div_scale_f32 v8, s[0:1], v4, v4, 1.0
	v_rcp_f32_e32 v9, v8
	s_load_dwordx2 s[0:1], s[4:5], 0x40
	v_fma_f32 v11, -v8, v9, 1.0
	v_fmac_f32_e32 v9, v11, v9
	v_div_scale_f32 v11, vcc, 1.0, v4, 1.0
	v_mul_f32_e32 v12, v11, v9
	v_fma_f32 v13, -v8, v12, v11
	v_fmac_f32_e32 v12, v13, v9
	v_fma_f32 v8, -v8, v12, v11
	v_div_fmas_f32 v8, v8, v9, v12
	v_div_fixup_f32 v4, v8, v4, 1.0
	v_mul_f32_e32 v5, v4, v5
	v_mul_f32_e32 v11, v4, v6
	v_cmp_class_f32_e64 vcc, v5, s2
	v_mul_f32_e32 v12, v4, v7
	v_pk_mul_f32 v[6:7], v[4:5], v[0:1] op_sel_hi:[0,1]
	v_cndmask_b32_e32 v0, 0, v5, vcc
	v_cmp_class_f32_e64 vcc, v11, s2
	v_pk_mul_f32 v[8:9], v[4:5], v[2:3] op_sel_hi:[0,1]
	v_cndmask_b32_e32 v1, 0, v11, vcc
	v_cmp_class_f32_e64 vcc, v12, s2
	v_mov_b32_e32 v5, 0x207
	v_cndmask_b32_e32 v2, 0, v12, vcc
	v_cmp_class_f32_e32 vcc, v7, v5
	v_mul_f32_e32 v10, v4, v10
	v_cndmask_b32_e64 v4, v7, 0, vcc
	v_cmp_class_f32_e32 vcc, v6, v5
	v_cndmask_b32_e64 v3, v6, 0, vcc
	v_cmp_class_f32_e32 vcc, v9, v5
	;; [unrolled: 2-line block ×3, first 2 shown]
	v_cndmask_b32_e64 v5, v8, 0, vcc
	v_cmp_class_f32_e64 vcc, v10, s2
	s_waitcnt lgkmcnt(0)
	s_cmp_eq_u64 s[0:1], 0
	v_cndmask_b32_e32 v7, 0, v10, vcc
	s_cbranch_scc1 .LBB183_23
; %bb.4:
	v_lshlrev_b32_e32 v16, 2, v26
	global_load_dwordx4 v[8:11], v16, s[0:1]
	global_load_dwordx4 v[12:15], v16, s[0:1] offset:16
	s_waitcnt vmcnt(1)
	v_pk_add_f32 v[8:9], v[8:9], v[0:1]
	v_pk_add_f32 v[10:11], v[10:11], v[2:3]
	s_waitcnt vmcnt(0)
	v_pk_add_f32 v[12:13], v[12:13], v[4:5]
	v_pk_add_f32 v[14:15], v[14:15], v[6:7]
	s_cbranch_execnz .LBB183_6
.LBB183_5:
	v_pk_mov_b32 v[14:15], v[6:7], v[6:7] op_sel:[0,1]
	v_pk_mov_b32 v[12:13], v[4:5], v[4:5] op_sel:[0,1]
	;; [unrolled: 1-line block ×4, first 2 shown]
.LBB183_6:
	s_load_dwordx4 s[8:11], s[4:5], 0x30
	s_mov_b32 s25, 0
	v_cmp_eq_u32_e64 s[0:1], 0, v21
	s_waitcnt lgkmcnt(0)
	s_bitcmp1_b32 s11, 0
	s_cselect_b64 vcc, -1, 0
	s_cmp_gt_i32 s8, 0
	s_cselect_b64 s[20:21], -1, 0
	s_cmp_lt_i32 s8, 1
	s_cbranch_scc1 .LBB183_24
; %bb.7:
	s_load_dwordx4 s[12:15], s[4:5], 0x20
	v_mul_lo_u32 v28, v17, s8
	v_mov_b32_e32 v27, 0
	v_mov_b32_e32 v29, 0x80
	;; [unrolled: 1-line block ×4, first 2 shown]
	s_branch .LBB183_10
.LBB183_8:                              ;   in Loop: Header=BB183_10 Depth=1
	s_or_b64 exec, exec, s[4:5]
.LBB183_9:                              ;   in Loop: Header=BB183_10 Depth=1
	s_cmp_eq_u32 s8, s25
	v_add_u32_e32 v31, s24, v31
	s_cbranch_scc1 .LBB183_25
.LBB183_10:                             ; =>This Inner Loop Header: Depth=1
	v_cmp_gt_f32_e64 s[2:3], v9, v8
	v_cndmask_b32_e64 v16, v8, v9, s[2:3]
	v_cndmask_b32_e64 v18, v0, v1, s[2:3]
	s_waitcnt lgkmcnt(0)
	v_cndmask_b32_e64 v19, 0, 1, s[2:3]
	v_cmp_gt_f32_e64 s[2:3], v10, v16
	v_cndmask_b32_e64 v16, v16, v10, s[2:3]
	v_cndmask_b32_e64 v18, v18, v2, s[2:3]
	v_cndmask_b32_e64 v19, v19, 2, s[2:3]
	v_cmp_gt_f32_e64 s[2:3], v11, v16
	v_cndmask_b32_e64 v16, v16, v11, s[2:3]
	v_cndmask_b32_e64 v18, v18, v3, s[2:3]
	;; [unrolled: 4-line block ×6, first 2 shown]
	v_or_b32_e32 v19, v26, v19
	ds_bpermute_b32 v20, v22, v16
	ds_bpermute_b32 v32, v22, v19
	v_cndmask_b32_e64 v18, v18, v7, s[2:3]
	ds_bpermute_b32 v34, v22, v18
	s_waitcnt lgkmcnt(0)
	v_cmp_eq_f32_e64 s[4:5], v16, v20
	v_cmp_lt_i32_e64 s[6:7], v32, v19
	v_cmp_lt_f32_e64 s[2:3], v16, v20
	s_and_b64 s[4:5], s[4:5], s[6:7]
	s_or_b64 s[2:3], s[2:3], s[4:5]
	v_cndmask_b32_e64 v33, v19, v32, s[2:3]
	v_cndmask_b32_e64 v32, v16, v20, s[2:3]
	;; [unrolled: 1-line block ×3, first 2 shown]
	ds_bpermute_b32 v35, v23, v32
	ds_bpermute_b32 v20, v23, v16
	ds_bpermute_b32 v34, v23, v33
                                        ; implicit-def: $vgpr18_vgpr19
	s_waitcnt lgkmcnt(2)
	v_cmp_lt_f32_e64 s[6:7], v32, v35
	v_cmp_nlt_f32_e64 s[2:3], v32, v35
	s_and_saveexec_b64 s[22:23], s[2:3]
	s_cbranch_execz .LBB183_12
; %bb.11:                               ;   in Loop: Header=BB183_10 Depth=1
	v_cmp_eq_f32_e64 s[2:3], v32, v35
	s_waitcnt lgkmcnt(0)
	v_cmp_lt_i32_e64 s[4:5], v34, v33
	s_and_b64 s[2:3], s[2:3], s[4:5]
	s_andn2_b64 s[4:5], s[6:7], exec
	s_and_b64 s[2:3], s[2:3], exec
	s_or_b64 s[6:7], s[4:5], s[2:3]
	v_pk_mov_b32 v[18:19], v[16:17], v[16:17] op_sel:[0,1]
.LBB183_12:                             ;   in Loop: Header=BB183_10 Depth=1
	s_or_b64 exec, exec, s[22:23]
	s_and_saveexec_b64 s[2:3], s[6:7]
	s_cbranch_execz .LBB183_14
; %bb.13:                               ;   in Loop: Header=BB183_10 Depth=1
	v_mov_b32_e32 v32, v35
	s_waitcnt lgkmcnt(1)
	v_mov_b32_e32 v16, v20
	s_waitcnt lgkmcnt(0)
	v_mov_b32_e32 v33, v34
	v_pk_mov_b32 v[18:19], v[20:21], v[20:21] op_sel:[0,1]
.LBB183_14:                             ;   in Loop: Header=BB183_10 Depth=1
	s_or_b64 exec, exec, s[2:3]
	s_waitcnt lgkmcnt(0)
	ds_bpermute_b32 v34, v24, v32
	ds_bpermute_b32 v20, v24, v16
	;; [unrolled: 1-line block ×3, first 2 shown]
	s_waitcnt lgkmcnt(2)
	v_cmp_lt_f32_e64 s[6:7], v32, v34
	v_cmp_nlt_f32_e64 s[2:3], v32, v34
	s_and_saveexec_b64 s[22:23], s[2:3]
	s_cbranch_execz .LBB183_16
; %bb.15:                               ;   in Loop: Header=BB183_10 Depth=1
	v_cmp_eq_f32_e64 s[2:3], v32, v34
	s_waitcnt lgkmcnt(0)
	v_cmp_lt_i32_e64 s[4:5], v19, v33
	s_and_b64 s[2:3], s[2:3], s[4:5]
	s_andn2_b64 s[4:5], s[6:7], exec
	s_and_b64 s[2:3], s[2:3], exec
	s_or_b64 s[6:7], s[4:5], s[2:3]
.LBB183_16:                             ;   in Loop: Header=BB183_10 Depth=1
	s_or_b64 exec, exec, s[22:23]
	s_and_saveexec_b64 s[2:3], s[6:7]
	s_cbranch_execz .LBB183_18
; %bb.17:                               ;   in Loop: Header=BB183_10 Depth=1
	v_mov_b32_e32 v32, v34
	s_waitcnt lgkmcnt(1)
	v_mov_b32_e32 v16, v20
	s_waitcnt lgkmcnt(0)
	v_mov_b32_e32 v33, v19
	v_pk_mov_b32 v[18:19], v[20:21], v[20:21] op_sel:[0,1]
.LBB183_18:                             ;   in Loop: Header=BB183_10 Depth=1
	s_or_b64 exec, exec, s[2:3]
	s_waitcnt lgkmcnt(1)
	ds_bpermute_b32 v20, v25, v32
	ds_bpermute_b32 v34, v25, v33
	s_waitcnt lgkmcnt(2)
	ds_bpermute_b32 v19, v25, v16
	s_waitcnt lgkmcnt(2)
	v_cmp_eq_f32_e64 s[4:5], v32, v20
	s_waitcnt lgkmcnt(1)
	v_cmp_lt_i32_e64 s[6:7], v34, v33
	v_cmp_lt_f32_e64 s[2:3], v32, v20
	s_and_b64 s[4:5], s[4:5], s[6:7]
	s_or_b64 s[2:3], s[2:3], s[4:5]
	v_cndmask_b32_e64 v16, v33, v34, s[2:3]
	s_and_saveexec_b64 s[6:7], s[0:1]
	s_cbranch_execnz .LBB183_20
; %bb.19:                               ;   in Loop: Header=BB183_10 Depth=1
	s_or_b64 exec, exec, s[6:7]
	s_add_i32 s25, s25, 1
	s_cmp_ge_i32 s25, s8
	s_cbranch_scc1 .LBB183_9
	s_branch .LBB183_21
.LBB183_20:                             ;   in Loop: Header=BB183_10 Depth=1
	s_waitcnt lgkmcnt(0)
	v_cndmask_b32_e64 v20, v18, v19, s[2:3]
	v_add_u32_e32 v18, s25, v28
	v_ashrrev_i32_e32 v19, 31, v18
	v_cmp_le_i32_e64 s[2:3], s9, v16
	v_cmp_gt_i32_e64 s[4:5], s10, v16
	v_lshlrev_b64 v[32:33], 2, v[18:19]
	s_and_b64 s[4:5], s[2:3], s[4:5]
	v_mov_b32_e32 v35, s17
	v_add_co_u32_e64 v34, s[2:3], s16, v32
	v_addc_co_u32_e64 v35, s[2:3], v35, v33, s[2:3]
	global_store_dword v[34:35], v20, off
	v_subrev_u32_e32 v34, s9, v16
	v_ashrrev_i32_e32 v35, 31, v34
	s_and_b64 s[2:3], s[18:19], s[4:5]
	v_lshlrev_b64 v[18:19], 3, v[18:19]
	v_cndmask_b32_e64 v35, 0, v35, s[2:3]
	v_cndmask_b32_e64 v34, v29, v34, s[2:3]
	v_mov_b32_e32 v36, s13
	v_add_co_u32_e64 v18, s[2:3], s12, v18
	v_addc_co_u32_e64 v19, s[2:3], v36, v19, s[2:3]
	global_store_dwordx2 v[18:19], v[34:35], off
	v_mov_b32_e32 v19, s15
	v_add_co_u32_e64 v18, s[2:3], s14, v32
	v_addc_co_u32_e64 v19, s[2:3], v19, v33, s[2:3]
	global_store_dword v[18:19], v31, off
	v_add_f32_e32 v18, v27, v20
	v_cndmask_b32_e32 v27, v27, v18, vcc
	s_or_b64 exec, exec, s[6:7]
	s_add_i32 s25, s25, 1
	s_cmp_ge_i32 s25, s8
	s_cbranch_scc1 .LBB183_9
.LBB183_21:                             ;   in Loop: Header=BB183_10 Depth=1
	s_waitcnt lgkmcnt(0)
	v_ashrrev_i32_e32 v19, 31, v16
	v_lshrrev_b32_e32 v18, 29, v19
	v_add_u32_e32 v18, v16, v18
	v_ashrrev_i32_e32 v18, 3, v18
	v_lshrrev_b32_e32 v20, 28, v18
	v_add_u32_e32 v20, v18, v20
	v_and_b32_e32 v20, -16, v20
	v_sub_u32_e32 v20, v18, v20
	v_cmp_eq_u32_e64 s[2:3], v21, v20
	s_and_saveexec_b64 s[4:5], s[2:3]
	s_cbranch_execz .LBB183_8
; %bb.22:                               ;   in Loop: Header=BB183_10 Depth=1
	v_lshrrev_b32_e32 v19, 25, v19
	v_add_u32_e32 v19, v16, v19
	v_lshlrev_b32_e32 v18, 3, v18
	v_ashrrev_i32_e32 v19, 7, v19
	v_sub_u32_e32 v16, v16, v18
	v_lshl_add_u32 v16, v19, 3, v16
	v_cmp_ne_u32_e64 s[2:3], 7, v16
	v_cndmask_b32_e64 v15, v30, v15, s[2:3]
	v_cmp_ne_u32_e64 s[2:3], 6, v16
	v_cndmask_b32_e64 v14, v30, v14, s[2:3]
	;; [unrolled: 2-line block ×8, first 2 shown]
	s_branch .LBB183_8
.LBB183_23:
                                        ; implicit-def: $vgpr8_vgpr9_vgpr10_vgpr11_vgpr12_vgpr13_vgpr14_vgpr15
	s_andn2_b64 vcc, exec, s[6:7]
	s_cbranch_vccz .LBB183_5
	s_branch .LBB183_6
.LBB183_24:
	v_mov_b32_e32 v27, 0
.LBB183_25:
	v_cmp_eq_u32_e64 s[0:1], 0, v21
	s_and_b64 s[0:1], s[0:1], vcc
	s_and_b64 exec, exec, s[0:1]
	s_cbranch_execz .LBB183_34
; %bb.26:
	s_andn2_b64 vcc, exec, s[20:21]
	s_cbranch_vccnz .LBB183_34
; %bb.27:
	v_cmp_lt_f32_e32 vcc, 0, v27
	s_mov_b32 s2, 0
	v_cndmask_b32_e32 v0, 1.0, v27, vcc
	v_mul_lo_u32 v4, v17, s8
	s_cmp_eq_u32 s8, 1
	s_mov_b64 s[0:1], -1
	s_cbranch_scc1 .LBB183_31
; %bb.28:
	s_and_b32 s2, s8, 0x7ffffffe
	v_mov_b32_e32 v1, v0
	v_mov_b32_e32 v5, s17
	s_mov_b32 s3, s2
	v_mov_b32_e32 v2, v4
.LBB183_29:                             ; =>This Inner Loop Header: Depth=1
	v_ashrrev_i32_e32 v3, 31, v2
	v_lshlrev_b64 v[6:7], 2, v[2:3]
	v_add_co_u32_e32 v6, vcc, s16, v6
	v_addc_co_u32_e32 v7, vcc, v5, v7, vcc
	global_load_dwordx2 v[8:9], v[6:7], off
	s_add_i32 s3, s3, -2
	s_cmp_lg_u32 s3, 0
	v_add_u32_e32 v2, 2, v2
	s_waitcnt vmcnt(0)
	v_div_scale_f32 v3, s[0:1], v1, v1, v9
	v_div_scale_f32 v11, s[0:1], v0, v0, v8
	v_rcp_f32_e32 v12, v3
	v_rcp_f32_e32 v13, v11
	v_div_scale_f32 v10, vcc, v9, v1, v9
	v_fma_f32 v15, -v3, v12, 1.0
	v_fma_f32 v16, -v11, v13, 1.0
	v_fmac_f32_e32 v12, v15, v12
	v_div_scale_f32 v14, s[0:1], v8, v0, v8
	v_fmac_f32_e32 v13, v16, v13
	v_mul_f32_e32 v15, v10, v12
	v_mul_f32_e32 v16, v14, v13
	v_fma_f32 v17, -v3, v15, v10
	v_fma_f32 v18, -v11, v16, v14
	v_fmac_f32_e32 v15, v17, v12
	v_fmac_f32_e32 v16, v18, v13
	v_fma_f32 v3, -v3, v15, v10
	v_fma_f32 v10, -v11, v16, v14
	v_div_fmas_f32 v3, v3, v12, v15
	s_mov_b64 vcc, s[0:1]
	v_div_fixup_f32 v9, v3, v1, v9
	v_div_fmas_f32 v3, v10, v13, v16
	v_div_fixup_f32 v8, v3, v0, v8
	global_store_dwordx2 v[6:7], v[8:9], off
	s_cbranch_scc1 .LBB183_29
; %bb.30:
	s_cmp_lg_u32 s2, s8
	s_cselect_b64 s[0:1], -1, 0
.LBB183_31:
	s_and_b64 vcc, exec, s[0:1]
	s_cbranch_vccz .LBB183_34
; %bb.32:
	v_ashrrev_i32_e32 v1, 31, v4
	v_add_co_u32_e32 v2, vcc, s2, v4
	v_addc_co_u32_e32 v3, vcc, 0, v1, vcc
	v_lshlrev_b64 v[2:3], 2, v[2:3]
	v_mov_b32_e32 v1, s17
	v_add_co_u32_e32 v2, vcc, s16, v2
	s_sub_i32 s0, s8, s2
	v_addc_co_u32_e32 v3, vcc, v1, v3, vcc
.LBB183_33:                             ; =>This Inner Loop Header: Depth=1
	global_load_dword v1, v[2:3], off
	s_add_i32 s0, s0, -1
	s_cmp_lg_u32 s0, 0
	s_waitcnt vmcnt(0)
	v_div_scale_f32 v4, s[2:3], v0, v0, v1
	v_rcp_f32_e32 v5, v4
	v_div_scale_f32 v6, vcc, v1, v0, v1
	v_fma_f32 v7, -v4, v5, 1.0
	v_fmac_f32_e32 v5, v7, v5
	v_mul_f32_e32 v7, v6, v5
	v_fma_f32 v8, -v4, v7, v6
	v_fmac_f32_e32 v7, v8, v5
	v_fma_f32 v4, -v4, v7, v6
	v_div_fmas_f32 v4, v4, v5, v7
	v_div_fixup_f32 v1, v4, v0, v1
	global_store_dword v[2:3], v1, off
	v_add_co_u32_e32 v2, vcc, 4, v2
	v_addc_co_u32_e32 v3, vcc, 0, v3, vcc
	s_cbranch_scc1 .LBB183_33
.LBB183_34:
	s_endpgm
	.section	.rodata,"a",@progbits
	.p2align	6, 0x0
	.amdhsa_kernel _ZN4vllm3moe10topkGatingILi8ELi128ELi4ELi16ELi32El14__hip_bfloat16LNS0_11ScoringFuncE0EEEvPKT5_PKbPfiPT4_PiiiibPKf
		.amdhsa_group_segment_fixed_size 0
		.amdhsa_private_segment_fixed_size 0
		.amdhsa_kernarg_size 72
		.amdhsa_user_sgpr_count 6
		.amdhsa_user_sgpr_private_segment_buffer 1
		.amdhsa_user_sgpr_dispatch_ptr 0
		.amdhsa_user_sgpr_queue_ptr 0
		.amdhsa_user_sgpr_kernarg_segment_ptr 1
		.amdhsa_user_sgpr_dispatch_id 0
		.amdhsa_user_sgpr_flat_scratch_init 0
		.amdhsa_user_sgpr_kernarg_preload_length 0
		.amdhsa_user_sgpr_kernarg_preload_offset 0
		.amdhsa_user_sgpr_private_segment_size 0
		.amdhsa_uses_dynamic_stack 0
		.amdhsa_system_sgpr_private_segment_wavefront_offset 0
		.amdhsa_system_sgpr_workgroup_id_x 1
		.amdhsa_system_sgpr_workgroup_id_y 0
		.amdhsa_system_sgpr_workgroup_id_z 0
		.amdhsa_system_sgpr_workgroup_info 0
		.amdhsa_system_vgpr_workitem_id 1
		.amdhsa_next_free_vgpr 37
		.amdhsa_next_free_sgpr 26
		.amdhsa_accum_offset 40
		.amdhsa_reserve_vcc 1
		.amdhsa_reserve_flat_scratch 0
		.amdhsa_float_round_mode_32 0
		.amdhsa_float_round_mode_16_64 0
		.amdhsa_float_denorm_mode_32 3
		.amdhsa_float_denorm_mode_16_64 3
		.amdhsa_dx10_clamp 1
		.amdhsa_ieee_mode 1
		.amdhsa_fp16_overflow 0
		.amdhsa_tg_split 0
		.amdhsa_exception_fp_ieee_invalid_op 0
		.amdhsa_exception_fp_denorm_src 0
		.amdhsa_exception_fp_ieee_div_zero 0
		.amdhsa_exception_fp_ieee_overflow 0
		.amdhsa_exception_fp_ieee_underflow 0
		.amdhsa_exception_fp_ieee_inexact 0
		.amdhsa_exception_int_div_zero 0
	.end_amdhsa_kernel
	.section	.text._ZN4vllm3moe10topkGatingILi8ELi128ELi4ELi16ELi32El14__hip_bfloat16LNS0_11ScoringFuncE0EEEvPKT5_PKbPfiPT4_PiiiibPKf,"axG",@progbits,_ZN4vllm3moe10topkGatingILi8ELi128ELi4ELi16ELi32El14__hip_bfloat16LNS0_11ScoringFuncE0EEEvPKT5_PKbPfiPT4_PiiiibPKf,comdat
.Lfunc_end183:
	.size	_ZN4vllm3moe10topkGatingILi8ELi128ELi4ELi16ELi32El14__hip_bfloat16LNS0_11ScoringFuncE0EEEvPKT5_PKbPfiPT4_PiiiibPKf, .Lfunc_end183-_ZN4vllm3moe10topkGatingILi8ELi128ELi4ELi16ELi32El14__hip_bfloat16LNS0_11ScoringFuncE0EEEvPKT5_PKbPfiPT4_PiiiibPKf
                                        ; -- End function
	.section	.AMDGPU.csdata,"",@progbits
; Kernel info:
; codeLenInByte = 3168
; NumSgprs: 30
; NumVgprs: 37
; NumAgprs: 0
; TotalNumVgprs: 37
; ScratchSize: 0
; MemoryBound: 0
; FloatMode: 240
; IeeeMode: 1
; LDSByteSize: 0 bytes/workgroup (compile time only)
; SGPRBlocks: 3
; VGPRBlocks: 4
; NumSGPRsForWavesPerEU: 30
; NumVGPRsForWavesPerEU: 37
; AccumOffset: 40
; Occupancy: 8
; WaveLimiterHint : 0
; COMPUTE_PGM_RSRC2:SCRATCH_EN: 0
; COMPUTE_PGM_RSRC2:USER_SGPR: 6
; COMPUTE_PGM_RSRC2:TRAP_HANDLER: 0
; COMPUTE_PGM_RSRC2:TGID_X_EN: 1
; COMPUTE_PGM_RSRC2:TGID_Y_EN: 0
; COMPUTE_PGM_RSRC2:TGID_Z_EN: 0
; COMPUTE_PGM_RSRC2:TIDIG_COMP_CNT: 1
; COMPUTE_PGM_RSRC3_GFX90A:ACCUM_OFFSET: 9
; COMPUTE_PGM_RSRC3_GFX90A:TG_SPLIT: 0
	.section	.text._ZN4vllm3moe10topkGatingILi8ELi256ELi4ELi16ELi64El14__hip_bfloat16LNS0_11ScoringFuncE0EEEvPKT5_PKbPfiPT4_PiiiibPKf,"axG",@progbits,_ZN4vllm3moe10topkGatingILi8ELi256ELi4ELi16ELi64El14__hip_bfloat16LNS0_11ScoringFuncE0EEEvPKT5_PKbPfiPT4_PiiiibPKf,comdat
	.protected	_ZN4vllm3moe10topkGatingILi8ELi256ELi4ELi16ELi64El14__hip_bfloat16LNS0_11ScoringFuncE0EEEvPKT5_PKbPfiPT4_PiiiibPKf ; -- Begin function _ZN4vllm3moe10topkGatingILi8ELi256ELi4ELi16ELi64El14__hip_bfloat16LNS0_11ScoringFuncE0EEEvPKT5_PKbPfiPT4_PiiiibPKf
	.globl	_ZN4vllm3moe10topkGatingILi8ELi256ELi4ELi16ELi64El14__hip_bfloat16LNS0_11ScoringFuncE0EEEvPKT5_PKbPfiPT4_PiiiibPKf
	.p2align	8
	.type	_ZN4vllm3moe10topkGatingILi8ELi256ELi4ELi16ELi64El14__hip_bfloat16LNS0_11ScoringFuncE0EEEvPKT5_PKbPfiPT4_PiiiibPKf,@function
_ZN4vllm3moe10topkGatingILi8ELi256ELi4ELi16ELi64El14__hip_bfloat16LNS0_11ScoringFuncE0EEEvPKT5_PKbPfiPT4_PiiiibPKf: ; @_ZN4vllm3moe10topkGatingILi8ELi256ELi4ELi16ELi64El14__hip_bfloat16LNS0_11ScoringFuncE0EEEvPKT5_PKbPfiPT4_PiiiibPKf
; %bb.0:
	s_load_dword s24, s[4:5], 0x18
	v_bfe_u32 v1, v0, 10, 10
	v_and_b32_e32 v0, 0x3ff, v0
	s_lshl_b32 s0, s6, 3
	v_lshlrev_b32_e32 v1, 1, v1
	v_lshrrev_b32_e32 v2, 5, v0
	v_add3_u32 v17, s0, v1, v2
	s_waitcnt lgkmcnt(0)
	v_cmp_gt_i32_e32 vcc, s24, v17
	s_and_saveexec_b64 s[0:1], vcc
	s_cbranch_execz .LBB184_38
; %bb.1:
	s_load_dwordx4 s[0:3], s[4:5], 0x0
	s_load_dwordx2 s[16:17], s[4:5], 0x10
	s_mov_b64 s[6:7], -1
	s_mov_b64 s[18:19], -1
	s_waitcnt lgkmcnt(0)
	s_cmp_eq_u64 s[2:3], 0
	s_cbranch_scc1 .LBB184_3
; %bb.2:
	v_ashrrev_i32_e32 v1, 31, v17
	v_mov_b32_e32 v3, s3
	v_add_co_u32_e32 v2, vcc, s2, v17
	v_addc_co_u32_e32 v3, vcc, v3, v1, vcc
	global_load_ubyte v1, v[2:3], off
	s_waitcnt vmcnt(0)
	v_and_b32_e32 v1, 1, v1
	v_cmp_eq_u32_e32 vcc, 1, v1
	s_xor_b64 s[2:3], vcc, -1
	s_orn2_b64 s[18:19], s[2:3], exec
.LBB184_3:
	v_lshlrev_b32_e32 v2, 8, v17
	v_ashrrev_i32_e32 v3, 31, v2
	v_lshlrev_b64 v[2:3], 1, v[2:3]
	v_mov_b32_e32 v1, s1
	v_add_co_u32_e32 v2, vcc, s0, v2
	v_and_b32_e32 v21, 31, v0
	v_addc_co_u32_e32 v1, vcc, v1, v3, vcc
	v_lshlrev_b32_e32 v0, 4, v21
	v_add_co_u32_e32 v0, vcc, v2, v0
	v_addc_co_u32_e32 v1, vcc, 0, v1, vcc
	global_load_dwordx4 v[0:3], v[0:1], off
	v_mbcnt_lo_u32_b32 v4, -1, 0
	v_mbcnt_hi_u32_b32 v4, -1, v4
	v_and_b32_e32 v5, 0x60, v4
	v_xor_b32_e32 v6, 16, v4
	v_add_u32_e32 v5, 32, v5
	v_cmp_lt_i32_e32 vcc, v6, v5
	v_cndmask_b32_e32 v6, v4, v6, vcc
	v_lshlrev_b32_e32 v22, 2, v6
	v_xor_b32_e32 v12, 8, v4
	v_cmp_lt_i32_e32 vcc, v12, v5
	v_cndmask_b32_e32 v12, v4, v12, vcc
	v_lshlrev_b32_e32 v23, 2, v12
	v_xor_b32_e32 v12, 4, v4
	;; [unrolled: 4-line block ×4, first 2 shown]
	v_cmp_lt_i32_e32 vcc, v12, v5
	v_cndmask_b32_e32 v4, v4, v12, vcc
	v_lshlrev_b32_e32 v26, 2, v4
	s_mov_b32 s0, 0x3fb8aa3b
	s_mov_b32 s1, 0xc2ce8ed0
	;; [unrolled: 1-line block ×3, first 2 shown]
	s_waitcnt vmcnt(0)
	v_lshlrev_b32_e32 v6, 16, v0
	v_and_b32_e32 v7, 0xffff0000, v0
	v_max_f32_e32 v10, v7, v7
	v_max_f32_e32 v11, v6, v6
	v_lshlrev_b32_e32 v8, 16, v1
	v_and_b32_e32 v0, 0xffff0000, v1
	v_max_f32_e32 v10, v11, v10
	v_lshlrev_b32_e32 v1, 16, v2
	v_and_b32_e32 v2, 0xffff0000, v2
	v_max3_f32 v10, v10, v8, v0
	v_and_b32_e32 v9, 0xffff0000, v3
	v_lshlrev_b32_e32 v3, 16, v3
	v_max3_f32 v10, v10, v1, v2
	v_max3_f32 v10, v10, v3, v9
	ds_bpermute_b32 v11, v22, v10
	s_waitcnt lgkmcnt(0)
	v_max_f32_e32 v11, v11, v11
	v_max_f32_e32 v10, v10, v11
	ds_bpermute_b32 v11, v23, v10
	s_waitcnt lgkmcnt(0)
	v_max_f32_e32 v11, v11, v11
	v_max_f32_e32 v10, v10, v11
	;; [unrolled: 4-line block ×4, first 2 shown]
	ds_bpermute_b32 v5, v26, v4
	v_mov_b32_e32 v10, 0x7f800000
	s_waitcnt lgkmcnt(0)
	v_max_f32_e32 v5, v5, v5
	v_max_f32_e32 v4, v4, v5
	v_sub_f32_e32 v5, v6, v4
	v_sub_f32_e32 v6, v7, v4
	;; [unrolled: 1-line block ×3, first 2 shown]
	v_mul_f32_e32 v8, 0x3fb8aa3b, v5
	v_mul_f32_e32 v11, 0x3fb8aa3b, v6
	v_fma_f32 v15, v5, s0, -v8
	v_rndne_f32_e32 v16, v8
	v_pk_add_f32 v[0:1], v[0:1], v[4:5] op_sel_hi:[1,0] neg_lo:[0,1] neg_hi:[0,1]
	v_mul_f32_e32 v12, 0x3fb8aa3b, v7
	v_fma_f32 v18, v6, s0, -v11
	v_rndne_f32_e32 v19, v11
	v_fmac_f32_e32 v15, 0x32a5705f, v5
	v_sub_f32_e32 v8, v8, v16
	v_mul_f32_e32 v13, 0x3fb8aa3b, v1
	v_fma_f32 v20, v7, s0, -v12
	v_rndne_f32_e32 v27, v12
	v_fmac_f32_e32 v18, 0x32a5705f, v6
	v_sub_f32_e32 v11, v11, v19
	v_add_f32_e32 v8, v8, v15
	v_fma_f32 v28, v1, s0, -v13
	v_rndne_f32_e32 v29, v13
	v_cvt_i32_f32_e32 v16, v16
	v_fmac_f32_e32 v20, 0x32a5705f, v7
	v_sub_f32_e32 v12, v12, v27
	v_add_f32_e32 v11, v11, v18
	v_exp_f32_e32 v8, v8
	v_cvt_i32_f32_e32 v19, v19
	v_fmac_f32_e32 v28, 0x32a5705f, v1
	v_sub_f32_e32 v13, v13, v29
	v_add_f32_e32 v12, v12, v20
	v_exp_f32_e32 v11, v11
	v_cvt_i32_f32_e32 v27, v27
	v_add_f32_e32 v13, v13, v28
	v_exp_f32_e32 v12, v12
	v_cvt_i32_f32_e32 v29, v29
	v_exp_f32_e32 v13, v13
	v_mul_f32_e32 v14, 0x3fb8aa3b, v0
	v_ldexp_f32 v8, v8, v16
	v_cmp_ngt_f32_e32 vcc, s1, v5
	v_fma_f32 v30, v0, s0, -v14
	v_rndne_f32_e32 v31, v14
	v_ldexp_f32 v11, v11, v19
	v_cndmask_b32_e32 v8, 0, v8, vcc
	v_cmp_ngt_f32_e32 vcc, s1, v6
	v_fmac_f32_e32 v30, 0x32a5705f, v0
	v_sub_f32_e32 v14, v14, v31
	v_ldexp_f32 v12, v12, v27
	v_cndmask_b32_e32 v11, 0, v11, vcc
	v_cmp_ngt_f32_e32 vcc, s1, v7
	v_add_f32_e32 v14, v14, v30
	v_ldexp_f32 v13, v13, v29
	v_cndmask_b32_e32 v12, 0, v12, vcc
	v_cmp_ngt_f32_e32 vcc, s1, v1
	v_cvt_i32_f32_e32 v31, v31
	v_exp_f32_e32 v14, v14
	v_cndmask_b32_e32 v13, 0, v13, vcc
	v_cmp_nlt_f32_e32 vcc, s2, v5
	v_cndmask_b32_e32 v5, v10, v8, vcc
	v_cmp_nlt_f32_e32 vcc, s2, v6
	;; [unrolled: 2-line block ×4, first 2 shown]
	v_pk_add_f32 v[2:3], v[2:3], v[4:5] op_sel_hi:[1,0] neg_lo:[0,1] neg_hi:[0,1]
	v_ldexp_f32 v14, v14, v31
	v_cndmask_b32_e32 v1, v10, v13, vcc
	v_cmp_ngt_f32_e32 vcc, s1, v0
	v_mul_f32_e32 v12, 0x3fb8aa3b, v3
	v_cndmask_b32_e32 v11, 0, v14, vcc
	v_fma_f32 v13, v3, s0, -v12
	v_rndne_f32_e32 v14, v12
	v_fmac_f32_e32 v13, 0x32a5705f, v3
	v_sub_f32_e32 v12, v12, v14
	v_add_f32_e32 v12, v12, v13
	v_exp_f32_e32 v12, v12
	v_cvt_i32_f32_e32 v13, v14
	v_cmp_nlt_f32_e32 vcc, s2, v0
	v_cndmask_b32_e32 v0, v10, v11, vcc
	v_cmp_ngt_f32_e32 vcc, s1, v3
	v_ldexp_f32 v11, v12, v13
	v_mul_f32_e32 v12, 0x3fb8aa3b, v2
	v_fma_f32 v13, v2, s0, -v12
	v_rndne_f32_e32 v14, v12
	v_fmac_f32_e32 v13, 0x32a5705f, v2
	v_sub_f32_e32 v12, v12, v14
	v_add_f32_e32 v12, v12, v13
	v_exp_f32_e32 v12, v12
	v_cvt_i32_f32_e32 v13, v14
	v_sub_f32_e32 v4, v9, v4
	v_cndmask_b32_e32 v11, 0, v11, vcc
	v_cmp_nlt_f32_e32 vcc, s2, v3
	v_mul_f32_e32 v9, 0x3fb8aa3b, v4
	v_cndmask_b32_e32 v3, v10, v11, vcc
	v_ldexp_f32 v11, v12, v13
	v_fma_f32 v12, v4, s0, -v9
	v_rndne_f32_e32 v13, v9
	v_fmac_f32_e32 v12, 0x32a5705f, v4
	v_sub_f32_e32 v9, v9, v13
	v_add_f32_e32 v9, v9, v12
	v_exp_f32_e32 v9, v9
	v_cvt_i32_f32_e32 v12, v13
	v_add_f32_e32 v8, v5, v6
	v_add_f32_e32 v8, v8, v7
	v_cmp_ngt_f32_e32 vcc, s1, v2
	v_add_f32_e32 v8, v8, v0
	v_cndmask_b32_e32 v11, 0, v11, vcc
	v_cmp_nlt_f32_e32 vcc, s2, v2
	v_add_f32_e32 v8, v8, v1
	v_cndmask_b32_e32 v2, v10, v11, vcc
	v_ldexp_f32 v9, v9, v12
	v_cmp_ngt_f32_e32 vcc, s1, v4
	v_add_f32_e32 v8, v8, v2
	v_cndmask_b32_e32 v9, 0, v9, vcc
	v_cmp_nlt_f32_e32 vcc, s2, v4
	v_add_f32_e32 v8, v8, v3
	v_cndmask_b32_e32 v10, v10, v9, vcc
	v_add_f32_e32 v4, v8, v10
	ds_bpermute_b32 v8, v22, v4
	s_movk_i32 s2, 0x1f8
	v_lshlrev_b32_e32 v27, 3, v21
	s_waitcnt lgkmcnt(0)
	v_add_f32_e32 v4, v4, v8
	ds_bpermute_b32 v8, v23, v4
	s_waitcnt lgkmcnt(0)
	v_add_f32_e32 v4, v4, v8
	ds_bpermute_b32 v8, v24, v4
	;; [unrolled: 3-line block ×4, first 2 shown]
	s_waitcnt lgkmcnt(0)
	v_add_f32_e32 v4, v4, v8
	v_div_scale_f32 v8, s[0:1], v4, v4, 1.0
	v_rcp_f32_e32 v9, v8
	s_load_dwordx2 s[0:1], s[4:5], 0x40
	v_fma_f32 v11, -v8, v9, 1.0
	v_fmac_f32_e32 v9, v11, v9
	v_div_scale_f32 v11, vcc, 1.0, v4, 1.0
	v_mul_f32_e32 v12, v11, v9
	v_fma_f32 v13, -v8, v12, v11
	v_fmac_f32_e32 v12, v13, v9
	v_fma_f32 v8, -v8, v12, v11
	v_div_fmas_f32 v8, v8, v9, v12
	v_div_fixup_f32 v4, v8, v4, 1.0
	v_mul_f32_e32 v5, v4, v5
	v_mul_f32_e32 v11, v4, v6
	v_cmp_class_f32_e64 vcc, v5, s2
	v_mul_f32_e32 v12, v4, v7
	v_pk_mul_f32 v[6:7], v[4:5], v[0:1] op_sel_hi:[0,1]
	v_cndmask_b32_e32 v0, 0, v5, vcc
	v_cmp_class_f32_e64 vcc, v11, s2
	v_pk_mul_f32 v[8:9], v[4:5], v[2:3] op_sel_hi:[0,1]
	v_cndmask_b32_e32 v1, 0, v11, vcc
	v_cmp_class_f32_e64 vcc, v12, s2
	v_mov_b32_e32 v5, 0x207
	v_cndmask_b32_e32 v2, 0, v12, vcc
	v_cmp_class_f32_e32 vcc, v7, v5
	v_mul_f32_e32 v10, v4, v10
	v_cndmask_b32_e64 v4, v7, 0, vcc
	v_cmp_class_f32_e32 vcc, v6, v5
	v_cndmask_b32_e64 v3, v6, 0, vcc
	v_cmp_class_f32_e32 vcc, v9, v5
	;; [unrolled: 2-line block ×3, first 2 shown]
	v_cndmask_b32_e64 v5, v8, 0, vcc
	v_cmp_class_f32_e64 vcc, v10, s2
	s_waitcnt lgkmcnt(0)
	s_cmp_eq_u64 s[0:1], 0
	v_cndmask_b32_e32 v7, 0, v10, vcc
	s_cbranch_scc1 .LBB184_27
; %bb.4:
	v_lshlrev_b32_e32 v16, 2, v27
	global_load_dwordx4 v[8:11], v16, s[0:1]
	global_load_dwordx4 v[12:15], v16, s[0:1] offset:16
	s_waitcnt vmcnt(1)
	v_pk_add_f32 v[8:9], v[8:9], v[0:1]
	v_pk_add_f32 v[10:11], v[10:11], v[2:3]
	s_waitcnt vmcnt(0)
	v_pk_add_f32 v[12:13], v[12:13], v[4:5]
	v_pk_add_f32 v[14:15], v[14:15], v[6:7]
	s_cbranch_execnz .LBB184_6
.LBB184_5:
	v_pk_mov_b32 v[14:15], v[6:7], v[6:7] op_sel:[0,1]
	v_pk_mov_b32 v[12:13], v[4:5], v[4:5] op_sel:[0,1]
	;; [unrolled: 1-line block ×4, first 2 shown]
.LBB184_6:
	s_load_dwordx4 s[8:11], s[4:5], 0x30
	s_mov_b32 s25, 0
	v_cmp_eq_u32_e64 s[0:1], 0, v21
	s_waitcnt lgkmcnt(0)
	s_bitcmp1_b32 s11, 0
	s_cselect_b64 vcc, -1, 0
	s_cmp_gt_i32 s8, 0
	s_cselect_b64 s[20:21], -1, 0
	s_cmp_lt_i32 s8, 1
	s_cbranch_scc1 .LBB184_28
; %bb.7:
	s_load_dwordx4 s[12:15], s[4:5], 0x20
	v_mul_lo_u32 v29, v17, s8
	v_mov_b32_e32 v28, 0
	v_mov_b32_e32 v30, 0x100
	;; [unrolled: 1-line block ×4, first 2 shown]
	s_branch .LBB184_10
.LBB184_8:                              ;   in Loop: Header=BB184_10 Depth=1
	s_or_b64 exec, exec, s[4:5]
.LBB184_9:                              ;   in Loop: Header=BB184_10 Depth=1
	s_cmp_eq_u32 s8, s25
	v_add_u32_e32 v32, s24, v32
	s_cbranch_scc1 .LBB184_29
.LBB184_10:                             ; =>This Inner Loop Header: Depth=1
	v_cmp_gt_f32_e64 s[2:3], v9, v8
	v_cndmask_b32_e64 v16, v8, v9, s[2:3]
	v_cndmask_b32_e64 v18, v0, v1, s[2:3]
	s_waitcnt lgkmcnt(0)
	v_cndmask_b32_e64 v19, 0, 1, s[2:3]
	v_cmp_gt_f32_e64 s[2:3], v10, v16
	v_cndmask_b32_e64 v16, v16, v10, s[2:3]
	v_cndmask_b32_e64 v18, v18, v2, s[2:3]
	v_cndmask_b32_e64 v19, v19, 2, s[2:3]
	v_cmp_gt_f32_e64 s[2:3], v11, v16
	v_cndmask_b32_e64 v16, v16, v11, s[2:3]
	v_cndmask_b32_e64 v18, v18, v3, s[2:3]
	;; [unrolled: 4-line block ×6, first 2 shown]
	v_or_b32_e32 v19, v27, v19
	ds_bpermute_b32 v20, v22, v16
	ds_bpermute_b32 v33, v22, v19
	v_cndmask_b32_e64 v18, v18, v7, s[2:3]
	ds_bpermute_b32 v35, v22, v18
	s_waitcnt lgkmcnt(0)
	v_cmp_eq_f32_e64 s[4:5], v16, v20
	v_cmp_lt_i32_e64 s[6:7], v33, v19
	v_cmp_lt_f32_e64 s[2:3], v16, v20
	s_and_b64 s[4:5], s[4:5], s[6:7]
	s_or_b64 s[2:3], s[2:3], s[4:5]
	v_cndmask_b32_e64 v34, v19, v33, s[2:3]
	v_cndmask_b32_e64 v33, v16, v20, s[2:3]
	v_cndmask_b32_e64 v16, v18, v35, s[2:3]
	ds_bpermute_b32 v36, v23, v33
	ds_bpermute_b32 v20, v23, v16
	;; [unrolled: 1-line block ×3, first 2 shown]
                                        ; implicit-def: $vgpr18_vgpr19
	s_waitcnt lgkmcnt(2)
	v_cmp_lt_f32_e64 s[6:7], v33, v36
	v_cmp_nlt_f32_e64 s[2:3], v33, v36
	s_and_saveexec_b64 s[22:23], s[2:3]
	s_cbranch_execz .LBB184_12
; %bb.11:                               ;   in Loop: Header=BB184_10 Depth=1
	v_cmp_eq_f32_e64 s[2:3], v33, v36
	s_waitcnt lgkmcnt(0)
	v_cmp_lt_i32_e64 s[4:5], v35, v34
	s_and_b64 s[2:3], s[2:3], s[4:5]
	s_andn2_b64 s[4:5], s[6:7], exec
	s_and_b64 s[2:3], s[2:3], exec
	s_or_b64 s[6:7], s[4:5], s[2:3]
	v_pk_mov_b32 v[18:19], v[16:17], v[16:17] op_sel:[0,1]
.LBB184_12:                             ;   in Loop: Header=BB184_10 Depth=1
	s_or_b64 exec, exec, s[22:23]
	s_and_saveexec_b64 s[2:3], s[6:7]
	s_cbranch_execz .LBB184_14
; %bb.13:                               ;   in Loop: Header=BB184_10 Depth=1
	v_mov_b32_e32 v33, v36
	s_waitcnt lgkmcnt(1)
	v_mov_b32_e32 v16, v20
	s_waitcnt lgkmcnt(0)
	v_mov_b32_e32 v34, v35
	v_pk_mov_b32 v[18:19], v[20:21], v[20:21] op_sel:[0,1]
.LBB184_14:                             ;   in Loop: Header=BB184_10 Depth=1
	s_or_b64 exec, exec, s[2:3]
	s_waitcnt lgkmcnt(0)
	ds_bpermute_b32 v35, v24, v33
	ds_bpermute_b32 v20, v24, v16
	ds_bpermute_b32 v19, v24, v34
	s_waitcnt lgkmcnt(2)
	v_cmp_lt_f32_e64 s[6:7], v33, v35
	v_cmp_nlt_f32_e64 s[2:3], v33, v35
	s_and_saveexec_b64 s[22:23], s[2:3]
	s_cbranch_execz .LBB184_16
; %bb.15:                               ;   in Loop: Header=BB184_10 Depth=1
	v_cmp_eq_f32_e64 s[2:3], v33, v35
	s_waitcnt lgkmcnt(0)
	v_cmp_lt_i32_e64 s[4:5], v19, v34
	s_and_b64 s[2:3], s[2:3], s[4:5]
	s_andn2_b64 s[4:5], s[6:7], exec
	s_and_b64 s[2:3], s[2:3], exec
	s_or_b64 s[6:7], s[4:5], s[2:3]
.LBB184_16:                             ;   in Loop: Header=BB184_10 Depth=1
	s_or_b64 exec, exec, s[22:23]
	s_and_saveexec_b64 s[2:3], s[6:7]
	s_cbranch_execz .LBB184_18
; %bb.17:                               ;   in Loop: Header=BB184_10 Depth=1
	v_mov_b32_e32 v33, v35
	s_waitcnt lgkmcnt(1)
	v_mov_b32_e32 v16, v20
	s_waitcnt lgkmcnt(0)
	v_mov_b32_e32 v34, v19
	v_pk_mov_b32 v[18:19], v[20:21], v[20:21] op_sel:[0,1]
.LBB184_18:                             ;   in Loop: Header=BB184_10 Depth=1
	s_or_b64 exec, exec, s[2:3]
	ds_bpermute_b32 v35, v25, v33
	s_waitcnt lgkmcnt(2)
	ds_bpermute_b32 v20, v25, v16
	s_waitcnt lgkmcnt(2)
	;; [unrolled: 2-line block ×3, first 2 shown]
	v_cmp_lt_f32_e64 s[6:7], v33, v35
	v_cmp_nlt_f32_e64 s[2:3], v33, v35
	s_and_saveexec_b64 s[22:23], s[2:3]
	s_cbranch_execz .LBB184_20
; %bb.19:                               ;   in Loop: Header=BB184_10 Depth=1
	v_cmp_eq_f32_e64 s[2:3], v33, v35
	s_waitcnt lgkmcnt(0)
	v_cmp_lt_i32_e64 s[4:5], v19, v34
	s_and_b64 s[2:3], s[2:3], s[4:5]
	s_andn2_b64 s[4:5], s[6:7], exec
	s_and_b64 s[2:3], s[2:3], exec
	s_or_b64 s[6:7], s[4:5], s[2:3]
.LBB184_20:                             ;   in Loop: Header=BB184_10 Depth=1
	s_or_b64 exec, exec, s[22:23]
	s_and_saveexec_b64 s[2:3], s[6:7]
	s_cbranch_execz .LBB184_22
; %bb.21:                               ;   in Loop: Header=BB184_10 Depth=1
	v_mov_b32_e32 v33, v35
	s_waitcnt lgkmcnt(1)
	v_mov_b32_e32 v16, v20
	s_waitcnt lgkmcnt(0)
	v_mov_b32_e32 v34, v19
	v_pk_mov_b32 v[18:19], v[20:21], v[20:21] op_sel:[0,1]
.LBB184_22:                             ;   in Loop: Header=BB184_10 Depth=1
	s_or_b64 exec, exec, s[2:3]
	s_waitcnt lgkmcnt(1)
	ds_bpermute_b32 v20, v26, v33
	ds_bpermute_b32 v35, v26, v34
	s_waitcnt lgkmcnt(2)
	ds_bpermute_b32 v19, v26, v16
	s_waitcnt lgkmcnt(2)
	v_cmp_eq_f32_e64 s[4:5], v33, v20
	s_waitcnt lgkmcnt(1)
	v_cmp_lt_i32_e64 s[6:7], v35, v34
	v_cmp_lt_f32_e64 s[2:3], v33, v20
	s_and_b64 s[4:5], s[4:5], s[6:7]
	s_or_b64 s[2:3], s[2:3], s[4:5]
	v_cndmask_b32_e64 v16, v34, v35, s[2:3]
	s_and_saveexec_b64 s[6:7], s[0:1]
	s_cbranch_execnz .LBB184_24
; %bb.23:                               ;   in Loop: Header=BB184_10 Depth=1
	s_or_b64 exec, exec, s[6:7]
	s_add_i32 s25, s25, 1
	s_cmp_ge_i32 s25, s8
	s_cbranch_scc1 .LBB184_9
	s_branch .LBB184_25
.LBB184_24:                             ;   in Loop: Header=BB184_10 Depth=1
	s_waitcnt lgkmcnt(0)
	v_cndmask_b32_e64 v20, v18, v19, s[2:3]
	v_add_u32_e32 v18, s25, v29
	v_ashrrev_i32_e32 v19, 31, v18
	v_cmp_le_i32_e64 s[2:3], s9, v16
	v_cmp_gt_i32_e64 s[4:5], s10, v16
	v_lshlrev_b64 v[34:35], 2, v[18:19]
	s_and_b64 s[4:5], s[2:3], s[4:5]
	v_mov_b32_e32 v33, s17
	v_add_co_u32_e64 v36, s[2:3], s16, v34
	v_addc_co_u32_e64 v37, s[2:3], v33, v35, s[2:3]
	v_subrev_u32_e32 v33, s9, v16
	global_store_dword v[36:37], v20, off
	v_ashrrev_i32_e32 v36, 31, v33
	s_and_b64 s[2:3], s[18:19], s[4:5]
	v_lshlrev_b64 v[18:19], 3, v[18:19]
	v_cndmask_b32_e64 v37, 0, v36, s[2:3]
	v_cndmask_b32_e64 v36, v30, v33, s[2:3]
	v_mov_b32_e32 v33, s13
	v_add_co_u32_e64 v18, s[2:3], s12, v18
	v_addc_co_u32_e64 v19, s[2:3], v33, v19, s[2:3]
	global_store_dwordx2 v[18:19], v[36:37], off
	v_mov_b32_e32 v19, s15
	v_add_co_u32_e64 v18, s[2:3], s14, v34
	v_addc_co_u32_e64 v19, s[2:3], v19, v35, s[2:3]
	global_store_dword v[18:19], v32, off
	v_add_f32_e32 v18, v28, v20
	v_cndmask_b32_e32 v28, v28, v18, vcc
	s_or_b64 exec, exec, s[6:7]
	s_add_i32 s25, s25, 1
	s_cmp_ge_i32 s25, s8
	s_cbranch_scc1 .LBB184_9
.LBB184_25:                             ;   in Loop: Header=BB184_10 Depth=1
	v_ashrrev_i32_e32 v18, 31, v16
	s_waitcnt lgkmcnt(0)
	v_lshrrev_b32_e32 v19, 29, v18
	v_add_u32_e32 v20, v16, v19
	v_ashrrev_i32_e32 v19, 3, v20
	v_ashrrev_i32_e32 v20, 31, v20
	v_lshrrev_b32_e32 v20, 27, v20
	v_add_u32_e32 v20, v19, v20
	v_and_b32_e32 v20, 0xffffffe0, v20
	v_sub_u32_e32 v20, v19, v20
	v_cmp_eq_u32_e64 s[2:3], v21, v20
	s_and_saveexec_b64 s[4:5], s[2:3]
	s_cbranch_execz .LBB184_8
; %bb.26:                               ;   in Loop: Header=BB184_10 Depth=1
	v_add_u32_sdwa v18, v16, v18 dst_sel:DWORD dst_unused:UNUSED_PAD src0_sel:DWORD src1_sel:BYTE_3
	v_lshlrev_b32_e32 v19, 3, v19
	v_ashrrev_i32_e32 v18, 8, v18
	v_sub_u32_e32 v16, v16, v19
	v_lshl_add_u32 v16, v18, 3, v16
	v_cmp_ne_u32_e64 s[2:3], 7, v16
	v_cndmask_b32_e64 v15, v31, v15, s[2:3]
	v_cmp_ne_u32_e64 s[2:3], 6, v16
	v_cndmask_b32_e64 v14, v31, v14, s[2:3]
	;; [unrolled: 2-line block ×8, first 2 shown]
	s_branch .LBB184_8
.LBB184_27:
                                        ; implicit-def: $vgpr8_vgpr9_vgpr10_vgpr11_vgpr12_vgpr13_vgpr14_vgpr15
	s_andn2_b64 vcc, exec, s[6:7]
	s_cbranch_vccz .LBB184_5
	s_branch .LBB184_6
.LBB184_28:
	v_mov_b32_e32 v28, 0
.LBB184_29:
	v_cmp_eq_u32_e64 s[0:1], 0, v21
	s_and_b64 s[0:1], s[0:1], vcc
	s_and_b64 exec, exec, s[0:1]
	s_cbranch_execz .LBB184_38
; %bb.30:
	s_andn2_b64 vcc, exec, s[20:21]
	s_cbranch_vccnz .LBB184_38
; %bb.31:
	v_cmp_lt_f32_e32 vcc, 0, v28
	s_mov_b32 s2, 0
	v_cndmask_b32_e32 v0, 1.0, v28, vcc
	v_mul_lo_u32 v4, v17, s8
	s_cmp_eq_u32 s8, 1
	s_mov_b64 s[0:1], -1
	s_cbranch_scc1 .LBB184_35
; %bb.32:
	s_and_b32 s2, s8, 0x7ffffffe
	v_mov_b32_e32 v1, v0
	v_mov_b32_e32 v5, s17
	s_mov_b32 s3, s2
	v_mov_b32_e32 v2, v4
.LBB184_33:                             ; =>This Inner Loop Header: Depth=1
	v_ashrrev_i32_e32 v3, 31, v2
	v_lshlrev_b64 v[6:7], 2, v[2:3]
	v_add_co_u32_e32 v6, vcc, s16, v6
	v_addc_co_u32_e32 v7, vcc, v5, v7, vcc
	global_load_dwordx2 v[8:9], v[6:7], off
	s_add_i32 s3, s3, -2
	s_cmp_lg_u32 s3, 0
	v_add_u32_e32 v2, 2, v2
	s_waitcnt vmcnt(0)
	v_div_scale_f32 v3, s[0:1], v1, v1, v9
	v_div_scale_f32 v11, s[0:1], v0, v0, v8
	v_rcp_f32_e32 v12, v3
	v_rcp_f32_e32 v13, v11
	v_div_scale_f32 v10, vcc, v9, v1, v9
	v_fma_f32 v15, -v3, v12, 1.0
	v_fma_f32 v16, -v11, v13, 1.0
	v_fmac_f32_e32 v12, v15, v12
	v_div_scale_f32 v14, s[0:1], v8, v0, v8
	v_fmac_f32_e32 v13, v16, v13
	v_mul_f32_e32 v15, v10, v12
	v_mul_f32_e32 v16, v14, v13
	v_fma_f32 v17, -v3, v15, v10
	v_fma_f32 v18, -v11, v16, v14
	v_fmac_f32_e32 v15, v17, v12
	v_fmac_f32_e32 v16, v18, v13
	v_fma_f32 v3, -v3, v15, v10
	v_fma_f32 v10, -v11, v16, v14
	v_div_fmas_f32 v3, v3, v12, v15
	s_mov_b64 vcc, s[0:1]
	v_div_fixup_f32 v9, v3, v1, v9
	v_div_fmas_f32 v3, v10, v13, v16
	v_div_fixup_f32 v8, v3, v0, v8
	global_store_dwordx2 v[6:7], v[8:9], off
	s_cbranch_scc1 .LBB184_33
; %bb.34:
	s_cmp_lg_u32 s2, s8
	s_cselect_b64 s[0:1], -1, 0
.LBB184_35:
	s_and_b64 vcc, exec, s[0:1]
	s_cbranch_vccz .LBB184_38
; %bb.36:
	v_ashrrev_i32_e32 v1, 31, v4
	v_add_co_u32_e32 v2, vcc, s2, v4
	v_addc_co_u32_e32 v3, vcc, 0, v1, vcc
	v_lshlrev_b64 v[2:3], 2, v[2:3]
	v_mov_b32_e32 v1, s17
	v_add_co_u32_e32 v2, vcc, s16, v2
	s_sub_i32 s0, s8, s2
	v_addc_co_u32_e32 v3, vcc, v1, v3, vcc
.LBB184_37:                             ; =>This Inner Loop Header: Depth=1
	global_load_dword v1, v[2:3], off
	s_add_i32 s0, s0, -1
	s_cmp_lg_u32 s0, 0
	s_waitcnt vmcnt(0)
	v_div_scale_f32 v4, s[2:3], v0, v0, v1
	v_rcp_f32_e32 v5, v4
	v_div_scale_f32 v6, vcc, v1, v0, v1
	v_fma_f32 v7, -v4, v5, 1.0
	v_fmac_f32_e32 v5, v7, v5
	v_mul_f32_e32 v7, v6, v5
	v_fma_f32 v8, -v4, v7, v6
	v_fmac_f32_e32 v7, v8, v5
	v_fma_f32 v4, -v4, v7, v6
	v_div_fmas_f32 v4, v4, v5, v7
	v_div_fixup_f32 v1, v4, v0, v1
	global_store_dword v[2:3], v1, off
	v_add_co_u32_e32 v2, vcc, 4, v2
	v_addc_co_u32_e32 v3, vcc, 0, v3, vcc
	s_cbranch_scc1 .LBB184_37
.LBB184_38:
	s_endpgm
	.section	.rodata,"a",@progbits
	.p2align	6, 0x0
	.amdhsa_kernel _ZN4vllm3moe10topkGatingILi8ELi256ELi4ELi16ELi64El14__hip_bfloat16LNS0_11ScoringFuncE0EEEvPKT5_PKbPfiPT4_PiiiibPKf
		.amdhsa_group_segment_fixed_size 0
		.amdhsa_private_segment_fixed_size 0
		.amdhsa_kernarg_size 72
		.amdhsa_user_sgpr_count 6
		.amdhsa_user_sgpr_private_segment_buffer 1
		.amdhsa_user_sgpr_dispatch_ptr 0
		.amdhsa_user_sgpr_queue_ptr 0
		.amdhsa_user_sgpr_kernarg_segment_ptr 1
		.amdhsa_user_sgpr_dispatch_id 0
		.amdhsa_user_sgpr_flat_scratch_init 0
		.amdhsa_user_sgpr_kernarg_preload_length 0
		.amdhsa_user_sgpr_kernarg_preload_offset 0
		.amdhsa_user_sgpr_private_segment_size 0
		.amdhsa_uses_dynamic_stack 0
		.amdhsa_system_sgpr_private_segment_wavefront_offset 0
		.amdhsa_system_sgpr_workgroup_id_x 1
		.amdhsa_system_sgpr_workgroup_id_y 0
		.amdhsa_system_sgpr_workgroup_id_z 0
		.amdhsa_system_sgpr_workgroup_info 0
		.amdhsa_system_vgpr_workitem_id 1
		.amdhsa_next_free_vgpr 38
		.amdhsa_next_free_sgpr 26
		.amdhsa_accum_offset 40
		.amdhsa_reserve_vcc 1
		.amdhsa_reserve_flat_scratch 0
		.amdhsa_float_round_mode_32 0
		.amdhsa_float_round_mode_16_64 0
		.amdhsa_float_denorm_mode_32 3
		.amdhsa_float_denorm_mode_16_64 3
		.amdhsa_dx10_clamp 1
		.amdhsa_ieee_mode 1
		.amdhsa_fp16_overflow 0
		.amdhsa_tg_split 0
		.amdhsa_exception_fp_ieee_invalid_op 0
		.amdhsa_exception_fp_denorm_src 0
		.amdhsa_exception_fp_ieee_div_zero 0
		.amdhsa_exception_fp_ieee_overflow 0
		.amdhsa_exception_fp_ieee_underflow 0
		.amdhsa_exception_fp_ieee_inexact 0
		.amdhsa_exception_int_div_zero 0
	.end_amdhsa_kernel
	.section	.text._ZN4vllm3moe10topkGatingILi8ELi256ELi4ELi16ELi64El14__hip_bfloat16LNS0_11ScoringFuncE0EEEvPKT5_PKbPfiPT4_PiiiibPKf,"axG",@progbits,_ZN4vllm3moe10topkGatingILi8ELi256ELi4ELi16ELi64El14__hip_bfloat16LNS0_11ScoringFuncE0EEEvPKT5_PKbPfiPT4_PiiiibPKf,comdat
.Lfunc_end184:
	.size	_ZN4vllm3moe10topkGatingILi8ELi256ELi4ELi16ELi64El14__hip_bfloat16LNS0_11ScoringFuncE0EEEvPKT5_PKbPfiPT4_PiiiibPKf, .Lfunc_end184-_ZN4vllm3moe10topkGatingILi8ELi256ELi4ELi16ELi64El14__hip_bfloat16LNS0_11ScoringFuncE0EEEvPKT5_PKbPfiPT4_PiiiibPKf
                                        ; -- End function
	.section	.AMDGPU.csdata,"",@progbits
; Kernel info:
; codeLenInByte = 3368
; NumSgprs: 30
; NumVgprs: 38
; NumAgprs: 0
; TotalNumVgprs: 38
; ScratchSize: 0
; MemoryBound: 0
; FloatMode: 240
; IeeeMode: 1
; LDSByteSize: 0 bytes/workgroup (compile time only)
; SGPRBlocks: 3
; VGPRBlocks: 4
; NumSGPRsForWavesPerEU: 30
; NumVGPRsForWavesPerEU: 38
; AccumOffset: 40
; Occupancy: 8
; WaveLimiterHint : 0
; COMPUTE_PGM_RSRC2:SCRATCH_EN: 0
; COMPUTE_PGM_RSRC2:USER_SGPR: 6
; COMPUTE_PGM_RSRC2:TRAP_HANDLER: 0
; COMPUTE_PGM_RSRC2:TGID_X_EN: 1
; COMPUTE_PGM_RSRC2:TGID_Y_EN: 0
; COMPUTE_PGM_RSRC2:TGID_Z_EN: 0
; COMPUTE_PGM_RSRC2:TIDIG_COMP_CNT: 1
; COMPUTE_PGM_RSRC3_GFX90A:ACCUM_OFFSET: 9
; COMPUTE_PGM_RSRC3_GFX90A:TG_SPLIT: 0
	.section	.text._ZN4vllm3moe10topkGatingILi8ELi256ELi4ELi16ELi32El14__hip_bfloat16LNS0_11ScoringFuncE0EEEvPKT5_PKbPfiPT4_PiiiibPKf,"axG",@progbits,_ZN4vllm3moe10topkGatingILi8ELi256ELi4ELi16ELi32El14__hip_bfloat16LNS0_11ScoringFuncE0EEEvPKT5_PKbPfiPT4_PiiiibPKf,comdat
	.protected	_ZN4vllm3moe10topkGatingILi8ELi256ELi4ELi16ELi32El14__hip_bfloat16LNS0_11ScoringFuncE0EEEvPKT5_PKbPfiPT4_PiiiibPKf ; -- Begin function _ZN4vllm3moe10topkGatingILi8ELi256ELi4ELi16ELi32El14__hip_bfloat16LNS0_11ScoringFuncE0EEEvPKT5_PKbPfiPT4_PiiiibPKf
	.globl	_ZN4vllm3moe10topkGatingILi8ELi256ELi4ELi16ELi32El14__hip_bfloat16LNS0_11ScoringFuncE0EEEvPKT5_PKbPfiPT4_PiiiibPKf
	.p2align	8
	.type	_ZN4vllm3moe10topkGatingILi8ELi256ELi4ELi16ELi32El14__hip_bfloat16LNS0_11ScoringFuncE0EEEvPKT5_PKbPfiPT4_PiiiibPKf,@function
_ZN4vllm3moe10topkGatingILi8ELi256ELi4ELi16ELi32El14__hip_bfloat16LNS0_11ScoringFuncE0EEEvPKT5_PKbPfiPT4_PiiiibPKf: ; @_ZN4vllm3moe10topkGatingILi8ELi256ELi4ELi16ELi32El14__hip_bfloat16LNS0_11ScoringFuncE0EEEvPKT5_PKbPfiPT4_PiiiibPKf
; %bb.0:
	s_load_dword s24, s[4:5], 0x18
	v_and_b32_e32 v1, 0x3ff, v0
	s_lshl_b32 s0, s6, 2
	v_lshrrev_b32_e32 v2, 5, v1
	v_bfe_u32 v0, v0, 10, 10
	v_add3_u32 v17, s0, v0, v2
	s_waitcnt lgkmcnt(0)
	v_cmp_gt_i32_e32 vcc, s24, v17
	s_and_saveexec_b64 s[0:1], vcc
	s_cbranch_execz .LBB185_38
; %bb.1:
	s_load_dwordx4 s[0:3], s[4:5], 0x0
	s_load_dwordx2 s[16:17], s[4:5], 0x10
	s_mov_b64 s[6:7], -1
	s_mov_b64 s[18:19], -1
	s_waitcnt lgkmcnt(0)
	s_cmp_eq_u64 s[2:3], 0
	s_cbranch_scc1 .LBB185_3
; %bb.2:
	v_ashrrev_i32_e32 v0, 31, v17
	v_mov_b32_e32 v3, s3
	v_add_co_u32_e32 v2, vcc, s2, v17
	v_addc_co_u32_e32 v3, vcc, v3, v0, vcc
	global_load_ubyte v0, v[2:3], off
	s_waitcnt vmcnt(0)
	v_and_b32_e32 v0, 1, v0
	v_cmp_eq_u32_e32 vcc, 1, v0
	s_xor_b64 s[2:3], vcc, -1
	s_orn2_b64 s[18:19], s[2:3], exec
.LBB185_3:
	v_lshlrev_b32_e32 v2, 8, v17
	v_ashrrev_i32_e32 v3, 31, v2
	v_lshlrev_b64 v[2:3], 1, v[2:3]
	v_mov_b32_e32 v0, s1
	v_add_co_u32_e32 v2, vcc, s0, v2
	v_and_b32_e32 v21, 31, v1
	v_addc_co_u32_e32 v3, vcc, v0, v3, vcc
	v_lshlrev_b32_e32 v0, 4, v21
	v_add_co_u32_e32 v0, vcc, v2, v0
	v_addc_co_u32_e32 v1, vcc, 0, v3, vcc
	global_load_dwordx4 v[0:3], v[0:1], off
	v_mbcnt_lo_u32_b32 v4, -1, 0
	v_mbcnt_hi_u32_b32 v4, -1, v4
	v_and_b32_e32 v5, 0x60, v4
	v_xor_b32_e32 v6, 16, v4
	v_add_u32_e32 v5, 32, v5
	v_cmp_lt_i32_e32 vcc, v6, v5
	v_cndmask_b32_e32 v6, v4, v6, vcc
	v_lshlrev_b32_e32 v22, 2, v6
	v_xor_b32_e32 v12, 8, v4
	v_cmp_lt_i32_e32 vcc, v12, v5
	v_cndmask_b32_e32 v12, v4, v12, vcc
	v_lshlrev_b32_e32 v23, 2, v12
	v_xor_b32_e32 v12, 4, v4
	;; [unrolled: 4-line block ×4, first 2 shown]
	v_cmp_lt_i32_e32 vcc, v12, v5
	v_cndmask_b32_e32 v4, v4, v12, vcc
	v_lshlrev_b32_e32 v26, 2, v4
	s_mov_b32 s0, 0x3fb8aa3b
	s_mov_b32 s1, 0xc2ce8ed0
	;; [unrolled: 1-line block ×3, first 2 shown]
	s_waitcnt vmcnt(0)
	v_lshlrev_b32_e32 v6, 16, v0
	v_and_b32_e32 v7, 0xffff0000, v0
	v_max_f32_e32 v10, v7, v7
	v_max_f32_e32 v11, v6, v6
	v_lshlrev_b32_e32 v8, 16, v1
	v_and_b32_e32 v0, 0xffff0000, v1
	v_max_f32_e32 v10, v11, v10
	v_lshlrev_b32_e32 v1, 16, v2
	v_and_b32_e32 v2, 0xffff0000, v2
	v_max3_f32 v10, v10, v8, v0
	v_and_b32_e32 v9, 0xffff0000, v3
	v_lshlrev_b32_e32 v3, 16, v3
	v_max3_f32 v10, v10, v1, v2
	v_max3_f32 v10, v10, v3, v9
	ds_bpermute_b32 v11, v22, v10
	s_waitcnt lgkmcnt(0)
	v_max_f32_e32 v11, v11, v11
	v_max_f32_e32 v10, v10, v11
	ds_bpermute_b32 v11, v23, v10
	s_waitcnt lgkmcnt(0)
	v_max_f32_e32 v11, v11, v11
	v_max_f32_e32 v10, v10, v11
	ds_bpermute_b32 v11, v24, v10
	s_waitcnt lgkmcnt(0)
	v_max_f32_e32 v11, v11, v11
	v_max_f32_e32 v10, v10, v11
	ds_bpermute_b32 v11, v25, v10
	s_waitcnt lgkmcnt(0)
	v_max_f32_e32 v4, v11, v11
	v_max_f32_e32 v4, v10, v4
	ds_bpermute_b32 v5, v26, v4
	v_mov_b32_e32 v10, 0x7f800000
	s_waitcnt lgkmcnt(0)
	v_max_f32_e32 v5, v5, v5
	v_max_f32_e32 v4, v4, v5
	v_sub_f32_e32 v5, v6, v4
	v_sub_f32_e32 v6, v7, v4
	;; [unrolled: 1-line block ×3, first 2 shown]
	v_mul_f32_e32 v8, 0x3fb8aa3b, v5
	v_mul_f32_e32 v11, 0x3fb8aa3b, v6
	v_fma_f32 v15, v5, s0, -v8
	v_rndne_f32_e32 v16, v8
	v_pk_add_f32 v[0:1], v[0:1], v[4:5] op_sel_hi:[1,0] neg_lo:[0,1] neg_hi:[0,1]
	v_mul_f32_e32 v12, 0x3fb8aa3b, v7
	v_fma_f32 v18, v6, s0, -v11
	v_rndne_f32_e32 v19, v11
	v_fmac_f32_e32 v15, 0x32a5705f, v5
	v_sub_f32_e32 v8, v8, v16
	v_mul_f32_e32 v13, 0x3fb8aa3b, v1
	v_fma_f32 v20, v7, s0, -v12
	v_rndne_f32_e32 v27, v12
	v_fmac_f32_e32 v18, 0x32a5705f, v6
	v_sub_f32_e32 v11, v11, v19
	v_add_f32_e32 v8, v8, v15
	v_fma_f32 v28, v1, s0, -v13
	v_rndne_f32_e32 v29, v13
	v_cvt_i32_f32_e32 v16, v16
	v_fmac_f32_e32 v20, 0x32a5705f, v7
	v_sub_f32_e32 v12, v12, v27
	v_add_f32_e32 v11, v11, v18
	v_exp_f32_e32 v8, v8
	v_cvt_i32_f32_e32 v19, v19
	v_fmac_f32_e32 v28, 0x32a5705f, v1
	v_sub_f32_e32 v13, v13, v29
	v_add_f32_e32 v12, v12, v20
	v_exp_f32_e32 v11, v11
	v_cvt_i32_f32_e32 v27, v27
	v_add_f32_e32 v13, v13, v28
	v_exp_f32_e32 v12, v12
	v_cvt_i32_f32_e32 v29, v29
	v_exp_f32_e32 v13, v13
	v_mul_f32_e32 v14, 0x3fb8aa3b, v0
	v_ldexp_f32 v8, v8, v16
	v_cmp_ngt_f32_e32 vcc, s1, v5
	v_fma_f32 v30, v0, s0, -v14
	v_rndne_f32_e32 v31, v14
	v_ldexp_f32 v11, v11, v19
	v_cndmask_b32_e32 v8, 0, v8, vcc
	v_cmp_ngt_f32_e32 vcc, s1, v6
	v_fmac_f32_e32 v30, 0x32a5705f, v0
	v_sub_f32_e32 v14, v14, v31
	v_ldexp_f32 v12, v12, v27
	v_cndmask_b32_e32 v11, 0, v11, vcc
	v_cmp_ngt_f32_e32 vcc, s1, v7
	v_add_f32_e32 v14, v14, v30
	v_ldexp_f32 v13, v13, v29
	v_cndmask_b32_e32 v12, 0, v12, vcc
	v_cmp_ngt_f32_e32 vcc, s1, v1
	v_cvt_i32_f32_e32 v31, v31
	v_exp_f32_e32 v14, v14
	v_cndmask_b32_e32 v13, 0, v13, vcc
	v_cmp_nlt_f32_e32 vcc, s2, v5
	v_cndmask_b32_e32 v5, v10, v8, vcc
	v_cmp_nlt_f32_e32 vcc, s2, v6
	;; [unrolled: 2-line block ×4, first 2 shown]
	v_pk_add_f32 v[2:3], v[2:3], v[4:5] op_sel_hi:[1,0] neg_lo:[0,1] neg_hi:[0,1]
	v_ldexp_f32 v14, v14, v31
	v_cndmask_b32_e32 v1, v10, v13, vcc
	v_cmp_ngt_f32_e32 vcc, s1, v0
	v_mul_f32_e32 v12, 0x3fb8aa3b, v3
	v_cndmask_b32_e32 v11, 0, v14, vcc
	v_fma_f32 v13, v3, s0, -v12
	v_rndne_f32_e32 v14, v12
	v_fmac_f32_e32 v13, 0x32a5705f, v3
	v_sub_f32_e32 v12, v12, v14
	v_add_f32_e32 v12, v12, v13
	v_exp_f32_e32 v12, v12
	v_cvt_i32_f32_e32 v13, v14
	v_cmp_nlt_f32_e32 vcc, s2, v0
	v_cndmask_b32_e32 v0, v10, v11, vcc
	v_cmp_ngt_f32_e32 vcc, s1, v3
	v_ldexp_f32 v11, v12, v13
	v_mul_f32_e32 v12, 0x3fb8aa3b, v2
	v_fma_f32 v13, v2, s0, -v12
	v_rndne_f32_e32 v14, v12
	v_fmac_f32_e32 v13, 0x32a5705f, v2
	v_sub_f32_e32 v12, v12, v14
	v_add_f32_e32 v12, v12, v13
	v_exp_f32_e32 v12, v12
	v_cvt_i32_f32_e32 v13, v14
	v_sub_f32_e32 v4, v9, v4
	v_cndmask_b32_e32 v11, 0, v11, vcc
	v_cmp_nlt_f32_e32 vcc, s2, v3
	v_mul_f32_e32 v9, 0x3fb8aa3b, v4
	v_cndmask_b32_e32 v3, v10, v11, vcc
	v_ldexp_f32 v11, v12, v13
	v_fma_f32 v12, v4, s0, -v9
	v_rndne_f32_e32 v13, v9
	v_fmac_f32_e32 v12, 0x32a5705f, v4
	v_sub_f32_e32 v9, v9, v13
	v_add_f32_e32 v9, v9, v12
	v_exp_f32_e32 v9, v9
	v_cvt_i32_f32_e32 v12, v13
	v_add_f32_e32 v8, v5, v6
	v_add_f32_e32 v8, v8, v7
	v_cmp_ngt_f32_e32 vcc, s1, v2
	v_add_f32_e32 v8, v8, v0
	v_cndmask_b32_e32 v11, 0, v11, vcc
	v_cmp_nlt_f32_e32 vcc, s2, v2
	v_add_f32_e32 v8, v8, v1
	v_cndmask_b32_e32 v2, v10, v11, vcc
	v_ldexp_f32 v9, v9, v12
	v_cmp_ngt_f32_e32 vcc, s1, v4
	v_add_f32_e32 v8, v8, v2
	v_cndmask_b32_e32 v9, 0, v9, vcc
	v_cmp_nlt_f32_e32 vcc, s2, v4
	v_add_f32_e32 v8, v8, v3
	v_cndmask_b32_e32 v10, v10, v9, vcc
	v_add_f32_e32 v4, v8, v10
	ds_bpermute_b32 v8, v22, v4
	s_movk_i32 s2, 0x1f8
	v_lshlrev_b32_e32 v27, 3, v21
	s_waitcnt lgkmcnt(0)
	v_add_f32_e32 v4, v4, v8
	ds_bpermute_b32 v8, v23, v4
	s_waitcnt lgkmcnt(0)
	v_add_f32_e32 v4, v4, v8
	ds_bpermute_b32 v8, v24, v4
	;; [unrolled: 3-line block ×4, first 2 shown]
	s_waitcnt lgkmcnt(0)
	v_add_f32_e32 v4, v4, v8
	v_div_scale_f32 v8, s[0:1], v4, v4, 1.0
	v_rcp_f32_e32 v9, v8
	s_load_dwordx2 s[0:1], s[4:5], 0x40
	v_fma_f32 v11, -v8, v9, 1.0
	v_fmac_f32_e32 v9, v11, v9
	v_div_scale_f32 v11, vcc, 1.0, v4, 1.0
	v_mul_f32_e32 v12, v11, v9
	v_fma_f32 v13, -v8, v12, v11
	v_fmac_f32_e32 v12, v13, v9
	v_fma_f32 v8, -v8, v12, v11
	v_div_fmas_f32 v8, v8, v9, v12
	v_div_fixup_f32 v4, v8, v4, 1.0
	v_mul_f32_e32 v5, v4, v5
	v_mul_f32_e32 v11, v4, v6
	v_cmp_class_f32_e64 vcc, v5, s2
	v_mul_f32_e32 v12, v4, v7
	v_pk_mul_f32 v[6:7], v[4:5], v[0:1] op_sel_hi:[0,1]
	v_cndmask_b32_e32 v0, 0, v5, vcc
	v_cmp_class_f32_e64 vcc, v11, s2
	v_pk_mul_f32 v[8:9], v[4:5], v[2:3] op_sel_hi:[0,1]
	v_cndmask_b32_e32 v1, 0, v11, vcc
	v_cmp_class_f32_e64 vcc, v12, s2
	v_mov_b32_e32 v5, 0x207
	v_cndmask_b32_e32 v2, 0, v12, vcc
	v_cmp_class_f32_e32 vcc, v7, v5
	v_mul_f32_e32 v10, v4, v10
	v_cndmask_b32_e64 v4, v7, 0, vcc
	v_cmp_class_f32_e32 vcc, v6, v5
	v_cndmask_b32_e64 v3, v6, 0, vcc
	v_cmp_class_f32_e32 vcc, v9, v5
	;; [unrolled: 2-line block ×3, first 2 shown]
	v_cndmask_b32_e64 v5, v8, 0, vcc
	v_cmp_class_f32_e64 vcc, v10, s2
	s_waitcnt lgkmcnt(0)
	s_cmp_eq_u64 s[0:1], 0
	v_cndmask_b32_e32 v7, 0, v10, vcc
	s_cbranch_scc1 .LBB185_27
; %bb.4:
	v_lshlrev_b32_e32 v16, 2, v27
	global_load_dwordx4 v[8:11], v16, s[0:1]
	global_load_dwordx4 v[12:15], v16, s[0:1] offset:16
	s_waitcnt vmcnt(1)
	v_pk_add_f32 v[8:9], v[8:9], v[0:1]
	v_pk_add_f32 v[10:11], v[10:11], v[2:3]
	s_waitcnt vmcnt(0)
	v_pk_add_f32 v[12:13], v[12:13], v[4:5]
	v_pk_add_f32 v[14:15], v[14:15], v[6:7]
	s_cbranch_execnz .LBB185_6
.LBB185_5:
	v_pk_mov_b32 v[14:15], v[6:7], v[6:7] op_sel:[0,1]
	v_pk_mov_b32 v[12:13], v[4:5], v[4:5] op_sel:[0,1]
	;; [unrolled: 1-line block ×4, first 2 shown]
.LBB185_6:
	s_load_dwordx4 s[8:11], s[4:5], 0x30
	s_mov_b32 s25, 0
	v_cmp_eq_u32_e64 s[0:1], 0, v21
	s_waitcnt lgkmcnt(0)
	s_bitcmp1_b32 s11, 0
	s_cselect_b64 vcc, -1, 0
	s_cmp_gt_i32 s8, 0
	s_cselect_b64 s[20:21], -1, 0
	s_cmp_lt_i32 s8, 1
	s_cbranch_scc1 .LBB185_28
; %bb.7:
	s_load_dwordx4 s[12:15], s[4:5], 0x20
	v_mul_lo_u32 v29, v17, s8
	v_mov_b32_e32 v28, 0
	v_mov_b32_e32 v30, 0x100
	;; [unrolled: 1-line block ×4, first 2 shown]
	s_branch .LBB185_10
.LBB185_8:                              ;   in Loop: Header=BB185_10 Depth=1
	s_or_b64 exec, exec, s[4:5]
.LBB185_9:                              ;   in Loop: Header=BB185_10 Depth=1
	s_cmp_eq_u32 s8, s25
	v_add_u32_e32 v32, s24, v32
	s_cbranch_scc1 .LBB185_29
.LBB185_10:                             ; =>This Inner Loop Header: Depth=1
	v_cmp_gt_f32_e64 s[2:3], v9, v8
	v_cndmask_b32_e64 v16, v8, v9, s[2:3]
	v_cndmask_b32_e64 v18, v0, v1, s[2:3]
	s_waitcnt lgkmcnt(0)
	v_cndmask_b32_e64 v19, 0, 1, s[2:3]
	v_cmp_gt_f32_e64 s[2:3], v10, v16
	v_cndmask_b32_e64 v16, v16, v10, s[2:3]
	v_cndmask_b32_e64 v18, v18, v2, s[2:3]
	v_cndmask_b32_e64 v19, v19, 2, s[2:3]
	v_cmp_gt_f32_e64 s[2:3], v11, v16
	v_cndmask_b32_e64 v16, v16, v11, s[2:3]
	v_cndmask_b32_e64 v18, v18, v3, s[2:3]
	v_cndmask_b32_e64 v19, v19, 3, s[2:3]
	v_cmp_gt_f32_e64 s[2:3], v12, v16
	v_cndmask_b32_e64 v16, v16, v12, s[2:3]
	v_cndmask_b32_e64 v18, v18, v4, s[2:3]
	v_cndmask_b32_e64 v19, v19, 4, s[2:3]
	v_cmp_gt_f32_e64 s[2:3], v13, v16
	v_cndmask_b32_e64 v16, v16, v13, s[2:3]
	v_cndmask_b32_e64 v18, v18, v5, s[2:3]
	v_cndmask_b32_e64 v19, v19, 5, s[2:3]
	v_cmp_gt_f32_e64 s[2:3], v14, v16
	v_cndmask_b32_e64 v16, v16, v14, s[2:3]
	v_cndmask_b32_e64 v18, v18, v6, s[2:3]
	v_cndmask_b32_e64 v19, v19, 6, s[2:3]
	v_cmp_gt_f32_e64 s[2:3], v15, v16
	v_cndmask_b32_e64 v19, v19, 7, s[2:3]
	v_cndmask_b32_e64 v16, v16, v15, s[2:3]
	v_or_b32_e32 v19, v27, v19
	ds_bpermute_b32 v20, v22, v16
	ds_bpermute_b32 v33, v22, v19
	v_cndmask_b32_e64 v18, v18, v7, s[2:3]
	ds_bpermute_b32 v35, v22, v18
	s_waitcnt lgkmcnt(0)
	v_cmp_eq_f32_e64 s[4:5], v16, v20
	v_cmp_lt_i32_e64 s[6:7], v33, v19
	v_cmp_lt_f32_e64 s[2:3], v16, v20
	s_and_b64 s[4:5], s[4:5], s[6:7]
	s_or_b64 s[2:3], s[2:3], s[4:5]
	v_cndmask_b32_e64 v34, v19, v33, s[2:3]
	v_cndmask_b32_e64 v33, v16, v20, s[2:3]
	;; [unrolled: 1-line block ×3, first 2 shown]
	ds_bpermute_b32 v36, v23, v33
	ds_bpermute_b32 v20, v23, v16
	;; [unrolled: 1-line block ×3, first 2 shown]
                                        ; implicit-def: $vgpr18_vgpr19
	s_waitcnt lgkmcnt(2)
	v_cmp_lt_f32_e64 s[6:7], v33, v36
	v_cmp_nlt_f32_e64 s[2:3], v33, v36
	s_and_saveexec_b64 s[22:23], s[2:3]
	s_cbranch_execz .LBB185_12
; %bb.11:                               ;   in Loop: Header=BB185_10 Depth=1
	v_cmp_eq_f32_e64 s[2:3], v33, v36
	s_waitcnt lgkmcnt(0)
	v_cmp_lt_i32_e64 s[4:5], v35, v34
	s_and_b64 s[2:3], s[2:3], s[4:5]
	s_andn2_b64 s[4:5], s[6:7], exec
	s_and_b64 s[2:3], s[2:3], exec
	s_or_b64 s[6:7], s[4:5], s[2:3]
	v_pk_mov_b32 v[18:19], v[16:17], v[16:17] op_sel:[0,1]
.LBB185_12:                             ;   in Loop: Header=BB185_10 Depth=1
	s_or_b64 exec, exec, s[22:23]
	s_and_saveexec_b64 s[2:3], s[6:7]
	s_cbranch_execz .LBB185_14
; %bb.13:                               ;   in Loop: Header=BB185_10 Depth=1
	v_mov_b32_e32 v33, v36
	s_waitcnt lgkmcnt(1)
	v_mov_b32_e32 v16, v20
	s_waitcnt lgkmcnt(0)
	v_mov_b32_e32 v34, v35
	v_pk_mov_b32 v[18:19], v[20:21], v[20:21] op_sel:[0,1]
.LBB185_14:                             ;   in Loop: Header=BB185_10 Depth=1
	s_or_b64 exec, exec, s[2:3]
	s_waitcnt lgkmcnt(0)
	ds_bpermute_b32 v35, v24, v33
	ds_bpermute_b32 v20, v24, v16
	;; [unrolled: 1-line block ×3, first 2 shown]
	s_waitcnt lgkmcnt(2)
	v_cmp_lt_f32_e64 s[6:7], v33, v35
	v_cmp_nlt_f32_e64 s[2:3], v33, v35
	s_and_saveexec_b64 s[22:23], s[2:3]
	s_cbranch_execz .LBB185_16
; %bb.15:                               ;   in Loop: Header=BB185_10 Depth=1
	v_cmp_eq_f32_e64 s[2:3], v33, v35
	s_waitcnt lgkmcnt(0)
	v_cmp_lt_i32_e64 s[4:5], v19, v34
	s_and_b64 s[2:3], s[2:3], s[4:5]
	s_andn2_b64 s[4:5], s[6:7], exec
	s_and_b64 s[2:3], s[2:3], exec
	s_or_b64 s[6:7], s[4:5], s[2:3]
.LBB185_16:                             ;   in Loop: Header=BB185_10 Depth=1
	s_or_b64 exec, exec, s[22:23]
	s_and_saveexec_b64 s[2:3], s[6:7]
	s_cbranch_execz .LBB185_18
; %bb.17:                               ;   in Loop: Header=BB185_10 Depth=1
	v_mov_b32_e32 v33, v35
	s_waitcnt lgkmcnt(1)
	v_mov_b32_e32 v16, v20
	s_waitcnt lgkmcnt(0)
	v_mov_b32_e32 v34, v19
	v_pk_mov_b32 v[18:19], v[20:21], v[20:21] op_sel:[0,1]
.LBB185_18:                             ;   in Loop: Header=BB185_10 Depth=1
	s_or_b64 exec, exec, s[2:3]
	ds_bpermute_b32 v35, v25, v33
	s_waitcnt lgkmcnt(2)
	ds_bpermute_b32 v20, v25, v16
	s_waitcnt lgkmcnt(2)
	;; [unrolled: 2-line block ×3, first 2 shown]
	v_cmp_lt_f32_e64 s[6:7], v33, v35
	v_cmp_nlt_f32_e64 s[2:3], v33, v35
	s_and_saveexec_b64 s[22:23], s[2:3]
	s_cbranch_execz .LBB185_20
; %bb.19:                               ;   in Loop: Header=BB185_10 Depth=1
	v_cmp_eq_f32_e64 s[2:3], v33, v35
	s_waitcnt lgkmcnt(0)
	v_cmp_lt_i32_e64 s[4:5], v19, v34
	s_and_b64 s[2:3], s[2:3], s[4:5]
	s_andn2_b64 s[4:5], s[6:7], exec
	s_and_b64 s[2:3], s[2:3], exec
	s_or_b64 s[6:7], s[4:5], s[2:3]
.LBB185_20:                             ;   in Loop: Header=BB185_10 Depth=1
	s_or_b64 exec, exec, s[22:23]
	s_and_saveexec_b64 s[2:3], s[6:7]
	s_cbranch_execz .LBB185_22
; %bb.21:                               ;   in Loop: Header=BB185_10 Depth=1
	v_mov_b32_e32 v33, v35
	s_waitcnt lgkmcnt(1)
	v_mov_b32_e32 v16, v20
	s_waitcnt lgkmcnt(0)
	v_mov_b32_e32 v34, v19
	v_pk_mov_b32 v[18:19], v[20:21], v[20:21] op_sel:[0,1]
.LBB185_22:                             ;   in Loop: Header=BB185_10 Depth=1
	s_or_b64 exec, exec, s[2:3]
	s_waitcnt lgkmcnt(1)
	ds_bpermute_b32 v20, v26, v33
	ds_bpermute_b32 v35, v26, v34
	s_waitcnt lgkmcnt(2)
	ds_bpermute_b32 v19, v26, v16
	s_waitcnt lgkmcnt(2)
	v_cmp_eq_f32_e64 s[4:5], v33, v20
	s_waitcnt lgkmcnt(1)
	v_cmp_lt_i32_e64 s[6:7], v35, v34
	v_cmp_lt_f32_e64 s[2:3], v33, v20
	s_and_b64 s[4:5], s[4:5], s[6:7]
	s_or_b64 s[2:3], s[2:3], s[4:5]
	v_cndmask_b32_e64 v16, v34, v35, s[2:3]
	s_and_saveexec_b64 s[6:7], s[0:1]
	s_cbranch_execnz .LBB185_24
; %bb.23:                               ;   in Loop: Header=BB185_10 Depth=1
	s_or_b64 exec, exec, s[6:7]
	s_add_i32 s25, s25, 1
	s_cmp_ge_i32 s25, s8
	s_cbranch_scc1 .LBB185_9
	s_branch .LBB185_25
.LBB185_24:                             ;   in Loop: Header=BB185_10 Depth=1
	s_waitcnt lgkmcnt(0)
	v_cndmask_b32_e64 v20, v18, v19, s[2:3]
	v_add_u32_e32 v18, s25, v29
	v_ashrrev_i32_e32 v19, 31, v18
	v_cmp_le_i32_e64 s[2:3], s9, v16
	v_cmp_gt_i32_e64 s[4:5], s10, v16
	v_lshlrev_b64 v[34:35], 2, v[18:19]
	s_and_b64 s[4:5], s[2:3], s[4:5]
	v_mov_b32_e32 v33, s17
	v_add_co_u32_e64 v36, s[2:3], s16, v34
	v_addc_co_u32_e64 v37, s[2:3], v33, v35, s[2:3]
	v_subrev_u32_e32 v33, s9, v16
	global_store_dword v[36:37], v20, off
	v_ashrrev_i32_e32 v36, 31, v33
	s_and_b64 s[2:3], s[18:19], s[4:5]
	v_lshlrev_b64 v[18:19], 3, v[18:19]
	v_cndmask_b32_e64 v37, 0, v36, s[2:3]
	v_cndmask_b32_e64 v36, v30, v33, s[2:3]
	v_mov_b32_e32 v33, s13
	v_add_co_u32_e64 v18, s[2:3], s12, v18
	v_addc_co_u32_e64 v19, s[2:3], v33, v19, s[2:3]
	global_store_dwordx2 v[18:19], v[36:37], off
	v_mov_b32_e32 v19, s15
	v_add_co_u32_e64 v18, s[2:3], s14, v34
	v_addc_co_u32_e64 v19, s[2:3], v19, v35, s[2:3]
	global_store_dword v[18:19], v32, off
	v_add_f32_e32 v18, v28, v20
	v_cndmask_b32_e32 v28, v28, v18, vcc
	s_or_b64 exec, exec, s[6:7]
	s_add_i32 s25, s25, 1
	s_cmp_ge_i32 s25, s8
	s_cbranch_scc1 .LBB185_9
.LBB185_25:                             ;   in Loop: Header=BB185_10 Depth=1
	v_ashrrev_i32_e32 v18, 31, v16
	s_waitcnt lgkmcnt(0)
	v_lshrrev_b32_e32 v19, 29, v18
	v_add_u32_e32 v20, v16, v19
	v_ashrrev_i32_e32 v19, 3, v20
	v_ashrrev_i32_e32 v20, 31, v20
	v_lshrrev_b32_e32 v20, 27, v20
	v_add_u32_e32 v20, v19, v20
	v_and_b32_e32 v20, 0xffffffe0, v20
	v_sub_u32_e32 v20, v19, v20
	v_cmp_eq_u32_e64 s[2:3], v21, v20
	s_and_saveexec_b64 s[4:5], s[2:3]
	s_cbranch_execz .LBB185_8
; %bb.26:                               ;   in Loop: Header=BB185_10 Depth=1
	v_add_u32_sdwa v18, v16, v18 dst_sel:DWORD dst_unused:UNUSED_PAD src0_sel:DWORD src1_sel:BYTE_3
	v_lshlrev_b32_e32 v19, 3, v19
	v_ashrrev_i32_e32 v18, 8, v18
	v_sub_u32_e32 v16, v16, v19
	v_lshl_add_u32 v16, v18, 3, v16
	v_cmp_ne_u32_e64 s[2:3], 7, v16
	v_cndmask_b32_e64 v15, v31, v15, s[2:3]
	v_cmp_ne_u32_e64 s[2:3], 6, v16
	v_cndmask_b32_e64 v14, v31, v14, s[2:3]
	;; [unrolled: 2-line block ×8, first 2 shown]
	s_branch .LBB185_8
.LBB185_27:
                                        ; implicit-def: $vgpr8_vgpr9_vgpr10_vgpr11_vgpr12_vgpr13_vgpr14_vgpr15
	s_andn2_b64 vcc, exec, s[6:7]
	s_cbranch_vccz .LBB185_5
	s_branch .LBB185_6
.LBB185_28:
	v_mov_b32_e32 v28, 0
.LBB185_29:
	v_cmp_eq_u32_e64 s[0:1], 0, v21
	s_and_b64 s[0:1], s[0:1], vcc
	s_and_b64 exec, exec, s[0:1]
	s_cbranch_execz .LBB185_38
; %bb.30:
	s_andn2_b64 vcc, exec, s[20:21]
	s_cbranch_vccnz .LBB185_38
; %bb.31:
	v_cmp_lt_f32_e32 vcc, 0, v28
	s_mov_b32 s2, 0
	v_cndmask_b32_e32 v0, 1.0, v28, vcc
	v_mul_lo_u32 v4, v17, s8
	s_cmp_eq_u32 s8, 1
	s_mov_b64 s[0:1], -1
	s_cbranch_scc1 .LBB185_35
; %bb.32:
	s_and_b32 s2, s8, 0x7ffffffe
	v_mov_b32_e32 v1, v0
	v_mov_b32_e32 v5, s17
	s_mov_b32 s3, s2
	v_mov_b32_e32 v2, v4
.LBB185_33:                             ; =>This Inner Loop Header: Depth=1
	v_ashrrev_i32_e32 v3, 31, v2
	v_lshlrev_b64 v[6:7], 2, v[2:3]
	v_add_co_u32_e32 v6, vcc, s16, v6
	v_addc_co_u32_e32 v7, vcc, v5, v7, vcc
	global_load_dwordx2 v[8:9], v[6:7], off
	s_add_i32 s3, s3, -2
	s_cmp_lg_u32 s3, 0
	v_add_u32_e32 v2, 2, v2
	s_waitcnt vmcnt(0)
	v_div_scale_f32 v3, s[0:1], v1, v1, v9
	v_div_scale_f32 v11, s[0:1], v0, v0, v8
	v_rcp_f32_e32 v12, v3
	v_rcp_f32_e32 v13, v11
	v_div_scale_f32 v10, vcc, v9, v1, v9
	v_fma_f32 v15, -v3, v12, 1.0
	v_fma_f32 v16, -v11, v13, 1.0
	v_fmac_f32_e32 v12, v15, v12
	v_div_scale_f32 v14, s[0:1], v8, v0, v8
	v_fmac_f32_e32 v13, v16, v13
	v_mul_f32_e32 v15, v10, v12
	v_mul_f32_e32 v16, v14, v13
	v_fma_f32 v17, -v3, v15, v10
	v_fma_f32 v18, -v11, v16, v14
	v_fmac_f32_e32 v15, v17, v12
	v_fmac_f32_e32 v16, v18, v13
	v_fma_f32 v3, -v3, v15, v10
	v_fma_f32 v10, -v11, v16, v14
	v_div_fmas_f32 v3, v3, v12, v15
	s_mov_b64 vcc, s[0:1]
	v_div_fixup_f32 v9, v3, v1, v9
	v_div_fmas_f32 v3, v10, v13, v16
	v_div_fixup_f32 v8, v3, v0, v8
	global_store_dwordx2 v[6:7], v[8:9], off
	s_cbranch_scc1 .LBB185_33
; %bb.34:
	s_cmp_lg_u32 s2, s8
	s_cselect_b64 s[0:1], -1, 0
.LBB185_35:
	s_and_b64 vcc, exec, s[0:1]
	s_cbranch_vccz .LBB185_38
; %bb.36:
	v_ashrrev_i32_e32 v1, 31, v4
	v_add_co_u32_e32 v2, vcc, s2, v4
	v_addc_co_u32_e32 v3, vcc, 0, v1, vcc
	v_lshlrev_b64 v[2:3], 2, v[2:3]
	v_mov_b32_e32 v1, s17
	v_add_co_u32_e32 v2, vcc, s16, v2
	s_sub_i32 s0, s8, s2
	v_addc_co_u32_e32 v3, vcc, v1, v3, vcc
.LBB185_37:                             ; =>This Inner Loop Header: Depth=1
	global_load_dword v1, v[2:3], off
	s_add_i32 s0, s0, -1
	s_cmp_lg_u32 s0, 0
	s_waitcnt vmcnt(0)
	v_div_scale_f32 v4, s[2:3], v0, v0, v1
	v_rcp_f32_e32 v5, v4
	v_div_scale_f32 v6, vcc, v1, v0, v1
	v_fma_f32 v7, -v4, v5, 1.0
	v_fmac_f32_e32 v5, v7, v5
	v_mul_f32_e32 v7, v6, v5
	v_fma_f32 v8, -v4, v7, v6
	v_fmac_f32_e32 v7, v8, v5
	v_fma_f32 v4, -v4, v7, v6
	v_div_fmas_f32 v4, v4, v5, v7
	v_div_fixup_f32 v1, v4, v0, v1
	global_store_dword v[2:3], v1, off
	v_add_co_u32_e32 v2, vcc, 4, v2
	v_addc_co_u32_e32 v3, vcc, 0, v3, vcc
	s_cbranch_scc1 .LBB185_37
.LBB185_38:
	s_endpgm
	.section	.rodata,"a",@progbits
	.p2align	6, 0x0
	.amdhsa_kernel _ZN4vllm3moe10topkGatingILi8ELi256ELi4ELi16ELi32El14__hip_bfloat16LNS0_11ScoringFuncE0EEEvPKT5_PKbPfiPT4_PiiiibPKf
		.amdhsa_group_segment_fixed_size 0
		.amdhsa_private_segment_fixed_size 0
		.amdhsa_kernarg_size 72
		.amdhsa_user_sgpr_count 6
		.amdhsa_user_sgpr_private_segment_buffer 1
		.amdhsa_user_sgpr_dispatch_ptr 0
		.amdhsa_user_sgpr_queue_ptr 0
		.amdhsa_user_sgpr_kernarg_segment_ptr 1
		.amdhsa_user_sgpr_dispatch_id 0
		.amdhsa_user_sgpr_flat_scratch_init 0
		.amdhsa_user_sgpr_kernarg_preload_length 0
		.amdhsa_user_sgpr_kernarg_preload_offset 0
		.amdhsa_user_sgpr_private_segment_size 0
		.amdhsa_uses_dynamic_stack 0
		.amdhsa_system_sgpr_private_segment_wavefront_offset 0
		.amdhsa_system_sgpr_workgroup_id_x 1
		.amdhsa_system_sgpr_workgroup_id_y 0
		.amdhsa_system_sgpr_workgroup_id_z 0
		.amdhsa_system_sgpr_workgroup_info 0
		.amdhsa_system_vgpr_workitem_id 1
		.amdhsa_next_free_vgpr 38
		.amdhsa_next_free_sgpr 26
		.amdhsa_accum_offset 40
		.amdhsa_reserve_vcc 1
		.amdhsa_reserve_flat_scratch 0
		.amdhsa_float_round_mode_32 0
		.amdhsa_float_round_mode_16_64 0
		.amdhsa_float_denorm_mode_32 3
		.amdhsa_float_denorm_mode_16_64 3
		.amdhsa_dx10_clamp 1
		.amdhsa_ieee_mode 1
		.amdhsa_fp16_overflow 0
		.amdhsa_tg_split 0
		.amdhsa_exception_fp_ieee_invalid_op 0
		.amdhsa_exception_fp_denorm_src 0
		.amdhsa_exception_fp_ieee_div_zero 0
		.amdhsa_exception_fp_ieee_overflow 0
		.amdhsa_exception_fp_ieee_underflow 0
		.amdhsa_exception_fp_ieee_inexact 0
		.amdhsa_exception_int_div_zero 0
	.end_amdhsa_kernel
	.section	.text._ZN4vllm3moe10topkGatingILi8ELi256ELi4ELi16ELi32El14__hip_bfloat16LNS0_11ScoringFuncE0EEEvPKT5_PKbPfiPT4_PiiiibPKf,"axG",@progbits,_ZN4vllm3moe10topkGatingILi8ELi256ELi4ELi16ELi32El14__hip_bfloat16LNS0_11ScoringFuncE0EEEvPKT5_PKbPfiPT4_PiiiibPKf,comdat
.Lfunc_end185:
	.size	_ZN4vllm3moe10topkGatingILi8ELi256ELi4ELi16ELi32El14__hip_bfloat16LNS0_11ScoringFuncE0EEEvPKT5_PKbPfiPT4_PiiiibPKf, .Lfunc_end185-_ZN4vllm3moe10topkGatingILi8ELi256ELi4ELi16ELi32El14__hip_bfloat16LNS0_11ScoringFuncE0EEEvPKT5_PKbPfiPT4_PiiiibPKf
                                        ; -- End function
	.section	.AMDGPU.csdata,"",@progbits
; Kernel info:
; codeLenInByte = 3364
; NumSgprs: 30
; NumVgprs: 38
; NumAgprs: 0
; TotalNumVgprs: 38
; ScratchSize: 0
; MemoryBound: 0
; FloatMode: 240
; IeeeMode: 1
; LDSByteSize: 0 bytes/workgroup (compile time only)
; SGPRBlocks: 3
; VGPRBlocks: 4
; NumSGPRsForWavesPerEU: 30
; NumVGPRsForWavesPerEU: 38
; AccumOffset: 40
; Occupancy: 8
; WaveLimiterHint : 0
; COMPUTE_PGM_RSRC2:SCRATCH_EN: 0
; COMPUTE_PGM_RSRC2:USER_SGPR: 6
; COMPUTE_PGM_RSRC2:TRAP_HANDLER: 0
; COMPUTE_PGM_RSRC2:TGID_X_EN: 1
; COMPUTE_PGM_RSRC2:TGID_Y_EN: 0
; COMPUTE_PGM_RSRC2:TGID_Z_EN: 0
; COMPUTE_PGM_RSRC2:TIDIG_COMP_CNT: 1
; COMPUTE_PGM_RSRC3_GFX90A:ACCUM_OFFSET: 9
; COMPUTE_PGM_RSRC3_GFX90A:TG_SPLIT: 0
	.section	.text._ZN4vllm3moe10topkGatingILi8ELi512ELi4ELi16ELi64El14__hip_bfloat16LNS0_11ScoringFuncE0EEEvPKT5_PKbPfiPT4_PiiiibPKf,"axG",@progbits,_ZN4vllm3moe10topkGatingILi8ELi512ELi4ELi16ELi64El14__hip_bfloat16LNS0_11ScoringFuncE0EEEvPKT5_PKbPfiPT4_PiiiibPKf,comdat
	.protected	_ZN4vllm3moe10topkGatingILi8ELi512ELi4ELi16ELi64El14__hip_bfloat16LNS0_11ScoringFuncE0EEEvPKT5_PKbPfiPT4_PiiiibPKf ; -- Begin function _ZN4vllm3moe10topkGatingILi8ELi512ELi4ELi16ELi64El14__hip_bfloat16LNS0_11ScoringFuncE0EEEvPKT5_PKbPfiPT4_PiiiibPKf
	.globl	_ZN4vllm3moe10topkGatingILi8ELi512ELi4ELi16ELi64El14__hip_bfloat16LNS0_11ScoringFuncE0EEEvPKT5_PKbPfiPT4_PiiiibPKf
	.p2align	8
	.type	_ZN4vllm3moe10topkGatingILi8ELi512ELi4ELi16ELi64El14__hip_bfloat16LNS0_11ScoringFuncE0EEEvPKT5_PKbPfiPT4_PiiiibPKf,@function
_ZN4vllm3moe10topkGatingILi8ELi512ELi4ELi16ELi64El14__hip_bfloat16LNS0_11ScoringFuncE0EEEvPKT5_PKbPfiPT4_PiiiibPKf: ; @_ZN4vllm3moe10topkGatingILi8ELi512ELi4ELi16ELi64El14__hip_bfloat16LNS0_11ScoringFuncE0EEEvPKT5_PKbPfiPT4_PiiiibPKf
; %bb.0:
	s_load_dword s24, s[4:5], 0x18
	v_and_b32_e32 v1, 0x3ff, v0
	s_lshl_b32 s0, s6, 2
	v_lshrrev_b32_e32 v2, 6, v1
	v_bfe_u32 v0, v0, 10, 10
	v_add3_u32 v17, s0, v0, v2
	s_waitcnt lgkmcnt(0)
	v_cmp_gt_i32_e32 vcc, s24, v17
	s_and_saveexec_b64 s[0:1], vcc
	s_cbranch_execz .LBB186_42
; %bb.1:
	s_load_dwordx4 s[0:3], s[4:5], 0x0
	s_load_dwordx2 s[16:17], s[4:5], 0x10
	s_mov_b64 s[6:7], -1
	s_mov_b64 s[18:19], -1
	s_waitcnt lgkmcnt(0)
	s_cmp_eq_u64 s[2:3], 0
	s_cbranch_scc1 .LBB186_3
; %bb.2:
	v_ashrrev_i32_e32 v0, 31, v17
	v_mov_b32_e32 v3, s3
	v_add_co_u32_e32 v2, vcc, s2, v17
	v_addc_co_u32_e32 v3, vcc, v3, v0, vcc
	global_load_ubyte v0, v[2:3], off
	s_waitcnt vmcnt(0)
	v_and_b32_e32 v0, 1, v0
	v_cmp_eq_u32_e32 vcc, 1, v0
	s_xor_b64 s[2:3], vcc, -1
	s_orn2_b64 s[18:19], s[2:3], exec
.LBB186_3:
	v_lshlrev_b32_e32 v2, 9, v17
	v_ashrrev_i32_e32 v3, 31, v2
	v_lshlrev_b64 v[2:3], 1, v[2:3]
	v_mov_b32_e32 v0, s1
	v_add_co_u32_e32 v2, vcc, s0, v2
	v_and_b32_e32 v21, 63, v1
	v_addc_co_u32_e32 v3, vcc, v0, v3, vcc
	v_lshlrev_b32_e32 v0, 4, v21
	v_add_co_u32_e32 v0, vcc, v2, v0
	v_addc_co_u32_e32 v1, vcc, 0, v3, vcc
	global_load_dwordx4 v[0:3], v[0:1], off
	v_mbcnt_lo_u32_b32 v4, -1, 0
	v_mbcnt_hi_u32_b32 v4, -1, v4
	v_and_b32_e32 v5, 64, v4
	v_xor_b32_e32 v6, 32, v4
	v_add_u32_e32 v5, 64, v5
	v_cmp_lt_i32_e32 vcc, v6, v5
	v_cndmask_b32_e32 v6, v4, v6, vcc
	v_lshlrev_b32_e32 v22, 2, v6
	v_xor_b32_e32 v12, 16, v4
	v_cmp_lt_i32_e32 vcc, v12, v5
	v_cndmask_b32_e32 v12, v4, v12, vcc
	v_lshlrev_b32_e32 v23, 2, v12
	v_xor_b32_e32 v12, 8, v4
	;; [unrolled: 4-line block ×5, first 2 shown]
	v_cmp_lt_i32_e32 vcc, v12, v5
	v_cndmask_b32_e32 v4, v4, v12, vcc
	v_lshlrev_b32_e32 v27, 2, v4
	s_mov_b32 s0, 0x3fb8aa3b
	s_mov_b32 s1, 0xc2ce8ed0
	;; [unrolled: 1-line block ×3, first 2 shown]
	s_waitcnt vmcnt(0)
	v_lshlrev_b32_e32 v6, 16, v0
	v_and_b32_e32 v7, 0xffff0000, v0
	v_max_f32_e32 v10, v7, v7
	v_max_f32_e32 v11, v6, v6
	v_lshlrev_b32_e32 v8, 16, v1
	v_and_b32_e32 v0, 0xffff0000, v1
	v_max_f32_e32 v10, v11, v10
	v_lshlrev_b32_e32 v1, 16, v2
	v_and_b32_e32 v2, 0xffff0000, v2
	v_max3_f32 v10, v10, v8, v0
	v_and_b32_e32 v9, 0xffff0000, v3
	v_lshlrev_b32_e32 v3, 16, v3
	v_max3_f32 v10, v10, v1, v2
	v_max3_f32 v10, v10, v3, v9
	ds_bpermute_b32 v11, v22, v10
	s_waitcnt lgkmcnt(0)
	v_max_f32_e32 v11, v11, v11
	v_max_f32_e32 v10, v10, v11
	ds_bpermute_b32 v11, v23, v10
	s_waitcnt lgkmcnt(0)
	v_max_f32_e32 v11, v11, v11
	v_max_f32_e32 v10, v10, v11
	;; [unrolled: 4-line block ×5, first 2 shown]
	ds_bpermute_b32 v5, v27, v4
	v_mov_b32_e32 v10, 0x7f800000
	s_waitcnt lgkmcnt(0)
	v_max_f32_e32 v5, v5, v5
	v_max_f32_e32 v4, v4, v5
	v_sub_f32_e32 v5, v6, v4
	v_sub_f32_e32 v6, v7, v4
	;; [unrolled: 1-line block ×3, first 2 shown]
	v_mul_f32_e32 v8, 0x3fb8aa3b, v5
	v_mul_f32_e32 v11, 0x3fb8aa3b, v6
	v_fma_f32 v15, v5, s0, -v8
	v_rndne_f32_e32 v16, v8
	v_pk_add_f32 v[0:1], v[0:1], v[4:5] op_sel_hi:[1,0] neg_lo:[0,1] neg_hi:[0,1]
	v_mul_f32_e32 v12, 0x3fb8aa3b, v7
	v_fma_f32 v18, v6, s0, -v11
	v_rndne_f32_e32 v19, v11
	v_fmac_f32_e32 v15, 0x32a5705f, v5
	v_sub_f32_e32 v8, v8, v16
	v_mul_f32_e32 v13, 0x3fb8aa3b, v1
	v_fma_f32 v20, v7, s0, -v12
	v_rndne_f32_e32 v28, v12
	v_fmac_f32_e32 v18, 0x32a5705f, v6
	v_sub_f32_e32 v11, v11, v19
	v_add_f32_e32 v8, v8, v15
	v_fma_f32 v29, v1, s0, -v13
	v_rndne_f32_e32 v30, v13
	v_cvt_i32_f32_e32 v16, v16
	v_fmac_f32_e32 v20, 0x32a5705f, v7
	v_sub_f32_e32 v12, v12, v28
	v_add_f32_e32 v11, v11, v18
	v_exp_f32_e32 v8, v8
	v_cvt_i32_f32_e32 v19, v19
	v_fmac_f32_e32 v29, 0x32a5705f, v1
	v_sub_f32_e32 v13, v13, v30
	v_add_f32_e32 v12, v12, v20
	v_exp_f32_e32 v11, v11
	v_cvt_i32_f32_e32 v28, v28
	v_add_f32_e32 v13, v13, v29
	v_exp_f32_e32 v12, v12
	v_cvt_i32_f32_e32 v30, v30
	v_exp_f32_e32 v13, v13
	v_mul_f32_e32 v14, 0x3fb8aa3b, v0
	v_ldexp_f32 v8, v8, v16
	v_cmp_ngt_f32_e32 vcc, s1, v5
	v_fma_f32 v31, v0, s0, -v14
	v_rndne_f32_e32 v32, v14
	v_ldexp_f32 v11, v11, v19
	v_cndmask_b32_e32 v8, 0, v8, vcc
	v_cmp_ngt_f32_e32 vcc, s1, v6
	v_fmac_f32_e32 v31, 0x32a5705f, v0
	v_sub_f32_e32 v14, v14, v32
	v_ldexp_f32 v12, v12, v28
	v_cndmask_b32_e32 v11, 0, v11, vcc
	v_cmp_ngt_f32_e32 vcc, s1, v7
	v_add_f32_e32 v14, v14, v31
	v_ldexp_f32 v13, v13, v30
	v_cndmask_b32_e32 v12, 0, v12, vcc
	v_cmp_ngt_f32_e32 vcc, s1, v1
	v_cvt_i32_f32_e32 v32, v32
	v_exp_f32_e32 v14, v14
	v_cndmask_b32_e32 v13, 0, v13, vcc
	v_cmp_nlt_f32_e32 vcc, s2, v5
	v_cndmask_b32_e32 v5, v10, v8, vcc
	v_cmp_nlt_f32_e32 vcc, s2, v6
	;; [unrolled: 2-line block ×4, first 2 shown]
	v_pk_add_f32 v[2:3], v[2:3], v[4:5] op_sel_hi:[1,0] neg_lo:[0,1] neg_hi:[0,1]
	v_ldexp_f32 v14, v14, v32
	v_cndmask_b32_e32 v1, v10, v13, vcc
	v_cmp_ngt_f32_e32 vcc, s1, v0
	v_mul_f32_e32 v12, 0x3fb8aa3b, v3
	v_cndmask_b32_e32 v11, 0, v14, vcc
	v_fma_f32 v13, v3, s0, -v12
	v_rndne_f32_e32 v14, v12
	v_fmac_f32_e32 v13, 0x32a5705f, v3
	v_sub_f32_e32 v12, v12, v14
	v_add_f32_e32 v12, v12, v13
	v_exp_f32_e32 v12, v12
	v_cvt_i32_f32_e32 v13, v14
	v_cmp_nlt_f32_e32 vcc, s2, v0
	v_cndmask_b32_e32 v0, v10, v11, vcc
	v_cmp_ngt_f32_e32 vcc, s1, v3
	v_ldexp_f32 v11, v12, v13
	v_mul_f32_e32 v12, 0x3fb8aa3b, v2
	v_fma_f32 v13, v2, s0, -v12
	v_rndne_f32_e32 v14, v12
	v_fmac_f32_e32 v13, 0x32a5705f, v2
	v_sub_f32_e32 v12, v12, v14
	v_add_f32_e32 v12, v12, v13
	v_exp_f32_e32 v12, v12
	v_cvt_i32_f32_e32 v13, v14
	v_sub_f32_e32 v4, v9, v4
	v_cndmask_b32_e32 v11, 0, v11, vcc
	v_cmp_nlt_f32_e32 vcc, s2, v3
	v_mul_f32_e32 v9, 0x3fb8aa3b, v4
	v_cndmask_b32_e32 v3, v10, v11, vcc
	v_ldexp_f32 v11, v12, v13
	v_fma_f32 v12, v4, s0, -v9
	v_rndne_f32_e32 v13, v9
	v_fmac_f32_e32 v12, 0x32a5705f, v4
	v_sub_f32_e32 v9, v9, v13
	v_add_f32_e32 v9, v9, v12
	v_exp_f32_e32 v9, v9
	v_cvt_i32_f32_e32 v12, v13
	v_add_f32_e32 v8, v5, v6
	v_add_f32_e32 v8, v8, v7
	v_cmp_ngt_f32_e32 vcc, s1, v2
	v_add_f32_e32 v8, v8, v0
	v_cndmask_b32_e32 v11, 0, v11, vcc
	v_cmp_nlt_f32_e32 vcc, s2, v2
	v_add_f32_e32 v8, v8, v1
	v_cndmask_b32_e32 v2, v10, v11, vcc
	v_ldexp_f32 v9, v9, v12
	v_cmp_ngt_f32_e32 vcc, s1, v4
	v_add_f32_e32 v8, v8, v2
	v_cndmask_b32_e32 v9, 0, v9, vcc
	v_cmp_nlt_f32_e32 vcc, s2, v4
	v_add_f32_e32 v8, v8, v3
	v_cndmask_b32_e32 v10, v10, v9, vcc
	v_add_f32_e32 v4, v8, v10
	ds_bpermute_b32 v8, v22, v4
	s_movk_i32 s2, 0x1f8
	v_lshlrev_b32_e32 v28, 3, v21
	s_waitcnt lgkmcnt(0)
	v_add_f32_e32 v4, v4, v8
	ds_bpermute_b32 v8, v23, v4
	s_waitcnt lgkmcnt(0)
	v_add_f32_e32 v4, v4, v8
	ds_bpermute_b32 v8, v24, v4
	;; [unrolled: 3-line block ×5, first 2 shown]
	s_waitcnt lgkmcnt(0)
	v_add_f32_e32 v4, v4, v8
	v_div_scale_f32 v8, s[0:1], v4, v4, 1.0
	v_rcp_f32_e32 v9, v8
	s_load_dwordx2 s[0:1], s[4:5], 0x40
	v_fma_f32 v11, -v8, v9, 1.0
	v_fmac_f32_e32 v9, v11, v9
	v_div_scale_f32 v11, vcc, 1.0, v4, 1.0
	v_mul_f32_e32 v12, v11, v9
	v_fma_f32 v13, -v8, v12, v11
	v_fmac_f32_e32 v12, v13, v9
	v_fma_f32 v8, -v8, v12, v11
	v_div_fmas_f32 v8, v8, v9, v12
	v_div_fixup_f32 v4, v8, v4, 1.0
	v_mul_f32_e32 v5, v4, v5
	v_mul_f32_e32 v11, v4, v6
	v_cmp_class_f32_e64 vcc, v5, s2
	v_mul_f32_e32 v12, v4, v7
	v_pk_mul_f32 v[6:7], v[4:5], v[0:1] op_sel_hi:[0,1]
	v_cndmask_b32_e32 v0, 0, v5, vcc
	v_cmp_class_f32_e64 vcc, v11, s2
	v_pk_mul_f32 v[8:9], v[4:5], v[2:3] op_sel_hi:[0,1]
	v_cndmask_b32_e32 v1, 0, v11, vcc
	v_cmp_class_f32_e64 vcc, v12, s2
	v_mov_b32_e32 v5, 0x207
	v_cndmask_b32_e32 v2, 0, v12, vcc
	v_cmp_class_f32_e32 vcc, v7, v5
	v_mul_f32_e32 v10, v4, v10
	v_cndmask_b32_e64 v4, v7, 0, vcc
	v_cmp_class_f32_e32 vcc, v6, v5
	v_cndmask_b32_e64 v3, v6, 0, vcc
	v_cmp_class_f32_e32 vcc, v9, v5
	;; [unrolled: 2-line block ×3, first 2 shown]
	v_cndmask_b32_e64 v5, v8, 0, vcc
	v_cmp_class_f32_e64 vcc, v10, s2
	s_waitcnt lgkmcnt(0)
	s_cmp_eq_u64 s[0:1], 0
	v_cndmask_b32_e32 v7, 0, v10, vcc
	s_cbranch_scc1 .LBB186_31
; %bb.4:
	v_lshlrev_b32_e32 v16, 2, v28
	global_load_dwordx4 v[8:11], v16, s[0:1]
	global_load_dwordx4 v[12:15], v16, s[0:1] offset:16
	s_waitcnt vmcnt(1)
	v_pk_add_f32 v[8:9], v[8:9], v[0:1]
	v_pk_add_f32 v[10:11], v[10:11], v[2:3]
	s_waitcnt vmcnt(0)
	v_pk_add_f32 v[12:13], v[12:13], v[4:5]
	v_pk_add_f32 v[14:15], v[14:15], v[6:7]
	s_cbranch_execnz .LBB186_6
.LBB186_5:
	v_pk_mov_b32 v[14:15], v[6:7], v[6:7] op_sel:[0,1]
	v_pk_mov_b32 v[12:13], v[4:5], v[4:5] op_sel:[0,1]
	;; [unrolled: 1-line block ×4, first 2 shown]
.LBB186_6:
	s_load_dwordx4 s[8:11], s[4:5], 0x30
	s_mov_b32 s25, 0
	v_cmp_eq_u32_e64 s[0:1], 0, v21
	s_waitcnt lgkmcnt(0)
	s_bitcmp1_b32 s11, 0
	s_cselect_b64 vcc, -1, 0
	s_cmp_gt_i32 s8, 0
	s_cselect_b64 s[20:21], -1, 0
	s_cmp_lt_i32 s8, 1
	s_cbranch_scc1 .LBB186_32
; %bb.7:
	s_load_dwordx4 s[12:15], s[4:5], 0x20
	v_mul_lo_u32 v30, v17, s8
	v_mov_b32_e32 v29, 0
	v_mov_b32_e32 v31, 0x200
	v_mov_b32_e32 v32, 0xc61c4000
	v_mov_b32_e32 v33, v17
	s_branch .LBB186_10
.LBB186_8:                              ;   in Loop: Header=BB186_10 Depth=1
	s_or_b64 exec, exec, s[4:5]
.LBB186_9:                              ;   in Loop: Header=BB186_10 Depth=1
	s_cmp_eq_u32 s8, s25
	v_add_u32_e32 v33, s24, v33
	s_cbranch_scc1 .LBB186_33
.LBB186_10:                             ; =>This Inner Loop Header: Depth=1
	v_cmp_gt_f32_e64 s[2:3], v9, v8
	v_cndmask_b32_e64 v16, v8, v9, s[2:3]
	v_cndmask_b32_e64 v18, v0, v1, s[2:3]
	s_waitcnt lgkmcnt(0)
	v_cndmask_b32_e64 v19, 0, 1, s[2:3]
	v_cmp_gt_f32_e64 s[2:3], v10, v16
	v_cndmask_b32_e64 v16, v16, v10, s[2:3]
	v_cndmask_b32_e64 v18, v18, v2, s[2:3]
	v_cndmask_b32_e64 v19, v19, 2, s[2:3]
	v_cmp_gt_f32_e64 s[2:3], v11, v16
	v_cndmask_b32_e64 v16, v16, v11, s[2:3]
	v_cndmask_b32_e64 v18, v18, v3, s[2:3]
	;; [unrolled: 4-line block ×6, first 2 shown]
	v_or_b32_e32 v19, v28, v19
	ds_bpermute_b32 v20, v22, v16
	ds_bpermute_b32 v34, v22, v19
	v_cndmask_b32_e64 v18, v18, v7, s[2:3]
	ds_bpermute_b32 v36, v22, v18
	s_waitcnt lgkmcnt(0)
	v_cmp_eq_f32_e64 s[4:5], v16, v20
	v_cmp_lt_i32_e64 s[6:7], v34, v19
	v_cmp_lt_f32_e64 s[2:3], v16, v20
	s_and_b64 s[4:5], s[4:5], s[6:7]
	s_or_b64 s[2:3], s[2:3], s[4:5]
	v_cndmask_b32_e64 v35, v19, v34, s[2:3]
	v_cndmask_b32_e64 v34, v16, v20, s[2:3]
	;; [unrolled: 1-line block ×3, first 2 shown]
	ds_bpermute_b32 v37, v23, v34
	ds_bpermute_b32 v20, v23, v16
	;; [unrolled: 1-line block ×3, first 2 shown]
                                        ; implicit-def: $vgpr18_vgpr19
	s_waitcnt lgkmcnt(2)
	v_cmp_lt_f32_e64 s[6:7], v34, v37
	v_cmp_nlt_f32_e64 s[2:3], v34, v37
	s_and_saveexec_b64 s[22:23], s[2:3]
	s_cbranch_execz .LBB186_12
; %bb.11:                               ;   in Loop: Header=BB186_10 Depth=1
	v_cmp_eq_f32_e64 s[2:3], v34, v37
	s_waitcnt lgkmcnt(0)
	v_cmp_lt_i32_e64 s[4:5], v36, v35
	s_and_b64 s[2:3], s[2:3], s[4:5]
	s_andn2_b64 s[4:5], s[6:7], exec
	s_and_b64 s[2:3], s[2:3], exec
	s_or_b64 s[6:7], s[4:5], s[2:3]
	v_pk_mov_b32 v[18:19], v[16:17], v[16:17] op_sel:[0,1]
.LBB186_12:                             ;   in Loop: Header=BB186_10 Depth=1
	s_or_b64 exec, exec, s[22:23]
	s_and_saveexec_b64 s[2:3], s[6:7]
	s_cbranch_execz .LBB186_14
; %bb.13:                               ;   in Loop: Header=BB186_10 Depth=1
	v_mov_b32_e32 v34, v37
	s_waitcnt lgkmcnt(1)
	v_mov_b32_e32 v16, v20
	s_waitcnt lgkmcnt(0)
	v_mov_b32_e32 v35, v36
	v_pk_mov_b32 v[18:19], v[20:21], v[20:21] op_sel:[0,1]
.LBB186_14:                             ;   in Loop: Header=BB186_10 Depth=1
	s_or_b64 exec, exec, s[2:3]
	s_waitcnt lgkmcnt(0)
	ds_bpermute_b32 v36, v24, v34
	ds_bpermute_b32 v20, v24, v16
	ds_bpermute_b32 v19, v24, v35
	s_waitcnt lgkmcnt(2)
	v_cmp_lt_f32_e64 s[6:7], v34, v36
	v_cmp_nlt_f32_e64 s[2:3], v34, v36
	s_and_saveexec_b64 s[22:23], s[2:3]
	s_cbranch_execz .LBB186_16
; %bb.15:                               ;   in Loop: Header=BB186_10 Depth=1
	v_cmp_eq_f32_e64 s[2:3], v34, v36
	s_waitcnt lgkmcnt(0)
	v_cmp_lt_i32_e64 s[4:5], v19, v35
	s_and_b64 s[2:3], s[2:3], s[4:5]
	s_andn2_b64 s[4:5], s[6:7], exec
	s_and_b64 s[2:3], s[2:3], exec
	s_or_b64 s[6:7], s[4:5], s[2:3]
.LBB186_16:                             ;   in Loop: Header=BB186_10 Depth=1
	s_or_b64 exec, exec, s[22:23]
	s_and_saveexec_b64 s[2:3], s[6:7]
	s_cbranch_execz .LBB186_18
; %bb.17:                               ;   in Loop: Header=BB186_10 Depth=1
	v_mov_b32_e32 v34, v36
	s_waitcnt lgkmcnt(1)
	v_mov_b32_e32 v16, v20
	s_waitcnt lgkmcnt(0)
	v_mov_b32_e32 v35, v19
	v_pk_mov_b32 v[18:19], v[20:21], v[20:21] op_sel:[0,1]
.LBB186_18:                             ;   in Loop: Header=BB186_10 Depth=1
	s_or_b64 exec, exec, s[2:3]
	ds_bpermute_b32 v36, v25, v34
	s_waitcnt lgkmcnt(2)
	ds_bpermute_b32 v20, v25, v16
	s_waitcnt lgkmcnt(2)
	;; [unrolled: 2-line block ×3, first 2 shown]
	v_cmp_lt_f32_e64 s[6:7], v34, v36
	v_cmp_nlt_f32_e64 s[2:3], v34, v36
	s_and_saveexec_b64 s[22:23], s[2:3]
	s_cbranch_execz .LBB186_20
; %bb.19:                               ;   in Loop: Header=BB186_10 Depth=1
	v_cmp_eq_f32_e64 s[2:3], v34, v36
	s_waitcnt lgkmcnt(0)
	v_cmp_lt_i32_e64 s[4:5], v19, v35
	s_and_b64 s[2:3], s[2:3], s[4:5]
	s_andn2_b64 s[4:5], s[6:7], exec
	s_and_b64 s[2:3], s[2:3], exec
	s_or_b64 s[6:7], s[4:5], s[2:3]
.LBB186_20:                             ;   in Loop: Header=BB186_10 Depth=1
	s_or_b64 exec, exec, s[22:23]
	s_and_saveexec_b64 s[2:3], s[6:7]
	s_cbranch_execz .LBB186_22
; %bb.21:                               ;   in Loop: Header=BB186_10 Depth=1
	v_mov_b32_e32 v34, v36
	s_waitcnt lgkmcnt(1)
	v_mov_b32_e32 v16, v20
	s_waitcnt lgkmcnt(0)
	v_mov_b32_e32 v35, v19
	v_pk_mov_b32 v[18:19], v[20:21], v[20:21] op_sel:[0,1]
.LBB186_22:                             ;   in Loop: Header=BB186_10 Depth=1
	s_or_b64 exec, exec, s[2:3]
	ds_bpermute_b32 v36, v26, v34
	s_waitcnt lgkmcnt(2)
	ds_bpermute_b32 v20, v26, v16
	s_waitcnt lgkmcnt(2)
	;; [unrolled: 2-line block ×3, first 2 shown]
	v_cmp_lt_f32_e64 s[6:7], v34, v36
	v_cmp_nlt_f32_e64 s[2:3], v34, v36
	s_and_saveexec_b64 s[22:23], s[2:3]
	s_cbranch_execz .LBB186_24
; %bb.23:                               ;   in Loop: Header=BB186_10 Depth=1
	v_cmp_eq_f32_e64 s[2:3], v34, v36
	s_waitcnt lgkmcnt(0)
	v_cmp_lt_i32_e64 s[4:5], v19, v35
	s_and_b64 s[2:3], s[2:3], s[4:5]
	s_andn2_b64 s[4:5], s[6:7], exec
	s_and_b64 s[2:3], s[2:3], exec
	s_or_b64 s[6:7], s[4:5], s[2:3]
.LBB186_24:                             ;   in Loop: Header=BB186_10 Depth=1
	s_or_b64 exec, exec, s[22:23]
	s_and_saveexec_b64 s[2:3], s[6:7]
	s_cbranch_execz .LBB186_26
; %bb.25:                               ;   in Loop: Header=BB186_10 Depth=1
	v_mov_b32_e32 v34, v36
	s_waitcnt lgkmcnt(1)
	v_mov_b32_e32 v16, v20
	s_waitcnt lgkmcnt(0)
	v_mov_b32_e32 v35, v19
	v_pk_mov_b32 v[18:19], v[20:21], v[20:21] op_sel:[0,1]
.LBB186_26:                             ;   in Loop: Header=BB186_10 Depth=1
	s_or_b64 exec, exec, s[2:3]
	s_waitcnt lgkmcnt(1)
	ds_bpermute_b32 v20, v27, v34
	ds_bpermute_b32 v36, v27, v35
	s_waitcnt lgkmcnt(2)
	ds_bpermute_b32 v19, v27, v16
	s_waitcnt lgkmcnt(2)
	v_cmp_eq_f32_e64 s[4:5], v34, v20
	s_waitcnt lgkmcnt(1)
	v_cmp_lt_i32_e64 s[6:7], v36, v35
	v_cmp_lt_f32_e64 s[2:3], v34, v20
	s_and_b64 s[4:5], s[4:5], s[6:7]
	s_or_b64 s[2:3], s[2:3], s[4:5]
	v_cndmask_b32_e64 v16, v35, v36, s[2:3]
	s_and_saveexec_b64 s[6:7], s[0:1]
	s_cbranch_execnz .LBB186_28
; %bb.27:                               ;   in Loop: Header=BB186_10 Depth=1
	s_or_b64 exec, exec, s[6:7]
	s_add_i32 s25, s25, 1
	s_cmp_ge_i32 s25, s8
	s_cbranch_scc1 .LBB186_9
	s_branch .LBB186_29
.LBB186_28:                             ;   in Loop: Header=BB186_10 Depth=1
	s_waitcnt lgkmcnt(0)
	v_cndmask_b32_e64 v20, v18, v19, s[2:3]
	v_add_u32_e32 v18, s25, v30
	v_ashrrev_i32_e32 v19, 31, v18
	v_cmp_le_i32_e64 s[2:3], s9, v16
	v_cmp_gt_i32_e64 s[4:5], s10, v16
	v_lshlrev_b64 v[34:35], 2, v[18:19]
	s_and_b64 s[4:5], s[2:3], s[4:5]
	v_mov_b32_e32 v37, s17
	v_add_co_u32_e64 v36, s[2:3], s16, v34
	v_addc_co_u32_e64 v37, s[2:3], v37, v35, s[2:3]
	global_store_dword v[36:37], v20, off
	v_subrev_u32_e32 v36, s9, v16
	v_ashrrev_i32_e32 v37, 31, v36
	s_and_b64 s[2:3], s[18:19], s[4:5]
	v_lshlrev_b64 v[18:19], 3, v[18:19]
	v_cndmask_b32_e64 v37, 0, v37, s[2:3]
	v_cndmask_b32_e64 v36, v31, v36, s[2:3]
	v_mov_b32_e32 v38, s13
	v_add_co_u32_e64 v18, s[2:3], s12, v18
	v_addc_co_u32_e64 v19, s[2:3], v38, v19, s[2:3]
	global_store_dwordx2 v[18:19], v[36:37], off
	v_mov_b32_e32 v19, s15
	v_add_co_u32_e64 v18, s[2:3], s14, v34
	v_addc_co_u32_e64 v19, s[2:3], v19, v35, s[2:3]
	global_store_dword v[18:19], v33, off
	v_add_f32_e32 v18, v29, v20
	v_cndmask_b32_e32 v29, v29, v18, vcc
	s_or_b64 exec, exec, s[6:7]
	s_add_i32 s25, s25, 1
	s_cmp_ge_i32 s25, s8
	s_cbranch_scc1 .LBB186_9
.LBB186_29:                             ;   in Loop: Header=BB186_10 Depth=1
	s_waitcnt lgkmcnt(0)
	v_ashrrev_i32_e32 v19, 31, v16
	v_lshrrev_b32_e32 v18, 29, v19
	v_add_u32_e32 v20, v16, v18
	v_ashrrev_i32_e32 v18, 3, v20
	v_ashrrev_i32_e32 v20, 31, v20
	v_lshrrev_b32_e32 v20, 26, v20
	v_add_u32_e32 v20, v18, v20
	v_and_b32_e32 v20, 0xffffffc0, v20
	v_sub_u32_e32 v20, v18, v20
	v_cmp_eq_u32_e64 s[2:3], v21, v20
	s_and_saveexec_b64 s[4:5], s[2:3]
	s_cbranch_execz .LBB186_8
; %bb.30:                               ;   in Loop: Header=BB186_10 Depth=1
	v_lshrrev_b32_e32 v19, 23, v19
	v_add_u32_e32 v19, v16, v19
	v_lshlrev_b32_e32 v18, 3, v18
	v_ashrrev_i32_e32 v19, 9, v19
	v_sub_u32_e32 v16, v16, v18
	v_lshl_add_u32 v16, v19, 3, v16
	v_cmp_ne_u32_e64 s[2:3], 7, v16
	v_cndmask_b32_e64 v15, v32, v15, s[2:3]
	v_cmp_ne_u32_e64 s[2:3], 6, v16
	v_cndmask_b32_e64 v14, v32, v14, s[2:3]
	;; [unrolled: 2-line block ×8, first 2 shown]
	s_branch .LBB186_8
.LBB186_31:
                                        ; implicit-def: $vgpr8_vgpr9_vgpr10_vgpr11_vgpr12_vgpr13_vgpr14_vgpr15
	s_andn2_b64 vcc, exec, s[6:7]
	s_cbranch_vccz .LBB186_5
	s_branch .LBB186_6
.LBB186_32:
	v_mov_b32_e32 v29, 0
.LBB186_33:
	v_cmp_eq_u32_e64 s[0:1], 0, v21
	s_and_b64 s[0:1], s[0:1], vcc
	s_and_b64 exec, exec, s[0:1]
	s_cbranch_execz .LBB186_42
; %bb.34:
	s_andn2_b64 vcc, exec, s[20:21]
	s_cbranch_vccnz .LBB186_42
; %bb.35:
	v_cmp_lt_f32_e32 vcc, 0, v29
	s_mov_b32 s2, 0
	v_cndmask_b32_e32 v0, 1.0, v29, vcc
	v_mul_lo_u32 v4, v17, s8
	s_cmp_eq_u32 s8, 1
	s_mov_b64 s[0:1], -1
	s_cbranch_scc1 .LBB186_39
; %bb.36:
	s_and_b32 s2, s8, 0x7ffffffe
	v_mov_b32_e32 v1, v0
	v_mov_b32_e32 v5, s17
	s_mov_b32 s3, s2
	v_mov_b32_e32 v2, v4
.LBB186_37:                             ; =>This Inner Loop Header: Depth=1
	v_ashrrev_i32_e32 v3, 31, v2
	v_lshlrev_b64 v[6:7], 2, v[2:3]
	v_add_co_u32_e32 v6, vcc, s16, v6
	v_addc_co_u32_e32 v7, vcc, v5, v7, vcc
	global_load_dwordx2 v[8:9], v[6:7], off
	s_add_i32 s3, s3, -2
	s_cmp_lg_u32 s3, 0
	v_add_u32_e32 v2, 2, v2
	s_waitcnt vmcnt(0)
	v_div_scale_f32 v3, s[0:1], v1, v1, v9
	v_div_scale_f32 v11, s[0:1], v0, v0, v8
	v_rcp_f32_e32 v12, v3
	v_rcp_f32_e32 v13, v11
	v_div_scale_f32 v10, vcc, v9, v1, v9
	v_fma_f32 v15, -v3, v12, 1.0
	v_fma_f32 v16, -v11, v13, 1.0
	v_fmac_f32_e32 v12, v15, v12
	v_div_scale_f32 v14, s[0:1], v8, v0, v8
	v_fmac_f32_e32 v13, v16, v13
	v_mul_f32_e32 v15, v10, v12
	v_mul_f32_e32 v16, v14, v13
	v_fma_f32 v17, -v3, v15, v10
	v_fma_f32 v18, -v11, v16, v14
	v_fmac_f32_e32 v15, v17, v12
	v_fmac_f32_e32 v16, v18, v13
	v_fma_f32 v3, -v3, v15, v10
	v_fma_f32 v10, -v11, v16, v14
	v_div_fmas_f32 v3, v3, v12, v15
	s_mov_b64 vcc, s[0:1]
	v_div_fixup_f32 v9, v3, v1, v9
	v_div_fmas_f32 v3, v10, v13, v16
	v_div_fixup_f32 v8, v3, v0, v8
	global_store_dwordx2 v[6:7], v[8:9], off
	s_cbranch_scc1 .LBB186_37
; %bb.38:
	s_cmp_lg_u32 s2, s8
	s_cselect_b64 s[0:1], -1, 0
.LBB186_39:
	s_and_b64 vcc, exec, s[0:1]
	s_cbranch_vccz .LBB186_42
; %bb.40:
	v_ashrrev_i32_e32 v1, 31, v4
	v_add_co_u32_e32 v2, vcc, s2, v4
	v_addc_co_u32_e32 v3, vcc, 0, v1, vcc
	v_lshlrev_b64 v[2:3], 2, v[2:3]
	v_mov_b32_e32 v1, s17
	v_add_co_u32_e32 v2, vcc, s16, v2
	s_sub_i32 s0, s8, s2
	v_addc_co_u32_e32 v3, vcc, v1, v3, vcc
.LBB186_41:                             ; =>This Inner Loop Header: Depth=1
	global_load_dword v1, v[2:3], off
	s_add_i32 s0, s0, -1
	s_cmp_lg_u32 s0, 0
	s_waitcnt vmcnt(0)
	v_div_scale_f32 v4, s[2:3], v0, v0, v1
	v_rcp_f32_e32 v5, v4
	v_div_scale_f32 v6, vcc, v1, v0, v1
	v_fma_f32 v7, -v4, v5, 1.0
	v_fmac_f32_e32 v5, v7, v5
	v_mul_f32_e32 v7, v6, v5
	v_fma_f32 v8, -v4, v7, v6
	v_fmac_f32_e32 v7, v8, v5
	v_fma_f32 v4, -v4, v7, v6
	v_div_fmas_f32 v4, v4, v5, v7
	v_div_fixup_f32 v1, v4, v0, v1
	global_store_dword v[2:3], v1, off
	v_add_co_u32_e32 v2, vcc, 4, v2
	v_addc_co_u32_e32 v3, vcc, 0, v3, vcc
	s_cbranch_scc1 .LBB186_41
.LBB186_42:
	s_endpgm
	.section	.rodata,"a",@progbits
	.p2align	6, 0x0
	.amdhsa_kernel _ZN4vllm3moe10topkGatingILi8ELi512ELi4ELi16ELi64El14__hip_bfloat16LNS0_11ScoringFuncE0EEEvPKT5_PKbPfiPT4_PiiiibPKf
		.amdhsa_group_segment_fixed_size 0
		.amdhsa_private_segment_fixed_size 0
		.amdhsa_kernarg_size 72
		.amdhsa_user_sgpr_count 6
		.amdhsa_user_sgpr_private_segment_buffer 1
		.amdhsa_user_sgpr_dispatch_ptr 0
		.amdhsa_user_sgpr_queue_ptr 0
		.amdhsa_user_sgpr_kernarg_segment_ptr 1
		.amdhsa_user_sgpr_dispatch_id 0
		.amdhsa_user_sgpr_flat_scratch_init 0
		.amdhsa_user_sgpr_kernarg_preload_length 0
		.amdhsa_user_sgpr_kernarg_preload_offset 0
		.amdhsa_user_sgpr_private_segment_size 0
		.amdhsa_uses_dynamic_stack 0
		.amdhsa_system_sgpr_private_segment_wavefront_offset 0
		.amdhsa_system_sgpr_workgroup_id_x 1
		.amdhsa_system_sgpr_workgroup_id_y 0
		.amdhsa_system_sgpr_workgroup_id_z 0
		.amdhsa_system_sgpr_workgroup_info 0
		.amdhsa_system_vgpr_workitem_id 1
		.amdhsa_next_free_vgpr 39
		.amdhsa_next_free_sgpr 26
		.amdhsa_accum_offset 40
		.amdhsa_reserve_vcc 1
		.amdhsa_reserve_flat_scratch 0
		.amdhsa_float_round_mode_32 0
		.amdhsa_float_round_mode_16_64 0
		.amdhsa_float_denorm_mode_32 3
		.amdhsa_float_denorm_mode_16_64 3
		.amdhsa_dx10_clamp 1
		.amdhsa_ieee_mode 1
		.amdhsa_fp16_overflow 0
		.amdhsa_tg_split 0
		.amdhsa_exception_fp_ieee_invalid_op 0
		.amdhsa_exception_fp_denorm_src 0
		.amdhsa_exception_fp_ieee_div_zero 0
		.amdhsa_exception_fp_ieee_overflow 0
		.amdhsa_exception_fp_ieee_underflow 0
		.amdhsa_exception_fp_ieee_inexact 0
		.amdhsa_exception_int_div_zero 0
	.end_amdhsa_kernel
	.section	.text._ZN4vllm3moe10topkGatingILi8ELi512ELi4ELi16ELi64El14__hip_bfloat16LNS0_11ScoringFuncE0EEEvPKT5_PKbPfiPT4_PiiiibPKf,"axG",@progbits,_ZN4vllm3moe10topkGatingILi8ELi512ELi4ELi16ELi64El14__hip_bfloat16LNS0_11ScoringFuncE0EEEvPKT5_PKbPfiPT4_PiiiibPKf,comdat
.Lfunc_end186:
	.size	_ZN4vllm3moe10topkGatingILi8ELi512ELi4ELi16ELi64El14__hip_bfloat16LNS0_11ScoringFuncE0EEEvPKT5_PKbPfiPT4_PiiiibPKf, .Lfunc_end186-_ZN4vllm3moe10topkGatingILi8ELi512ELi4ELi16ELi64El14__hip_bfloat16LNS0_11ScoringFuncE0EEEvPKT5_PKbPfiPT4_PiiiibPKf
                                        ; -- End function
	.section	.AMDGPU.csdata,"",@progbits
; Kernel info:
; codeLenInByte = 3552
; NumSgprs: 30
; NumVgprs: 39
; NumAgprs: 0
; TotalNumVgprs: 39
; ScratchSize: 0
; MemoryBound: 0
; FloatMode: 240
; IeeeMode: 1
; LDSByteSize: 0 bytes/workgroup (compile time only)
; SGPRBlocks: 3
; VGPRBlocks: 4
; NumSGPRsForWavesPerEU: 30
; NumVGPRsForWavesPerEU: 39
; AccumOffset: 40
; Occupancy: 8
; WaveLimiterHint : 0
; COMPUTE_PGM_RSRC2:SCRATCH_EN: 0
; COMPUTE_PGM_RSRC2:USER_SGPR: 6
; COMPUTE_PGM_RSRC2:TRAP_HANDLER: 0
; COMPUTE_PGM_RSRC2:TGID_X_EN: 1
; COMPUTE_PGM_RSRC2:TGID_Y_EN: 0
; COMPUTE_PGM_RSRC2:TGID_Z_EN: 0
; COMPUTE_PGM_RSRC2:TIDIG_COMP_CNT: 1
; COMPUTE_PGM_RSRC3_GFX90A:ACCUM_OFFSET: 9
; COMPUTE_PGM_RSRC3_GFX90A:TG_SPLIT: 0
	.section	.text._ZN4vllm3moe10topkGatingILi16ELi512ELi4ELi16ELi32El14__hip_bfloat16LNS0_11ScoringFuncE0EEEvPKT5_PKbPfiPT4_PiiiibPKf,"axG",@progbits,_ZN4vllm3moe10topkGatingILi16ELi512ELi4ELi16ELi32El14__hip_bfloat16LNS0_11ScoringFuncE0EEEvPKT5_PKbPfiPT4_PiiiibPKf,comdat
	.protected	_ZN4vllm3moe10topkGatingILi16ELi512ELi4ELi16ELi32El14__hip_bfloat16LNS0_11ScoringFuncE0EEEvPKT5_PKbPfiPT4_PiiiibPKf ; -- Begin function _ZN4vllm3moe10topkGatingILi16ELi512ELi4ELi16ELi32El14__hip_bfloat16LNS0_11ScoringFuncE0EEEvPKT5_PKbPfiPT4_PiiiibPKf
	.globl	_ZN4vllm3moe10topkGatingILi16ELi512ELi4ELi16ELi32El14__hip_bfloat16LNS0_11ScoringFuncE0EEEvPKT5_PKbPfiPT4_PiiiibPKf
	.p2align	8
	.type	_ZN4vllm3moe10topkGatingILi16ELi512ELi4ELi16ELi32El14__hip_bfloat16LNS0_11ScoringFuncE0EEEvPKT5_PKbPfiPT4_PiiiibPKf,@function
_ZN4vllm3moe10topkGatingILi16ELi512ELi4ELi16ELi32El14__hip_bfloat16LNS0_11ScoringFuncE0EEEvPKT5_PKbPfiPT4_PiiiibPKf: ; @_ZN4vllm3moe10topkGatingILi16ELi512ELi4ELi16ELi32El14__hip_bfloat16LNS0_11ScoringFuncE0EEEvPKT5_PKbPfiPT4_PiiiibPKf
; %bb.0:
	s_load_dword s24, s[4:5], 0x18
	v_and_b32_e32 v1, 0x3ff, v0
	s_lshl_b32 s0, s6, 2
	v_lshrrev_b32_e32 v2, 5, v1
	v_bfe_u32 v0, v0, 10, 10
	v_add3_u32 v33, s0, v0, v2
	s_waitcnt lgkmcnt(0)
	v_cmp_gt_i32_e32 vcc, s24, v33
	s_and_saveexec_b64 s[0:1], vcc
	s_cbranch_execz .LBB187_38
; %bb.1:
	s_load_dwordx4 s[0:3], s[4:5], 0x0
	s_load_dwordx2 s[16:17], s[4:5], 0x10
	s_mov_b64 s[6:7], -1
	s_mov_b64 s[18:19], -1
	s_waitcnt lgkmcnt(0)
	s_cmp_eq_u64 s[2:3], 0
	s_cbranch_scc1 .LBB187_3
; %bb.2:
	v_ashrrev_i32_e32 v0, 31, v33
	v_mov_b32_e32 v3, s3
	v_add_co_u32_e32 v2, vcc, s2, v33
	v_addc_co_u32_e32 v3, vcc, v3, v0, vcc
	global_load_ubyte v0, v[2:3], off
	s_waitcnt vmcnt(0)
	v_and_b32_e32 v0, 1, v0
	v_cmp_eq_u32_e32 vcc, 1, v0
	s_xor_b64 s[2:3], vcc, -1
	s_orn2_b64 s[18:19], s[2:3], exec
.LBB187_3:
	v_lshlrev_b32_e32 v2, 9, v33
	v_ashrrev_i32_e32 v3, 31, v2
	v_lshlrev_b64 v[2:3], 1, v[2:3]
	v_mov_b32_e32 v0, s1
	v_add_co_u32_e32 v2, vcc, s0, v2
	v_and_b32_e32 v37, 31, v1
	v_addc_co_u32_e32 v0, vcc, v0, v3, vcc
	v_lshlrev_b32_e32 v1, 4, v37
	v_add_co_u32_e32 v8, vcc, v2, v1
	v_addc_co_u32_e32 v9, vcc, 0, v0, vcc
	global_load_dwordx4 v[0:3], v[8:9], off
	global_load_dwordx4 v[4:7], v[8:9], off offset:512
	v_mbcnt_lo_u32_b32 v8, -1, 0
	v_mbcnt_hi_u32_b32 v14, -1, v8
	v_and_b32_e32 v8, 0x60, v14
	v_xor_b32_e32 v9, 16, v14
	v_add_u32_e32 v15, 32, v8
	v_cmp_lt_i32_e32 vcc, v9, v15
	v_cndmask_b32_e32 v8, v14, v9, vcc
	v_lshlrev_b32_e32 v38, 2, v8
	s_mov_b32 s2, 0x3fb8aa3b
	s_mov_b32 s0, 0xc2ce8ed0
	;; [unrolled: 1-line block ×3, first 2 shown]
	v_lshlrev_b32_e32 v43, 3, v37
	s_waitcnt vmcnt(1)
	v_lshlrev_b32_e32 v16, 16, v0
	v_and_b32_e32 v17, 0xffff0000, v0
	s_waitcnt vmcnt(0)
	v_and_b32_e32 v19, 0xffff0000, v4
	v_lshlrev_b32_e32 v9, 16, v2
	v_and_b32_e32 v10, 0xffff0000, v2
	v_lshlrev_b32_e32 v11, 16, v3
	v_lshlrev_b32_e32 v13, 16, v4
	v_and_b32_e32 v12, 0xffff0000, v3
	v_and_b32_e32 v3, 0xffff0000, v6
	v_lshlrev_b32_e32 v2, 16, v6
	v_max_f32_e32 v4, v17, v17
	v_max_f32_e32 v6, v16, v16
	v_lshlrev_b32_e32 v18, 16, v1
	v_and_b32_e32 v8, 0xffff0000, v1
	v_max_f32_e32 v4, v6, v4
	v_max3_f32 v4, v4, v18, v8
	v_max3_f32 v4, v4, v9, v10
	;; [unrolled: 1-line block ×3, first 2 shown]
	v_lshlrev_b32_e32 v20, 16, v5
	v_and_b32_e32 v5, 0xffff0000, v5
	v_max3_f32 v4, v4, v13, v19
	v_max3_f32 v4, v4, v20, v5
	v_and_b32_e32 v1, 0xffff0000, v7
	v_lshlrev_b32_e32 v0, 16, v7
	v_max3_f32 v4, v4, v2, v3
	v_max3_f32 v4, v4, v0, v1
	ds_bpermute_b32 v6, v38, v4
	v_xor_b32_e32 v7, 8, v14
	v_cmp_lt_i32_e32 vcc, v7, v15
	v_cndmask_b32_e32 v7, v14, v7, vcc
	v_lshlrev_b32_e32 v39, 2, v7
	s_waitcnt lgkmcnt(0)
	v_max_f32_e32 v6, v6, v6
	v_max_f32_e32 v4, v4, v6
	ds_bpermute_b32 v6, v39, v4
	v_xor_b32_e32 v7, 4, v14
	v_cmp_lt_i32_e32 vcc, v7, v15
	v_cndmask_b32_e32 v7, v14, v7, vcc
	v_lshlrev_b32_e32 v40, 2, v7
	s_waitcnt lgkmcnt(0)
	v_max_f32_e32 v6, v6, v6
	v_max_f32_e32 v4, v4, v6
	;; [unrolled: 8-line block ×4, first 2 shown]
	ds_bpermute_b32 v6, v42, v4
	v_mov_b32_e32 v14, 0x7f800000
	s_waitcnt lgkmcnt(0)
	v_max_f32_e32 v6, v6, v6
	v_max_f32_e32 v4, v4, v6
	v_sub_f32_e32 v15, v16, v4
	v_sub_f32_e32 v16, v17, v4
	v_pk_add_f32 v[6:7], v[8:9], v[4:5] op_sel_hi:[1,0] neg_lo:[0,1] neg_hi:[0,1]
	v_mul_f32_e32 v8, 0x3fb8aa3b, v15
	v_sub_f32_e32 v17, v18, v4
	v_mul_f32_e32 v9, 0x3fb8aa3b, v16
	v_fma_f32 v23, v15, s2, -v8
	v_rndne_f32_e32 v24, v8
	v_mul_f32_e32 v18, 0x3fb8aa3b, v17
	v_fma_f32 v25, v16, s2, -v9
	v_rndne_f32_e32 v26, v9
	v_fmac_f32_e32 v23, 0x32a5705f, v15
	v_sub_f32_e32 v8, v8, v24
	v_fma_f32 v27, v17, s2, -v18
	v_rndne_f32_e32 v28, v18
	v_fmac_f32_e32 v25, 0x32a5705f, v16
	v_sub_f32_e32 v9, v9, v26
	v_add_f32_e32 v8, v8, v23
	v_cvt_i32_f32_e32 v24, v24
	v_fmac_f32_e32 v27, 0x32a5705f, v17
	v_sub_f32_e32 v18, v18, v28
	v_add_f32_e32 v9, v9, v25
	v_exp_f32_e32 v8, v8
	v_cvt_i32_f32_e32 v26, v26
	v_add_f32_e32 v18, v18, v27
	v_exp_f32_e32 v9, v9
	v_cvt_i32_f32_e32 v28, v28
	v_exp_f32_e32 v18, v18
	v_ldexp_f32 v8, v8, v24
	v_cmp_ngt_f32_e32 vcc, s0, v15
	v_ldexp_f32 v9, v9, v26
	v_cndmask_b32_e32 v8, 0, v8, vcc
	v_cmp_ngt_f32_e32 vcc, s0, v16
	v_mul_f32_e32 v21, 0x3fb8aa3b, v7
	v_ldexp_f32 v18, v18, v28
	v_cndmask_b32_e32 v9, 0, v9, vcc
	v_cmp_ngt_f32_e32 vcc, s0, v17
	v_fma_f32 v29, v7, s2, -v21
	v_rndne_f32_e32 v30, v21
	v_cndmask_b32_e32 v18, 0, v18, vcc
	v_cmp_nlt_f32_e32 vcc, s1, v15
	v_mul_f32_e32 v22, 0x3fb8aa3b, v6
	v_fmac_f32_e32 v29, 0x32a5705f, v7
	v_sub_f32_e32 v21, v21, v30
	v_cndmask_b32_e32 v15, v14, v8, vcc
	v_cmp_nlt_f32_e32 vcc, s1, v16
	v_fma_f32 v31, v6, s2, -v22
	v_rndne_f32_e32 v32, v22
	v_add_f32_e32 v21, v21, v29
	v_cndmask_b32_e32 v16, v14, v9, vcc
	v_cmp_nlt_f32_e32 vcc, s1, v17
	v_cvt_i32_f32_e32 v30, v30
	v_fmac_f32_e32 v31, 0x32a5705f, v6
	v_sub_f32_e32 v22, v22, v32
	v_exp_f32_e32 v21, v21
	v_cndmask_b32_e32 v17, v14, v18, vcc
	v_add_f32_e32 v8, v15, v16
	v_add_f32_e32 v18, v8, v17
	;; [unrolled: 1-line block ×3, first 2 shown]
	v_exp_f32_e32 v8, v8
	v_cvt_i32_f32_e32 v9, v32
	v_ldexp_f32 v21, v21, v30
	v_cmp_ngt_f32_e32 vcc, s0, v7
	v_cndmask_b32_e32 v21, 0, v21, vcc
	v_cmp_nlt_f32_e32 vcc, s1, v7
	v_cndmask_b32_e32 v7, v14, v21, vcc
	v_ldexp_f32 v8, v8, v9
	v_cmp_ngt_f32_e32 vcc, s0, v6
	v_cndmask_b32_e32 v21, 0, v8, vcc
	v_pk_add_f32 v[8:9], v[10:11], v[4:5] op_sel_hi:[1,0] neg_lo:[0,1] neg_hi:[0,1]
	v_mul_f32_e32 v10, 0x3fb8aa3b, v9
	v_fma_f32 v11, v9, s2, -v10
	v_rndne_f32_e32 v22, v10
	v_fmac_f32_e32 v11, 0x32a5705f, v9
	v_sub_f32_e32 v10, v10, v22
	v_add_f32_e32 v10, v10, v11
	v_exp_f32_e32 v10, v10
	v_cvt_i32_f32_e32 v11, v22
	v_cmp_nlt_f32_e32 vcc, s1, v6
	v_cndmask_b32_e32 v6, v14, v21, vcc
	v_cmp_ngt_f32_e32 vcc, s0, v9
	v_ldexp_f32 v10, v10, v11
	v_mul_f32_e32 v11, 0x3fb8aa3b, v8
	v_fma_f32 v21, v8, s2, -v11
	v_rndne_f32_e32 v22, v11
	v_fmac_f32_e32 v21, 0x32a5705f, v8
	v_sub_f32_e32 v11, v11, v22
	v_add_f32_e32 v11, v11, v21
	v_exp_f32_e32 v11, v11
	v_cvt_i32_f32_e32 v21, v22
	v_cndmask_b32_e32 v10, 0, v10, vcc
	v_cmp_nlt_f32_e32 vcc, s1, v9
	v_cndmask_b32_e32 v9, v14, v10, vcc
	v_ldexp_f32 v10, v11, v21
	v_cmp_ngt_f32_e32 vcc, s0, v8
	v_cndmask_b32_e32 v21, 0, v10, vcc
	v_pk_add_f32 v[10:11], v[12:13], v[4:5] op_sel_hi:[1,0] neg_lo:[0,1] neg_hi:[0,1]
	v_mul_f32_e32 v12, 0x3fb8aa3b, v11
	v_fma_f32 v13, v11, s2, -v12
	v_rndne_f32_e32 v22, v12
	v_fmac_f32_e32 v13, 0x32a5705f, v11
	v_sub_f32_e32 v12, v12, v22
	v_add_f32_e32 v12, v12, v13
	v_exp_f32_e32 v12, v12
	v_cvt_i32_f32_e32 v13, v22
	v_cmp_nlt_f32_e32 vcc, s1, v8
	v_cndmask_b32_e32 v8, v14, v21, vcc
	v_cmp_ngt_f32_e32 vcc, s0, v11
	v_ldexp_f32 v12, v12, v13
	v_mul_f32_e32 v13, 0x3fb8aa3b, v10
	v_fma_f32 v21, v10, s2, -v13
	v_rndne_f32_e32 v22, v13
	v_fmac_f32_e32 v21, 0x32a5705f, v10
	v_sub_f32_e32 v13, v13, v22
	v_add_f32_e32 v13, v13, v21
	v_exp_f32_e32 v13, v13
	v_cvt_i32_f32_e32 v21, v22
	v_cndmask_b32_e32 v12, 0, v12, vcc
	v_cmp_nlt_f32_e32 vcc, s1, v11
	v_cndmask_b32_e32 v11, v14, v12, vcc
	v_ldexp_f32 v12, v13, v21
	v_sub_f32_e32 v13, v19, v4
	v_mul_f32_e32 v19, 0x3fb8aa3b, v13
	v_fma_f32 v21, v13, s2, -v19
	v_rndne_f32_e32 v22, v19
	v_fmac_f32_e32 v21, 0x32a5705f, v13
	v_sub_f32_e32 v19, v19, v22
	v_add_f32_e32 v19, v19, v21
	v_add_f32_e32 v18, v18, v6
	v_exp_f32_e32 v19, v19
	v_cvt_i32_f32_e32 v21, v22
	v_add_f32_e32 v18, v18, v7
	v_cmp_ngt_f32_e32 vcc, s0, v10
	v_add_f32_e32 v18, v18, v8
	v_cndmask_b32_e32 v12, 0, v12, vcc
	v_cmp_nlt_f32_e32 vcc, s1, v10
	v_add_f32_e32 v18, v18, v9
	v_cndmask_b32_e32 v10, v14, v12, vcc
	v_add_f32_e32 v12, v18, v10
	v_ldexp_f32 v18, v19, v21
	v_sub_f32_e32 v19, v20, v4
	v_mul_f32_e32 v20, 0x3fb8aa3b, v19
	v_fma_f32 v21, v19, s2, -v20
	v_rndne_f32_e32 v22, v20
	v_fmac_f32_e32 v21, 0x32a5705f, v19
	v_sub_f32_e32 v20, v20, v22
	v_add_f32_e32 v20, v20, v21
	v_exp_f32_e32 v20, v20
	v_cvt_i32_f32_e32 v21, v22
	v_cmp_ngt_f32_e32 vcc, s0, v13
	v_cndmask_b32_e32 v18, 0, v18, vcc
	v_cmp_nlt_f32_e32 vcc, s1, v13
	v_sub_f32_e32 v5, v5, v4
	v_cndmask_b32_e32 v13, v14, v18, vcc
	v_ldexp_f32 v18, v20, v21
	v_mul_f32_e32 v20, 0x3fb8aa3b, v5
	v_fma_f32 v21, v5, s2, -v20
	v_rndne_f32_e32 v22, v20
	v_fmac_f32_e32 v21, 0x32a5705f, v5
	v_sub_f32_e32 v20, v20, v22
	v_add_f32_e32 v20, v20, v21
	v_exp_f32_e32 v20, v20
	v_cvt_i32_f32_e32 v21, v22
	v_cmp_ngt_f32_e32 vcc, s0, v19
	v_pk_add_f32 v[2:3], v[2:3], v[4:5] op_sel_hi:[1,0] neg_lo:[0,1] neg_hi:[0,1]
	v_cndmask_b32_e32 v18, 0, v18, vcc
	v_cmp_nlt_f32_e32 vcc, s1, v19
	v_ldexp_f32 v19, v20, v21
	v_mul_f32_e32 v20, 0x3fb8aa3b, v3
	v_fma_f32 v21, v3, s2, -v20
	v_rndne_f32_e32 v22, v20
	v_fmac_f32_e32 v21, 0x32a5705f, v3
	v_sub_f32_e32 v20, v20, v22
	v_add_f32_e32 v20, v20, v21
	v_exp_f32_e32 v20, v20
	v_cvt_i32_f32_e32 v21, v22
	v_cndmask_b32_e32 v18, v14, v18, vcc
	v_cmp_ngt_f32_e32 vcc, s0, v5
	v_cndmask_b32_e32 v19, 0, v19, vcc
	v_cmp_nlt_f32_e32 vcc, s1, v5
	v_cndmask_b32_e32 v5, v14, v19, vcc
	v_ldexp_f32 v19, v20, v21
	v_mul_f32_e32 v20, 0x3fb8aa3b, v2
	v_fma_f32 v21, v2, s2, -v20
	v_rndne_f32_e32 v22, v20
	v_fmac_f32_e32 v21, 0x32a5705f, v2
	v_sub_f32_e32 v20, v20, v22
	v_add_f32_e32 v20, v20, v21
	v_exp_f32_e32 v20, v20
	v_cvt_i32_f32_e32 v21, v22
	v_cmp_ngt_f32_e32 vcc, s0, v3
	v_pk_add_f32 v[0:1], v[0:1], v[4:5] op_sel_hi:[1,0] neg_lo:[0,1] neg_hi:[0,1]
	v_cndmask_b32_e32 v19, 0, v19, vcc
	v_cmp_nlt_f32_e32 vcc, s1, v3
	v_mul_f32_e32 v4, 0x3fb8aa3b, v1
	v_cndmask_b32_e32 v3, v14, v19, vcc
	v_ldexp_f32 v19, v20, v21
	v_fma_f32 v20, v1, s2, -v4
	v_rndne_f32_e32 v21, v4
	v_fmac_f32_e32 v20, 0x32a5705f, v1
	v_sub_f32_e32 v4, v4, v21
	v_add_f32_e32 v4, v4, v20
	v_exp_f32_e32 v4, v4
	v_cvt_i32_f32_e32 v20, v21
	v_cmp_ngt_f32_e32 vcc, s0, v2
	v_cndmask_b32_e32 v19, 0, v19, vcc
	v_cmp_nlt_f32_e32 vcc, s1, v2
	v_cndmask_b32_e32 v2, v14, v19, vcc
	v_mul_f32_e32 v19, 0x3fb8aa3b, v0
	v_ldexp_f32 v4, v4, v20
	v_fma_f32 v20, v0, s2, -v19
	v_rndne_f32_e32 v21, v19
	v_fmac_f32_e32 v20, 0x32a5705f, v0
	v_sub_f32_e32 v19, v19, v21
	v_add_f32_e32 v19, v19, v20
	v_exp_f32_e32 v19, v19
	v_cvt_i32_f32_e32 v20, v21
	v_add_f32_e32 v12, v12, v11
	v_add_f32_e32 v12, v12, v13
	v_cmp_ngt_f32_e32 vcc, s0, v1
	v_add_f32_e32 v12, v12, v18
	v_cndmask_b32_e32 v4, 0, v4, vcc
	v_cmp_nlt_f32_e32 vcc, s1, v1
	v_add_f32_e32 v12, v12, v5
	v_cndmask_b32_e32 v1, v14, v4, vcc
	v_ldexp_f32 v4, v19, v20
	v_cmp_ngt_f32_e32 vcc, s0, v0
	v_add_f32_e32 v12, v12, v2
	v_cndmask_b32_e32 v4, 0, v4, vcc
	v_cmp_nlt_f32_e32 vcc, s1, v0
	v_add_f32_e32 v12, v12, v3
	v_cndmask_b32_e32 v0, v14, v4, vcc
	v_add_f32_e32 v4, v12, v0
	v_add_f32_e32 v4, v4, v1
	ds_bpermute_b32 v12, v38, v4
	s_movk_i32 s2, 0x1f8
	s_waitcnt lgkmcnt(0)
	v_add_f32_e32 v4, v4, v12
	ds_bpermute_b32 v12, v39, v4
	s_waitcnt lgkmcnt(0)
	v_add_f32_e32 v4, v4, v12
	ds_bpermute_b32 v12, v40, v4
	;; [unrolled: 3-line block ×4, first 2 shown]
	s_waitcnt lgkmcnt(0)
	v_add_f32_e32 v4, v4, v12
	v_div_scale_f32 v12, s[0:1], v4, v4, 1.0
	v_rcp_f32_e32 v14, v12
	s_load_dwordx2 s[0:1], s[4:5], 0x40
	v_fma_f32 v19, -v12, v14, 1.0
	v_fmac_f32_e32 v14, v19, v14
	v_div_scale_f32 v19, vcc, 1.0, v4, 1.0
	v_mul_f32_e32 v20, v19, v14
	v_fma_f32 v21, -v12, v20, v19
	v_fmac_f32_e32 v20, v21, v14
	v_fma_f32 v12, -v12, v20, v19
	v_div_fmas_f32 v12, v12, v14, v20
	v_div_fixup_f32 v4, v12, v4, 1.0
	v_mul_f32_e32 v19, v4, v15
	v_mul_f32_e32 v16, v4, v16
	v_cmp_class_f32_e64 vcc, v19, s2
	v_mul_f32_e32 v17, v4, v17
	v_pk_mul_f32 v[14:15], v[4:5], v[0:1] op_sel_hi:[0,1]
	v_cndmask_b32_e32 v0, 0, v19, vcc
	v_cmp_class_f32_e64 vcc, v16, s2
	v_pk_mul_f32 v[6:7], v[4:5], v[6:7] op_sel_hi:[0,1]
	v_cndmask_b32_e32 v1, 0, v16, vcc
	v_cmp_class_f32_e64 vcc, v17, s2
	v_mov_b32_e32 v16, 0x207
	v_mul_f32_e32 v20, v4, v13
	v_pk_mul_f32 v[12:13], v[4:5], v[2:3] op_sel_hi:[0,1]
	v_cndmask_b32_e32 v2, 0, v17, vcc
	v_cmp_class_f32_e32 vcc, v7, v16
	v_pk_mul_f32 v[8:9], v[4:5], v[8:9] op_sel_hi:[0,1]
	v_pk_mul_f32 v[10:11], v[4:5], v[10:11] op_sel_hi:[0,1]
	v_mul_f32_e32 v18, v4, v18
	v_mul_f32_e32 v21, v4, v5
	v_cndmask_b32_e64 v4, v7, 0, vcc
	v_cmp_class_f32_e32 vcc, v6, v16
	v_cndmask_b32_e64 v3, v6, 0, vcc
	v_cmp_class_f32_e32 vcc, v9, v16
	;; [unrolled: 2-line block ×5, first 2 shown]
	v_cndmask_b32_e64 v7, v10, 0, vcc
	v_cmp_class_f32_e64 vcc, v20, s2
	v_cndmask_b32_e32 v9, 0, v20, vcc
	v_cmp_class_f32_e64 vcc, v18, s2
	v_cndmask_b32_e32 v10, 0, v18, vcc
	;; [unrolled: 2-line block ×3, first 2 shown]
	v_cmp_class_f32_e32 vcc, v13, v16
	v_cndmask_b32_e64 v13, v13, 0, vcc
	v_cmp_class_f32_e32 vcc, v12, v16
	v_cndmask_b32_e64 v12, v12, 0, vcc
	;; [unrolled: 2-line block ×3, first 2 shown]
	v_cmp_class_f32_e32 vcc, v14, v16
	s_waitcnt lgkmcnt(0)
	s_cmp_eq_u64 s[0:1], 0
	v_cndmask_b32_e64 v14, v14, 0, vcc
	s_cbranch_scc1 .LBB187_27
; %bb.4:
	v_lshlrev_b32_e32 v32, 2, v43
	global_load_dwordx4 v[16:19], v32, s[0:1]
	global_load_dwordx4 v[20:23], v32, s[0:1] offset:16
	global_load_dwordx4 v[24:27], v32, s[0:1] offset:1024
	global_load_dwordx4 v[28:31], v32, s[0:1] offset:1040
	s_waitcnt vmcnt(3)
	v_pk_add_f32 v[16:17], v[16:17], v[0:1]
	v_pk_add_f32 v[18:19], v[18:19], v[2:3]
	s_waitcnt vmcnt(2)
	v_pk_add_f32 v[20:21], v[20:21], v[4:5]
	v_pk_add_f32 v[22:23], v[22:23], v[6:7]
	;; [unrolled: 3-line block ×4, first 2 shown]
	s_cbranch_execnz .LBB187_6
.LBB187_5:
	v_pk_mov_b32 v[30:31], v[14:15], v[14:15] op_sel:[0,1]
	v_pk_mov_b32 v[28:29], v[12:13], v[12:13] op_sel:[0,1]
	;; [unrolled: 1-line block ×8, first 2 shown]
.LBB187_6:
	s_load_dwordx4 s[8:11], s[4:5], 0x30
	s_mov_b32 s25, 0
	v_cmp_eq_u32_e64 s[0:1], 0, v37
	s_waitcnt lgkmcnt(0)
	s_bitcmp1_b32 s11, 0
	s_cselect_b64 vcc, -1, 0
	s_cmp_gt_i32 s8, 0
	s_cselect_b64 s[20:21], -1, 0
	s_cmp_lt_i32 s8, 1
	s_cbranch_scc1 .LBB187_28
; %bb.7:
	s_load_dwordx4 s[12:15], s[4:5], 0x20
	v_mul_lo_u32 v45, v33, s8
	v_mov_b32_e32 v44, 0
	v_mov_b32_e32 v46, 0x100
	;; [unrolled: 1-line block ×3, first 2 shown]
	v_bfrev_b32_e32 v48, 4.0
	v_bfrev_b32_e32 v49, -4.0
	v_mov_b32_e32 v50, 0x104
	v_mov_b32_e32 v51, 0x105
	;; [unrolled: 1-line block ×7, first 2 shown]
	s_branch .LBB187_10
.LBB187_8:                              ;   in Loop: Header=BB187_10 Depth=1
	s_or_b64 exec, exec, s[4:5]
.LBB187_9:                              ;   in Loop: Header=BB187_10 Depth=1
	s_cmp_eq_u32 s8, s25
	v_add_u32_e32 v56, s24, v56
	s_cbranch_scc1 .LBB187_29
.LBB187_10:                             ; =>This Inner Loop Header: Depth=1
	v_cmp_gt_f32_e64 s[2:3], v17, v16
	v_cndmask_b32_e64 v32, v16, v17, s[2:3]
	v_cndmask_b32_e64 v34, v0, v1, s[2:3]
	s_waitcnt lgkmcnt(0)
	v_cndmask_b32_e64 v35, 0, 1, s[2:3]
	v_cmp_gt_f32_e64 s[2:3], v18, v32
	v_cndmask_b32_e64 v32, v32, v18, s[2:3]
	v_cndmask_b32_e64 v34, v34, v2, s[2:3]
	v_cndmask_b32_e64 v35, v35, 2, s[2:3]
	v_cmp_gt_f32_e64 s[2:3], v19, v32
	v_cndmask_b32_e64 v32, v32, v19, s[2:3]
	v_cndmask_b32_e64 v34, v34, v3, s[2:3]
	;; [unrolled: 4-line block ×14, first 2 shown]
	v_or_b32_e32 v35, v43, v35
	ds_bpermute_b32 v36, v38, v32
	ds_bpermute_b32 v57, v38, v35
	v_cndmask_b32_e64 v34, v34, v15, s[2:3]
	ds_bpermute_b32 v59, v38, v34
	s_waitcnt lgkmcnt(0)
	v_cmp_eq_f32_e64 s[4:5], v32, v36
	v_cmp_lt_i32_e64 s[6:7], v57, v35
	v_cmp_lt_f32_e64 s[2:3], v32, v36
	s_and_b64 s[4:5], s[4:5], s[6:7]
	s_or_b64 s[2:3], s[2:3], s[4:5]
	v_cndmask_b32_e64 v58, v35, v57, s[2:3]
	v_cndmask_b32_e64 v57, v32, v36, s[2:3]
	;; [unrolled: 1-line block ×3, first 2 shown]
	ds_bpermute_b32 v60, v39, v57
	ds_bpermute_b32 v36, v39, v32
	;; [unrolled: 1-line block ×3, first 2 shown]
                                        ; implicit-def: $vgpr34_vgpr35
	s_waitcnt lgkmcnt(2)
	v_cmp_lt_f32_e64 s[6:7], v57, v60
	v_cmp_nlt_f32_e64 s[2:3], v57, v60
	s_and_saveexec_b64 s[22:23], s[2:3]
	s_cbranch_execz .LBB187_12
; %bb.11:                               ;   in Loop: Header=BB187_10 Depth=1
	v_cmp_eq_f32_e64 s[2:3], v57, v60
	s_waitcnt lgkmcnt(0)
	v_cmp_lt_i32_e64 s[4:5], v59, v58
	s_and_b64 s[2:3], s[2:3], s[4:5]
	s_andn2_b64 s[4:5], s[6:7], exec
	s_and_b64 s[2:3], s[2:3], exec
	s_or_b64 s[6:7], s[4:5], s[2:3]
	v_pk_mov_b32 v[34:35], v[32:33], v[32:33] op_sel:[0,1]
.LBB187_12:                             ;   in Loop: Header=BB187_10 Depth=1
	s_or_b64 exec, exec, s[22:23]
	s_and_saveexec_b64 s[2:3], s[6:7]
	s_cbranch_execz .LBB187_14
; %bb.13:                               ;   in Loop: Header=BB187_10 Depth=1
	v_mov_b32_e32 v57, v60
	s_waitcnt lgkmcnt(1)
	v_mov_b32_e32 v32, v36
	s_waitcnt lgkmcnt(0)
	v_mov_b32_e32 v58, v59
	v_pk_mov_b32 v[34:35], v[36:37], v[36:37] op_sel:[0,1]
.LBB187_14:                             ;   in Loop: Header=BB187_10 Depth=1
	s_or_b64 exec, exec, s[2:3]
	s_waitcnt lgkmcnt(0)
	ds_bpermute_b32 v59, v40, v57
	ds_bpermute_b32 v36, v40, v32
	;; [unrolled: 1-line block ×3, first 2 shown]
	s_waitcnt lgkmcnt(2)
	v_cmp_lt_f32_e64 s[6:7], v57, v59
	v_cmp_nlt_f32_e64 s[2:3], v57, v59
	s_and_saveexec_b64 s[22:23], s[2:3]
	s_cbranch_execz .LBB187_16
; %bb.15:                               ;   in Loop: Header=BB187_10 Depth=1
	v_cmp_eq_f32_e64 s[2:3], v57, v59
	s_waitcnt lgkmcnt(0)
	v_cmp_lt_i32_e64 s[4:5], v35, v58
	s_and_b64 s[2:3], s[2:3], s[4:5]
	s_andn2_b64 s[4:5], s[6:7], exec
	s_and_b64 s[2:3], s[2:3], exec
	s_or_b64 s[6:7], s[4:5], s[2:3]
.LBB187_16:                             ;   in Loop: Header=BB187_10 Depth=1
	s_or_b64 exec, exec, s[22:23]
	s_and_saveexec_b64 s[2:3], s[6:7]
	s_cbranch_execz .LBB187_18
; %bb.17:                               ;   in Loop: Header=BB187_10 Depth=1
	v_mov_b32_e32 v57, v59
	s_waitcnt lgkmcnt(1)
	v_mov_b32_e32 v32, v36
	s_waitcnt lgkmcnt(0)
	v_mov_b32_e32 v58, v35
	v_pk_mov_b32 v[34:35], v[36:37], v[36:37] op_sel:[0,1]
.LBB187_18:                             ;   in Loop: Header=BB187_10 Depth=1
	s_or_b64 exec, exec, s[2:3]
	ds_bpermute_b32 v59, v41, v57
	s_waitcnt lgkmcnt(2)
	ds_bpermute_b32 v36, v41, v32
	s_waitcnt lgkmcnt(2)
	;; [unrolled: 2-line block ×3, first 2 shown]
	v_cmp_lt_f32_e64 s[6:7], v57, v59
	v_cmp_nlt_f32_e64 s[2:3], v57, v59
	s_and_saveexec_b64 s[22:23], s[2:3]
	s_cbranch_execz .LBB187_20
; %bb.19:                               ;   in Loop: Header=BB187_10 Depth=1
	v_cmp_eq_f32_e64 s[2:3], v57, v59
	s_waitcnt lgkmcnt(0)
	v_cmp_lt_i32_e64 s[4:5], v35, v58
	s_and_b64 s[2:3], s[2:3], s[4:5]
	s_andn2_b64 s[4:5], s[6:7], exec
	s_and_b64 s[2:3], s[2:3], exec
	s_or_b64 s[6:7], s[4:5], s[2:3]
.LBB187_20:                             ;   in Loop: Header=BB187_10 Depth=1
	s_or_b64 exec, exec, s[22:23]
	s_and_saveexec_b64 s[2:3], s[6:7]
	s_cbranch_execz .LBB187_22
; %bb.21:                               ;   in Loop: Header=BB187_10 Depth=1
	v_mov_b32_e32 v57, v59
	s_waitcnt lgkmcnt(1)
	v_mov_b32_e32 v32, v36
	s_waitcnt lgkmcnt(0)
	v_mov_b32_e32 v58, v35
	v_pk_mov_b32 v[34:35], v[36:37], v[36:37] op_sel:[0,1]
.LBB187_22:                             ;   in Loop: Header=BB187_10 Depth=1
	s_or_b64 exec, exec, s[2:3]
	s_waitcnt lgkmcnt(1)
	ds_bpermute_b32 v36, v42, v57
	ds_bpermute_b32 v59, v42, v58
	s_waitcnt lgkmcnt(2)
	ds_bpermute_b32 v35, v42, v32
	s_waitcnt lgkmcnt(2)
	v_cmp_eq_f32_e64 s[4:5], v57, v36
	s_waitcnt lgkmcnt(1)
	v_cmp_lt_i32_e64 s[6:7], v59, v58
	v_cmp_lt_f32_e64 s[2:3], v57, v36
	s_and_b64 s[4:5], s[4:5], s[6:7]
	s_or_b64 s[2:3], s[2:3], s[4:5]
	v_cndmask_b32_e64 v32, v58, v59, s[2:3]
	s_and_saveexec_b64 s[6:7], s[0:1]
	s_cbranch_execnz .LBB187_24
; %bb.23:                               ;   in Loop: Header=BB187_10 Depth=1
	s_or_b64 exec, exec, s[6:7]
	s_add_i32 s25, s25, 1
	s_cmp_ge_i32 s25, s8
	s_cbranch_scc1 .LBB187_9
	s_branch .LBB187_25
.LBB187_24:                             ;   in Loop: Header=BB187_10 Depth=1
	s_waitcnt lgkmcnt(0)
	v_cndmask_b32_e64 v36, v34, v35, s[2:3]
	v_add_u32_e32 v34, s25, v45
	v_ashrrev_i32_e32 v35, 31, v34
	v_cmp_le_i32_e64 s[2:3], s9, v32
	v_cmp_gt_i32_e64 s[4:5], s10, v32
	v_lshlrev_b64 v[58:59], 2, v[34:35]
	s_and_b64 s[4:5], s[2:3], s[4:5]
	v_mov_b32_e32 v57, s17
	v_add_co_u32_e64 v60, s[2:3], s16, v58
	v_addc_co_u32_e64 v61, s[2:3], v57, v59, s[2:3]
	v_subrev_u32_e32 v57, s9, v32
	global_store_dword v[60:61], v36, off
	v_ashrrev_i32_e32 v60, 31, v57
	s_and_b64 s[2:3], s[18:19], s[4:5]
	v_lshlrev_b64 v[34:35], 3, v[34:35]
	v_cndmask_b32_e64 v61, 0, v60, s[2:3]
	v_cndmask_b32_e64 v60, v54, v57, s[2:3]
	v_mov_b32_e32 v57, s13
	v_add_co_u32_e64 v34, s[2:3], s12, v34
	v_addc_co_u32_e64 v35, s[2:3], v57, v35, s[2:3]
	global_store_dwordx2 v[34:35], v[60:61], off
	v_mov_b32_e32 v35, s15
	v_add_co_u32_e64 v34, s[2:3], s14, v58
	v_addc_co_u32_e64 v35, s[2:3], v35, v59, s[2:3]
	global_store_dword v[34:35], v56, off
	v_add_f32_e32 v34, v44, v36
	v_cndmask_b32_e32 v44, v44, v34, vcc
	s_or_b64 exec, exec, s[6:7]
	s_add_i32 s25, s25, 1
	s_cmp_ge_i32 s25, s8
	s_cbranch_scc1 .LBB187_9
.LBB187_25:                             ;   in Loop: Header=BB187_10 Depth=1
	v_ashrrev_i32_e32 v34, 31, v32
	s_waitcnt lgkmcnt(0)
	v_lshrrev_b32_e32 v35, 29, v34
	v_add_u32_e32 v36, v32, v35
	v_ashrrev_i32_e32 v35, 3, v36
	v_ashrrev_i32_e32 v36, 31, v36
	v_lshrrev_b32_e32 v36, 27, v36
	v_add_u32_e32 v36, v35, v36
	v_and_b32_e32 v36, 0xffffffe0, v36
	v_sub_u32_e32 v36, v35, v36
	v_cmp_eq_u32_e64 s[2:3], v37, v36
	s_and_saveexec_b64 s[4:5], s[2:3]
	s_cbranch_execz .LBB187_8
; %bb.26:                               ;   in Loop: Header=BB187_10 Depth=1
	v_add_u32_sdwa v34, v32, v34 dst_sel:DWORD dst_unused:UNUSED_PAD src0_sel:DWORD src1_sel:BYTE_3
	v_lshlrev_b32_e32 v35, 3, v35
	v_ashrrev_i32_e32 v34, 8, v34
	v_sub_u32_e32 v32, v32, v35
	v_lshl_add_u32 v32, v34, 3, v32
	v_cmp_ne_u32_e64 s[2:3], 15, v32
	v_cndmask_b32_e64 v31, v55, v31, s[2:3]
	v_cmp_ne_u32_e64 s[2:3], 14, v32
	v_cndmask_b32_e64 v30, v55, v30, s[2:3]
	;; [unrolled: 2-line block ×16, first 2 shown]
	s_branch .LBB187_8
.LBB187_27:
                                        ; implicit-def: $vgpr16_vgpr17_vgpr18_vgpr19_vgpr20_vgpr21_vgpr22_vgpr23_vgpr24_vgpr25_vgpr26_vgpr27_vgpr28_vgpr29_vgpr30_vgpr31
	s_andn2_b64 vcc, exec, s[6:7]
	s_cbranch_vccz .LBB187_5
	s_branch .LBB187_6
.LBB187_28:
	v_mov_b32_e32 v44, 0
.LBB187_29:
	v_cmp_eq_u32_e64 s[0:1], 0, v37
	s_and_b64 s[0:1], s[0:1], vcc
	s_and_b64 exec, exec, s[0:1]
	s_cbranch_execz .LBB187_38
; %bb.30:
	s_andn2_b64 vcc, exec, s[20:21]
	s_cbranch_vccnz .LBB187_38
; %bb.31:
	v_cmp_lt_f32_e32 vcc, 0, v44
	s_mov_b32 s2, 0
	v_cndmask_b32_e32 v0, 1.0, v44, vcc
	v_mul_lo_u32 v4, v33, s8
	s_cmp_eq_u32 s8, 1
	s_mov_b64 s[0:1], -1
	s_cbranch_scc1 .LBB187_35
; %bb.32:
	s_and_b32 s2, s8, 0x7ffffffe
	v_mov_b32_e32 v1, v0
	v_mov_b32_e32 v5, s17
	s_mov_b32 s3, s2
	v_mov_b32_e32 v2, v4
.LBB187_33:                             ; =>This Inner Loop Header: Depth=1
	v_ashrrev_i32_e32 v3, 31, v2
	v_lshlrev_b64 v[6:7], 2, v[2:3]
	v_add_co_u32_e32 v6, vcc, s16, v6
	v_addc_co_u32_e32 v7, vcc, v5, v7, vcc
	global_load_dwordx2 v[8:9], v[6:7], off
	s_add_i32 s3, s3, -2
	s_cmp_lg_u32 s3, 0
	v_add_u32_e32 v2, 2, v2
	s_waitcnt vmcnt(0)
	v_div_scale_f32 v3, s[0:1], v1, v1, v9
	v_div_scale_f32 v11, s[0:1], v0, v0, v8
	v_rcp_f32_e32 v12, v3
	v_rcp_f32_e32 v13, v11
	v_div_scale_f32 v10, vcc, v9, v1, v9
	v_fma_f32 v15, -v3, v12, 1.0
	v_fma_f32 v16, -v11, v13, 1.0
	v_fmac_f32_e32 v12, v15, v12
	v_div_scale_f32 v14, s[0:1], v8, v0, v8
	v_fmac_f32_e32 v13, v16, v13
	v_mul_f32_e32 v15, v10, v12
	v_mul_f32_e32 v16, v14, v13
	v_fma_f32 v17, -v3, v15, v10
	v_fma_f32 v18, -v11, v16, v14
	v_fmac_f32_e32 v15, v17, v12
	v_fmac_f32_e32 v16, v18, v13
	v_fma_f32 v3, -v3, v15, v10
	v_fma_f32 v10, -v11, v16, v14
	v_div_fmas_f32 v3, v3, v12, v15
	s_mov_b64 vcc, s[0:1]
	v_div_fixup_f32 v9, v3, v1, v9
	v_div_fmas_f32 v3, v10, v13, v16
	v_div_fixup_f32 v8, v3, v0, v8
	global_store_dwordx2 v[6:7], v[8:9], off
	s_cbranch_scc1 .LBB187_33
; %bb.34:
	s_cmp_lg_u32 s2, s8
	s_cselect_b64 s[0:1], -1, 0
.LBB187_35:
	s_and_b64 vcc, exec, s[0:1]
	s_cbranch_vccz .LBB187_38
; %bb.36:
	v_ashrrev_i32_e32 v1, 31, v4
	v_add_co_u32_e32 v2, vcc, s2, v4
	v_addc_co_u32_e32 v3, vcc, 0, v1, vcc
	v_lshlrev_b64 v[2:3], 2, v[2:3]
	v_mov_b32_e32 v1, s17
	v_add_co_u32_e32 v2, vcc, s16, v2
	s_sub_i32 s0, s8, s2
	v_addc_co_u32_e32 v3, vcc, v1, v3, vcc
.LBB187_37:                             ; =>This Inner Loop Header: Depth=1
	global_load_dword v1, v[2:3], off
	s_add_i32 s0, s0, -1
	s_cmp_lg_u32 s0, 0
	s_waitcnt vmcnt(0)
	v_div_scale_f32 v4, s[2:3], v0, v0, v1
	v_rcp_f32_e32 v5, v4
	v_div_scale_f32 v6, vcc, v1, v0, v1
	v_fma_f32 v7, -v4, v5, 1.0
	v_fmac_f32_e32 v5, v7, v5
	v_mul_f32_e32 v7, v6, v5
	v_fma_f32 v8, -v4, v7, v6
	v_fmac_f32_e32 v7, v8, v5
	v_fma_f32 v4, -v4, v7, v6
	v_div_fmas_f32 v4, v4, v5, v7
	v_div_fixup_f32 v1, v4, v0, v1
	global_store_dword v[2:3], v1, off
	v_add_co_u32_e32 v2, vcc, 4, v2
	v_addc_co_u32_e32 v3, vcc, 0, v3, vcc
	s_cbranch_scc1 .LBB187_37
.LBB187_38:
	s_endpgm
	.section	.rodata,"a",@progbits
	.p2align	6, 0x0
	.amdhsa_kernel _ZN4vllm3moe10topkGatingILi16ELi512ELi4ELi16ELi32El14__hip_bfloat16LNS0_11ScoringFuncE0EEEvPKT5_PKbPfiPT4_PiiiibPKf
		.amdhsa_group_segment_fixed_size 0
		.amdhsa_private_segment_fixed_size 0
		.amdhsa_kernarg_size 72
		.amdhsa_user_sgpr_count 6
		.amdhsa_user_sgpr_private_segment_buffer 1
		.amdhsa_user_sgpr_dispatch_ptr 0
		.amdhsa_user_sgpr_queue_ptr 0
		.amdhsa_user_sgpr_kernarg_segment_ptr 1
		.amdhsa_user_sgpr_dispatch_id 0
		.amdhsa_user_sgpr_flat_scratch_init 0
		.amdhsa_user_sgpr_kernarg_preload_length 0
		.amdhsa_user_sgpr_kernarg_preload_offset 0
		.amdhsa_user_sgpr_private_segment_size 0
		.amdhsa_uses_dynamic_stack 0
		.amdhsa_system_sgpr_private_segment_wavefront_offset 0
		.amdhsa_system_sgpr_workgroup_id_x 1
		.amdhsa_system_sgpr_workgroup_id_y 0
		.amdhsa_system_sgpr_workgroup_id_z 0
		.amdhsa_system_sgpr_workgroup_info 0
		.amdhsa_system_vgpr_workitem_id 1
		.amdhsa_next_free_vgpr 62
		.amdhsa_next_free_sgpr 26
		.amdhsa_accum_offset 64
		.amdhsa_reserve_vcc 1
		.amdhsa_reserve_flat_scratch 0
		.amdhsa_float_round_mode_32 0
		.amdhsa_float_round_mode_16_64 0
		.amdhsa_float_denorm_mode_32 3
		.amdhsa_float_denorm_mode_16_64 3
		.amdhsa_dx10_clamp 1
		.amdhsa_ieee_mode 1
		.amdhsa_fp16_overflow 0
		.amdhsa_tg_split 0
		.amdhsa_exception_fp_ieee_invalid_op 0
		.amdhsa_exception_fp_denorm_src 0
		.amdhsa_exception_fp_ieee_div_zero 0
		.amdhsa_exception_fp_ieee_overflow 0
		.amdhsa_exception_fp_ieee_underflow 0
		.amdhsa_exception_fp_ieee_inexact 0
		.amdhsa_exception_int_div_zero 0
	.end_amdhsa_kernel
	.section	.text._ZN4vllm3moe10topkGatingILi16ELi512ELi4ELi16ELi32El14__hip_bfloat16LNS0_11ScoringFuncE0EEEvPKT5_PKbPfiPT4_PiiiibPKf,"axG",@progbits,_ZN4vllm3moe10topkGatingILi16ELi512ELi4ELi16ELi32El14__hip_bfloat16LNS0_11ScoringFuncE0EEEvPKT5_PKbPfiPT4_PiiiibPKf,comdat
.Lfunc_end187:
	.size	_ZN4vllm3moe10topkGatingILi16ELi512ELi4ELi16ELi32El14__hip_bfloat16LNS0_11ScoringFuncE0EEEvPKT5_PKbPfiPT4_PiiiibPKf, .Lfunc_end187-_ZN4vllm3moe10topkGatingILi16ELi512ELi4ELi16ELi32El14__hip_bfloat16LNS0_11ScoringFuncE0EEEvPKT5_PKbPfiPT4_PiiiibPKf
                                        ; -- End function
	.section	.AMDGPU.csdata,"",@progbits
; Kernel info:
; codeLenInByte = 4720
; NumSgprs: 30
; NumVgprs: 62
; NumAgprs: 0
; TotalNumVgprs: 62
; ScratchSize: 0
; MemoryBound: 0
; FloatMode: 240
; IeeeMode: 1
; LDSByteSize: 0 bytes/workgroup (compile time only)
; SGPRBlocks: 3
; VGPRBlocks: 7
; NumSGPRsForWavesPerEU: 30
; NumVGPRsForWavesPerEU: 62
; AccumOffset: 64
; Occupancy: 8
; WaveLimiterHint : 1
; COMPUTE_PGM_RSRC2:SCRATCH_EN: 0
; COMPUTE_PGM_RSRC2:USER_SGPR: 6
; COMPUTE_PGM_RSRC2:TRAP_HANDLER: 0
; COMPUTE_PGM_RSRC2:TGID_X_EN: 1
; COMPUTE_PGM_RSRC2:TGID_Y_EN: 0
; COMPUTE_PGM_RSRC2:TGID_Z_EN: 0
; COMPUTE_PGM_RSRC2:TIDIG_COMP_CNT: 1
; COMPUTE_PGM_RSRC3_GFX90A:ACCUM_OFFSET: 15
; COMPUTE_PGM_RSRC3_GFX90A:TG_SPLIT: 0
	.section	.text._ZN4vllm3moe10topkGatingILi1ELi1ELi4ELi4ELi64EifLNS0_11ScoringFuncE1EEEvPKT5_PKbPfiPT4_PiiiibPKf,"axG",@progbits,_ZN4vllm3moe10topkGatingILi1ELi1ELi4ELi4ELi64EifLNS0_11ScoringFuncE1EEEvPKT5_PKbPfiPT4_PiiiibPKf,comdat
	.protected	_ZN4vllm3moe10topkGatingILi1ELi1ELi4ELi4ELi64EifLNS0_11ScoringFuncE1EEEvPKT5_PKbPfiPT4_PiiiibPKf ; -- Begin function _ZN4vllm3moe10topkGatingILi1ELi1ELi4ELi4ELi64EifLNS0_11ScoringFuncE1EEEvPKT5_PKbPfiPT4_PiiiibPKf
	.globl	_ZN4vllm3moe10topkGatingILi1ELi1ELi4ELi4ELi64EifLNS0_11ScoringFuncE1EEEvPKT5_PKbPfiPT4_PiiiibPKf
	.p2align	8
	.type	_ZN4vllm3moe10topkGatingILi1ELi1ELi4ELi4ELi64EifLNS0_11ScoringFuncE1EEEvPKT5_PKbPfiPT4_PiiiibPKf,@function
_ZN4vllm3moe10topkGatingILi1ELi1ELi4ELi4ELi64EifLNS0_11ScoringFuncE1EEEvPKT5_PKbPfiPT4_PiiiibPKf: ; @_ZN4vllm3moe10topkGatingILi1ELi1ELi4ELi4ELi64EifLNS0_11ScoringFuncE1EEEvPKT5_PKbPfiPT4_PiiiibPKf
; %bb.0:
	s_load_dword s18, s[4:5], 0x18
	v_bfe_u32 v1, v0, 10, 10
	s_lshl_b32 s0, s6, 8
	v_lshlrev_b32_e32 v1, 6, v1
	v_and_b32_e32 v0, 0x3ff, v0
	v_add3_u32 v0, v1, v0, s0
	s_waitcnt lgkmcnt(0)
	v_cmp_gt_i32_e32 vcc, s18, v0
	s_and_saveexec_b64 s[0:1], vcc
	s_cbranch_execz .LBB188_17
; %bb.1:
	s_load_dwordx4 s[12:15], s[4:5], 0x0
	s_load_dwordx2 s[2:3], s[4:5], 0x10
	v_ashrrev_i32_e32 v1, 31, v0
	s_waitcnt lgkmcnt(0)
	s_cmp_eq_u64 s[14:15], 0
	s_cbranch_scc1 .LBB188_3
; %bb.2:
	v_mov_b32_e32 v3, s15
	v_add_co_u32_e32 v2, vcc, s14, v0
	v_addc_co_u32_e32 v3, vcc, v3, v1, vcc
	global_load_ubyte v2, v[2:3], off
	s_waitcnt vmcnt(0)
	v_and_b32_e32 v2, 1, v2
	v_cmp_eq_u32_e32 vcc, 1, v2
	s_xor_b64 s[0:1], vcc, -1
	s_orn2_b64 s[16:17], s[0:1], exec
	s_branch .LBB188_4
.LBB188_3:
	s_mov_b64 s[16:17], -1
.LBB188_4:
	s_load_dwordx4 s[8:11], s[4:5], 0x30
	s_waitcnt lgkmcnt(0)
	s_bitcmp1_b32 s11, 0
	s_cselect_b64 s[0:1], -1, 0
	s_cmp_gt_i32 s8, 0
	s_cselect_b64 s[14:15], -1, 0
	s_cmp_lt_i32 s8, 1
	s_cbranch_scc1 .LBB188_8
; %bb.5:
	v_lshlrev_b64 v[2:3], 2, v[0:1]
	v_mov_b32_e32 v1, s13
	v_add_co_u32_e32 v2, vcc, s12, v2
	v_addc_co_u32_e32 v3, vcc, v1, v3, vcc
	global_load_dword v4, v[2:3], off
	v_mul_lo_u32 v2, v0, s8
	s_load_dwordx4 s[4:7], s[4:5], 0x20
	s_cmp_lt_i32 s9, 1
	v_ashrrev_i32_e32 v3, 31, v2
	s_cselect_b64 s[12:13], -1, 0
	s_cmp_gt_i32 s10, 0
	v_lshlrev_b64 v[6:7], 2, v[2:3]
	v_mov_b32_e32 v5, s3
	s_cselect_b64 s[10:11], -1, 0
	v_add_co_u32_e32 v2, vcc, s2, v6
	s_sub_i32 s9, 0, s9
	s_and_b64 s[10:11], s[12:13], s[10:11]
	v_addc_co_u32_e32 v3, vcc, v5, v7, vcc
	v_mov_b32_e32 v9, s9
	s_and_b64 vcc, s[16:17], s[10:11]
	v_cndmask_b32_e32 v9, 1, v9, vcc
	s_waitcnt lgkmcnt(0)
	v_mov_b32_e32 v5, s5
	v_mov_b32_e32 v10, s7
	s_movk_i32 s19, 0x1f8
	v_mov_b32_e32 v1, 0
	v_mov_b32_e32 v8, v0
	s_waitcnt vmcnt(0)
	v_mul_f32_e32 v4, 0xbfb8aa3b, v4
	v_exp_f32_e32 v11, v4
	v_add_co_u32_e32 v4, vcc, s4, v6
	v_addc_co_u32_e32 v5, vcc, v5, v7, vcc
	v_add_f32_e32 v11, 1.0, v11
	v_div_scale_f32 v12, s[4:5], v11, v11, 1.0
	v_rcp_f32_e32 v13, v12
	v_add_co_u32_e32 v6, vcc, s6, v6
	v_addc_co_u32_e32 v7, vcc, v10, v7, vcc
	v_fma_f32 v14, -v12, v13, 1.0
	v_div_scale_f32 v10, vcc, 1.0, v11, 1.0
	v_fmac_f32_e32 v13, v14, v13
	v_mul_f32_e32 v14, v10, v13
	v_fma_f32 v15, -v12, v14, v10
	v_fmac_f32_e32 v14, v15, v13
	v_fma_f32 v10, -v12, v14, v10
	v_div_fmas_f32 v10, v10, v13, v14
	v_div_fixup_f32 v10, v10, v11, 1.0
	v_cmp_class_f32_e64 vcc, v10, s19
	v_cndmask_b32_e32 v10, 0, v10, vcc
	s_mov_b32 s4, s8
.LBB188_6:                              ; =>This Inner Loop Header: Depth=1
	global_store_dword v[2:3], v10, off
	global_store_dword v[4:5], v9, off
	;; [unrolled: 1-line block ×3, first 2 shown]
	v_add_co_u32_e32 v2, vcc, 4, v2
	v_addc_co_u32_e32 v3, vcc, 0, v3, vcc
	v_add_co_u32_e32 v4, vcc, 4, v4
	v_addc_co_u32_e32 v5, vcc, 0, v5, vcc
	v_add_f32_e32 v11, v1, v10
	s_add_i32 s4, s4, -1
	v_add_co_u32_e32 v6, vcc, 4, v6
	v_cndmask_b32_e64 v1, v1, v11, s[0:1]
	v_add_u32_e32 v8, s18, v8
	s_cmp_lg_u32 s4, 0
	v_addc_co_u32_e32 v7, vcc, 0, v7, vcc
	s_cbranch_scc1 .LBB188_6
; %bb.7:
	s_andn2_b64 vcc, exec, s[0:1]
	s_cbranch_vccz .LBB188_9
	s_branch .LBB188_17
.LBB188_8:
	v_mov_b32_e32 v1, 0
	s_andn2_b64 vcc, exec, s[0:1]
	s_cbranch_vccnz .LBB188_17
.LBB188_9:
	s_andn2_b64 vcc, exec, s[14:15]
	s_cbranch_vccnz .LBB188_17
; %bb.10:
	v_cmp_lt_f32_e32 vcc, 0, v1
	s_mov_b32 s4, 0
	v_cndmask_b32_e32 v2, 1.0, v1, vcc
	v_mul_lo_u32 v0, v0, s8
	s_cmp_eq_u32 s8, 1
	s_mov_b64 s[0:1], -1
	s_cbranch_scc1 .LBB188_14
; %bb.11:
	s_and_b32 s4, s8, 0x7ffffffe
	v_mov_b32_e32 v1, v2
	v_mov_b32_e32 v3, s3
	s_mov_b32 s5, s4
	v_mov_b32_e32 v4, v0
.LBB188_12:                             ; =>This Inner Loop Header: Depth=1
	v_ashrrev_i32_e32 v5, 31, v4
	v_lshlrev_b64 v[6:7], 2, v[4:5]
	v_add_co_u32_e32 v6, vcc, s2, v6
	v_addc_co_u32_e32 v7, vcc, v3, v7, vcc
	global_load_dwordx2 v[8:9], v[6:7], off
	s_add_i32 s5, s5, -2
	s_cmp_lg_u32 s5, 0
	v_add_u32_e32 v4, 2, v4
	s_waitcnt vmcnt(0)
	v_div_scale_f32 v5, s[0:1], v1, v1, v9
	v_div_scale_f32 v11, s[0:1], v2, v2, v8
	v_rcp_f32_e32 v12, v5
	v_rcp_f32_e32 v13, v11
	v_div_scale_f32 v10, vcc, v9, v1, v9
	v_fma_f32 v15, -v5, v12, 1.0
	v_fma_f32 v16, -v11, v13, 1.0
	v_fmac_f32_e32 v12, v15, v12
	v_div_scale_f32 v14, s[0:1], v8, v2, v8
	v_fmac_f32_e32 v13, v16, v13
	v_mul_f32_e32 v15, v10, v12
	v_mul_f32_e32 v16, v14, v13
	v_fma_f32 v17, -v5, v15, v10
	v_fma_f32 v18, -v11, v16, v14
	v_fmac_f32_e32 v15, v17, v12
	v_fmac_f32_e32 v16, v18, v13
	v_fma_f32 v5, -v5, v15, v10
	v_fma_f32 v10, -v11, v16, v14
	v_div_fmas_f32 v5, v5, v12, v15
	s_mov_b64 vcc, s[0:1]
	v_div_fixup_f32 v9, v5, v1, v9
	v_div_fmas_f32 v5, v10, v13, v16
	v_div_fixup_f32 v8, v5, v2, v8
	global_store_dwordx2 v[6:7], v[8:9], off
	s_cbranch_scc1 .LBB188_12
; %bb.13:
	s_cmp_lg_u32 s4, s8
	s_cselect_b64 s[0:1], -1, 0
.LBB188_14:
	s_and_b64 vcc, exec, s[0:1]
	s_cbranch_vccz .LBB188_17
; %bb.15:
	v_ashrrev_i32_e32 v1, 31, v0
	v_add_co_u32_e32 v0, vcc, s4, v0
	v_addc_co_u32_e32 v1, vcc, 0, v1, vcc
	v_lshlrev_b64 v[0:1], 2, v[0:1]
	v_mov_b32_e32 v3, s3
	v_add_co_u32_e32 v0, vcc, s2, v0
	s_sub_i32 s0, s8, s4
	v_addc_co_u32_e32 v1, vcc, v3, v1, vcc
.LBB188_16:                             ; =>This Inner Loop Header: Depth=1
	global_load_dword v3, v[0:1], off
	s_add_i32 s0, s0, -1
	s_cmp_lg_u32 s0, 0
	s_waitcnt vmcnt(0)
	v_div_scale_f32 v4, s[2:3], v2, v2, v3
	v_rcp_f32_e32 v5, v4
	v_div_scale_f32 v6, vcc, v3, v2, v3
	v_fma_f32 v7, -v4, v5, 1.0
	v_fmac_f32_e32 v5, v7, v5
	v_mul_f32_e32 v7, v6, v5
	v_fma_f32 v8, -v4, v7, v6
	v_fmac_f32_e32 v7, v8, v5
	v_fma_f32 v4, -v4, v7, v6
	v_div_fmas_f32 v4, v4, v5, v7
	v_div_fixup_f32 v3, v4, v2, v3
	global_store_dword v[0:1], v3, off
	v_add_co_u32_e32 v0, vcc, 4, v0
	v_addc_co_u32_e32 v1, vcc, 0, v1, vcc
	s_cbranch_scc1 .LBB188_16
.LBB188_17:
	s_endpgm
	.section	.rodata,"a",@progbits
	.p2align	6, 0x0
	.amdhsa_kernel _ZN4vllm3moe10topkGatingILi1ELi1ELi4ELi4ELi64EifLNS0_11ScoringFuncE1EEEvPKT5_PKbPfiPT4_PiiiibPKf
		.amdhsa_group_segment_fixed_size 0
		.amdhsa_private_segment_fixed_size 0
		.amdhsa_kernarg_size 72
		.amdhsa_user_sgpr_count 6
		.amdhsa_user_sgpr_private_segment_buffer 1
		.amdhsa_user_sgpr_dispatch_ptr 0
		.amdhsa_user_sgpr_queue_ptr 0
		.amdhsa_user_sgpr_kernarg_segment_ptr 1
		.amdhsa_user_sgpr_dispatch_id 0
		.amdhsa_user_sgpr_flat_scratch_init 0
		.amdhsa_user_sgpr_kernarg_preload_length 0
		.amdhsa_user_sgpr_kernarg_preload_offset 0
		.amdhsa_user_sgpr_private_segment_size 0
		.amdhsa_uses_dynamic_stack 0
		.amdhsa_system_sgpr_private_segment_wavefront_offset 0
		.amdhsa_system_sgpr_workgroup_id_x 1
		.amdhsa_system_sgpr_workgroup_id_y 0
		.amdhsa_system_sgpr_workgroup_id_z 0
		.amdhsa_system_sgpr_workgroup_info 0
		.amdhsa_system_vgpr_workitem_id 1
		.amdhsa_next_free_vgpr 19
		.amdhsa_next_free_sgpr 20
		.amdhsa_accum_offset 20
		.amdhsa_reserve_vcc 1
		.amdhsa_reserve_flat_scratch 0
		.amdhsa_float_round_mode_32 0
		.amdhsa_float_round_mode_16_64 0
		.amdhsa_float_denorm_mode_32 3
		.amdhsa_float_denorm_mode_16_64 3
		.amdhsa_dx10_clamp 1
		.amdhsa_ieee_mode 1
		.amdhsa_fp16_overflow 0
		.amdhsa_tg_split 0
		.amdhsa_exception_fp_ieee_invalid_op 0
		.amdhsa_exception_fp_denorm_src 0
		.amdhsa_exception_fp_ieee_div_zero 0
		.amdhsa_exception_fp_ieee_overflow 0
		.amdhsa_exception_fp_ieee_underflow 0
		.amdhsa_exception_fp_ieee_inexact 0
		.amdhsa_exception_int_div_zero 0
	.end_amdhsa_kernel
	.section	.text._ZN4vllm3moe10topkGatingILi1ELi1ELi4ELi4ELi64EifLNS0_11ScoringFuncE1EEEvPKT5_PKbPfiPT4_PiiiibPKf,"axG",@progbits,_ZN4vllm3moe10topkGatingILi1ELi1ELi4ELi4ELi64EifLNS0_11ScoringFuncE1EEEvPKT5_PKbPfiPT4_PiiiibPKf,comdat
.Lfunc_end188:
	.size	_ZN4vllm3moe10topkGatingILi1ELi1ELi4ELi4ELi64EifLNS0_11ScoringFuncE1EEEvPKT5_PKbPfiPT4_PiiiibPKf, .Lfunc_end188-_ZN4vllm3moe10topkGatingILi1ELi1ELi4ELi4ELi64EifLNS0_11ScoringFuncE1EEEvPKT5_PKbPfiPT4_PiiiibPKf
                                        ; -- End function
	.section	.AMDGPU.csdata,"",@progbits
; Kernel info:
; codeLenInByte = 960
; NumSgprs: 24
; NumVgprs: 19
; NumAgprs: 0
; TotalNumVgprs: 19
; ScratchSize: 0
; MemoryBound: 0
; FloatMode: 240
; IeeeMode: 1
; LDSByteSize: 0 bytes/workgroup (compile time only)
; SGPRBlocks: 2
; VGPRBlocks: 2
; NumSGPRsForWavesPerEU: 24
; NumVGPRsForWavesPerEU: 19
; AccumOffset: 20
; Occupancy: 8
; WaveLimiterHint : 0
; COMPUTE_PGM_RSRC2:SCRATCH_EN: 0
; COMPUTE_PGM_RSRC2:USER_SGPR: 6
; COMPUTE_PGM_RSRC2:TRAP_HANDLER: 0
; COMPUTE_PGM_RSRC2:TGID_X_EN: 1
; COMPUTE_PGM_RSRC2:TGID_Y_EN: 0
; COMPUTE_PGM_RSRC2:TGID_Z_EN: 0
; COMPUTE_PGM_RSRC2:TIDIG_COMP_CNT: 1
; COMPUTE_PGM_RSRC3_GFX90A:ACCUM_OFFSET: 4
; COMPUTE_PGM_RSRC3_GFX90A:TG_SPLIT: 0
	.section	.text._ZN4vllm3moe10topkGatingILi1ELi1ELi4ELi4ELi32EifLNS0_11ScoringFuncE1EEEvPKT5_PKbPfiPT4_PiiiibPKf,"axG",@progbits,_ZN4vllm3moe10topkGatingILi1ELi1ELi4ELi4ELi32EifLNS0_11ScoringFuncE1EEEvPKT5_PKbPfiPT4_PiiiibPKf,comdat
	.protected	_ZN4vllm3moe10topkGatingILi1ELi1ELi4ELi4ELi32EifLNS0_11ScoringFuncE1EEEvPKT5_PKbPfiPT4_PiiiibPKf ; -- Begin function _ZN4vllm3moe10topkGatingILi1ELi1ELi4ELi4ELi32EifLNS0_11ScoringFuncE1EEEvPKT5_PKbPfiPT4_PiiiibPKf
	.globl	_ZN4vllm3moe10topkGatingILi1ELi1ELi4ELi4ELi32EifLNS0_11ScoringFuncE1EEEvPKT5_PKbPfiPT4_PiiiibPKf
	.p2align	8
	.type	_ZN4vllm3moe10topkGatingILi1ELi1ELi4ELi4ELi32EifLNS0_11ScoringFuncE1EEEvPKT5_PKbPfiPT4_PiiiibPKf,@function
_ZN4vllm3moe10topkGatingILi1ELi1ELi4ELi4ELi32EifLNS0_11ScoringFuncE1EEEvPKT5_PKbPfiPT4_PiiiibPKf: ; @_ZN4vllm3moe10topkGatingILi1ELi1ELi4ELi4ELi32EifLNS0_11ScoringFuncE1EEEvPKT5_PKbPfiPT4_PiiiibPKf
; %bb.0:
	s_load_dword s18, s[4:5], 0x18
	v_bfe_u32 v1, v0, 10, 10
	s_lshl_b32 s0, s6, 7
	v_lshlrev_b32_e32 v1, 5, v1
	v_and_b32_e32 v0, 0x3ff, v0
	v_add3_u32 v0, v1, v0, s0
	s_waitcnt lgkmcnt(0)
	v_cmp_gt_i32_e32 vcc, s18, v0
	s_and_saveexec_b64 s[0:1], vcc
	s_cbranch_execz .LBB189_17
; %bb.1:
	s_load_dwordx4 s[12:15], s[4:5], 0x0
	s_load_dwordx2 s[2:3], s[4:5], 0x10
	v_ashrrev_i32_e32 v1, 31, v0
	s_waitcnt lgkmcnt(0)
	s_cmp_eq_u64 s[14:15], 0
	s_cbranch_scc1 .LBB189_3
; %bb.2:
	v_mov_b32_e32 v3, s15
	v_add_co_u32_e32 v2, vcc, s14, v0
	v_addc_co_u32_e32 v3, vcc, v3, v1, vcc
	global_load_ubyte v2, v[2:3], off
	s_waitcnt vmcnt(0)
	v_and_b32_e32 v2, 1, v2
	v_cmp_eq_u32_e32 vcc, 1, v2
	s_xor_b64 s[0:1], vcc, -1
	s_orn2_b64 s[16:17], s[0:1], exec
	s_branch .LBB189_4
.LBB189_3:
	s_mov_b64 s[16:17], -1
.LBB189_4:
	s_load_dwordx4 s[8:11], s[4:5], 0x30
	s_waitcnt lgkmcnt(0)
	s_bitcmp1_b32 s11, 0
	s_cselect_b64 s[0:1], -1, 0
	s_cmp_gt_i32 s8, 0
	s_cselect_b64 s[14:15], -1, 0
	s_cmp_lt_i32 s8, 1
	s_cbranch_scc1 .LBB189_8
; %bb.5:
	v_lshlrev_b64 v[2:3], 2, v[0:1]
	v_mov_b32_e32 v1, s13
	v_add_co_u32_e32 v2, vcc, s12, v2
	v_addc_co_u32_e32 v3, vcc, v1, v3, vcc
	global_load_dword v4, v[2:3], off
	v_mul_lo_u32 v2, v0, s8
	s_load_dwordx4 s[4:7], s[4:5], 0x20
	s_cmp_lt_i32 s9, 1
	v_ashrrev_i32_e32 v3, 31, v2
	s_cselect_b64 s[12:13], -1, 0
	s_cmp_gt_i32 s10, 0
	v_lshlrev_b64 v[6:7], 2, v[2:3]
	v_mov_b32_e32 v5, s3
	s_cselect_b64 s[10:11], -1, 0
	v_add_co_u32_e32 v2, vcc, s2, v6
	s_sub_i32 s9, 0, s9
	s_and_b64 s[10:11], s[12:13], s[10:11]
	v_addc_co_u32_e32 v3, vcc, v5, v7, vcc
	v_mov_b32_e32 v9, s9
	s_and_b64 vcc, s[16:17], s[10:11]
	v_cndmask_b32_e32 v9, 1, v9, vcc
	s_waitcnt lgkmcnt(0)
	v_mov_b32_e32 v5, s5
	v_mov_b32_e32 v10, s7
	s_movk_i32 s19, 0x1f8
	v_mov_b32_e32 v1, 0
	v_mov_b32_e32 v8, v0
	s_waitcnt vmcnt(0)
	v_mul_f32_e32 v4, 0xbfb8aa3b, v4
	v_exp_f32_e32 v11, v4
	v_add_co_u32_e32 v4, vcc, s4, v6
	v_addc_co_u32_e32 v5, vcc, v5, v7, vcc
	v_add_f32_e32 v11, 1.0, v11
	v_div_scale_f32 v12, s[4:5], v11, v11, 1.0
	v_rcp_f32_e32 v13, v12
	v_add_co_u32_e32 v6, vcc, s6, v6
	v_addc_co_u32_e32 v7, vcc, v10, v7, vcc
	v_fma_f32 v14, -v12, v13, 1.0
	v_div_scale_f32 v10, vcc, 1.0, v11, 1.0
	v_fmac_f32_e32 v13, v14, v13
	v_mul_f32_e32 v14, v10, v13
	v_fma_f32 v15, -v12, v14, v10
	v_fmac_f32_e32 v14, v15, v13
	v_fma_f32 v10, -v12, v14, v10
	v_div_fmas_f32 v10, v10, v13, v14
	v_div_fixup_f32 v10, v10, v11, 1.0
	v_cmp_class_f32_e64 vcc, v10, s19
	v_cndmask_b32_e32 v10, 0, v10, vcc
	s_mov_b32 s4, s8
.LBB189_6:                              ; =>This Inner Loop Header: Depth=1
	global_store_dword v[2:3], v10, off
	global_store_dword v[4:5], v9, off
	;; [unrolled: 1-line block ×3, first 2 shown]
	v_add_co_u32_e32 v2, vcc, 4, v2
	v_addc_co_u32_e32 v3, vcc, 0, v3, vcc
	v_add_co_u32_e32 v4, vcc, 4, v4
	v_addc_co_u32_e32 v5, vcc, 0, v5, vcc
	v_add_f32_e32 v11, v1, v10
	s_add_i32 s4, s4, -1
	v_add_co_u32_e32 v6, vcc, 4, v6
	v_cndmask_b32_e64 v1, v1, v11, s[0:1]
	v_add_u32_e32 v8, s18, v8
	s_cmp_lg_u32 s4, 0
	v_addc_co_u32_e32 v7, vcc, 0, v7, vcc
	s_cbranch_scc1 .LBB189_6
; %bb.7:
	s_andn2_b64 vcc, exec, s[0:1]
	s_cbranch_vccz .LBB189_9
	s_branch .LBB189_17
.LBB189_8:
	v_mov_b32_e32 v1, 0
	s_andn2_b64 vcc, exec, s[0:1]
	s_cbranch_vccnz .LBB189_17
.LBB189_9:
	s_andn2_b64 vcc, exec, s[14:15]
	s_cbranch_vccnz .LBB189_17
; %bb.10:
	v_cmp_lt_f32_e32 vcc, 0, v1
	s_mov_b32 s4, 0
	v_cndmask_b32_e32 v2, 1.0, v1, vcc
	v_mul_lo_u32 v0, v0, s8
	s_cmp_eq_u32 s8, 1
	s_mov_b64 s[0:1], -1
	s_cbranch_scc1 .LBB189_14
; %bb.11:
	s_and_b32 s4, s8, 0x7ffffffe
	v_mov_b32_e32 v1, v2
	v_mov_b32_e32 v3, s3
	s_mov_b32 s5, s4
	v_mov_b32_e32 v4, v0
.LBB189_12:                             ; =>This Inner Loop Header: Depth=1
	v_ashrrev_i32_e32 v5, 31, v4
	v_lshlrev_b64 v[6:7], 2, v[4:5]
	v_add_co_u32_e32 v6, vcc, s2, v6
	v_addc_co_u32_e32 v7, vcc, v3, v7, vcc
	global_load_dwordx2 v[8:9], v[6:7], off
	s_add_i32 s5, s5, -2
	s_cmp_lg_u32 s5, 0
	v_add_u32_e32 v4, 2, v4
	s_waitcnt vmcnt(0)
	v_div_scale_f32 v5, s[0:1], v1, v1, v9
	v_div_scale_f32 v11, s[0:1], v2, v2, v8
	v_rcp_f32_e32 v12, v5
	v_rcp_f32_e32 v13, v11
	v_div_scale_f32 v10, vcc, v9, v1, v9
	v_fma_f32 v15, -v5, v12, 1.0
	v_fma_f32 v16, -v11, v13, 1.0
	v_fmac_f32_e32 v12, v15, v12
	v_div_scale_f32 v14, s[0:1], v8, v2, v8
	v_fmac_f32_e32 v13, v16, v13
	v_mul_f32_e32 v15, v10, v12
	v_mul_f32_e32 v16, v14, v13
	v_fma_f32 v17, -v5, v15, v10
	v_fma_f32 v18, -v11, v16, v14
	v_fmac_f32_e32 v15, v17, v12
	v_fmac_f32_e32 v16, v18, v13
	v_fma_f32 v5, -v5, v15, v10
	v_fma_f32 v10, -v11, v16, v14
	v_div_fmas_f32 v5, v5, v12, v15
	s_mov_b64 vcc, s[0:1]
	v_div_fixup_f32 v9, v5, v1, v9
	v_div_fmas_f32 v5, v10, v13, v16
	v_div_fixup_f32 v8, v5, v2, v8
	global_store_dwordx2 v[6:7], v[8:9], off
	s_cbranch_scc1 .LBB189_12
; %bb.13:
	s_cmp_lg_u32 s4, s8
	s_cselect_b64 s[0:1], -1, 0
.LBB189_14:
	s_and_b64 vcc, exec, s[0:1]
	s_cbranch_vccz .LBB189_17
; %bb.15:
	v_ashrrev_i32_e32 v1, 31, v0
	v_add_co_u32_e32 v0, vcc, s4, v0
	v_addc_co_u32_e32 v1, vcc, 0, v1, vcc
	v_lshlrev_b64 v[0:1], 2, v[0:1]
	v_mov_b32_e32 v3, s3
	v_add_co_u32_e32 v0, vcc, s2, v0
	s_sub_i32 s0, s8, s4
	v_addc_co_u32_e32 v1, vcc, v3, v1, vcc
.LBB189_16:                             ; =>This Inner Loop Header: Depth=1
	global_load_dword v3, v[0:1], off
	s_add_i32 s0, s0, -1
	s_cmp_lg_u32 s0, 0
	s_waitcnt vmcnt(0)
	v_div_scale_f32 v4, s[2:3], v2, v2, v3
	v_rcp_f32_e32 v5, v4
	v_div_scale_f32 v6, vcc, v3, v2, v3
	v_fma_f32 v7, -v4, v5, 1.0
	v_fmac_f32_e32 v5, v7, v5
	v_mul_f32_e32 v7, v6, v5
	v_fma_f32 v8, -v4, v7, v6
	v_fmac_f32_e32 v7, v8, v5
	v_fma_f32 v4, -v4, v7, v6
	v_div_fmas_f32 v4, v4, v5, v7
	v_div_fixup_f32 v3, v4, v2, v3
	global_store_dword v[0:1], v3, off
	v_add_co_u32_e32 v0, vcc, 4, v0
	v_addc_co_u32_e32 v1, vcc, 0, v1, vcc
	s_cbranch_scc1 .LBB189_16
.LBB189_17:
	s_endpgm
	.section	.rodata,"a",@progbits
	.p2align	6, 0x0
	.amdhsa_kernel _ZN4vllm3moe10topkGatingILi1ELi1ELi4ELi4ELi32EifLNS0_11ScoringFuncE1EEEvPKT5_PKbPfiPT4_PiiiibPKf
		.amdhsa_group_segment_fixed_size 0
		.amdhsa_private_segment_fixed_size 0
		.amdhsa_kernarg_size 72
		.amdhsa_user_sgpr_count 6
		.amdhsa_user_sgpr_private_segment_buffer 1
		.amdhsa_user_sgpr_dispatch_ptr 0
		.amdhsa_user_sgpr_queue_ptr 0
		.amdhsa_user_sgpr_kernarg_segment_ptr 1
		.amdhsa_user_sgpr_dispatch_id 0
		.amdhsa_user_sgpr_flat_scratch_init 0
		.amdhsa_user_sgpr_kernarg_preload_length 0
		.amdhsa_user_sgpr_kernarg_preload_offset 0
		.amdhsa_user_sgpr_private_segment_size 0
		.amdhsa_uses_dynamic_stack 0
		.amdhsa_system_sgpr_private_segment_wavefront_offset 0
		.amdhsa_system_sgpr_workgroup_id_x 1
		.amdhsa_system_sgpr_workgroup_id_y 0
		.amdhsa_system_sgpr_workgroup_id_z 0
		.amdhsa_system_sgpr_workgroup_info 0
		.amdhsa_system_vgpr_workitem_id 1
		.amdhsa_next_free_vgpr 19
		.amdhsa_next_free_sgpr 20
		.amdhsa_accum_offset 20
		.amdhsa_reserve_vcc 1
		.amdhsa_reserve_flat_scratch 0
		.amdhsa_float_round_mode_32 0
		.amdhsa_float_round_mode_16_64 0
		.amdhsa_float_denorm_mode_32 3
		.amdhsa_float_denorm_mode_16_64 3
		.amdhsa_dx10_clamp 1
		.amdhsa_ieee_mode 1
		.amdhsa_fp16_overflow 0
		.amdhsa_tg_split 0
		.amdhsa_exception_fp_ieee_invalid_op 0
		.amdhsa_exception_fp_denorm_src 0
		.amdhsa_exception_fp_ieee_div_zero 0
		.amdhsa_exception_fp_ieee_overflow 0
		.amdhsa_exception_fp_ieee_underflow 0
		.amdhsa_exception_fp_ieee_inexact 0
		.amdhsa_exception_int_div_zero 0
	.end_amdhsa_kernel
	.section	.text._ZN4vllm3moe10topkGatingILi1ELi1ELi4ELi4ELi32EifLNS0_11ScoringFuncE1EEEvPKT5_PKbPfiPT4_PiiiibPKf,"axG",@progbits,_ZN4vllm3moe10topkGatingILi1ELi1ELi4ELi4ELi32EifLNS0_11ScoringFuncE1EEEvPKT5_PKbPfiPT4_PiiiibPKf,comdat
.Lfunc_end189:
	.size	_ZN4vllm3moe10topkGatingILi1ELi1ELi4ELi4ELi32EifLNS0_11ScoringFuncE1EEEvPKT5_PKbPfiPT4_PiiiibPKf, .Lfunc_end189-_ZN4vllm3moe10topkGatingILi1ELi1ELi4ELi4ELi32EifLNS0_11ScoringFuncE1EEEvPKT5_PKbPfiPT4_PiiiibPKf
                                        ; -- End function
	.section	.AMDGPU.csdata,"",@progbits
; Kernel info:
; codeLenInByte = 960
; NumSgprs: 24
; NumVgprs: 19
; NumAgprs: 0
; TotalNumVgprs: 19
; ScratchSize: 0
; MemoryBound: 0
; FloatMode: 240
; IeeeMode: 1
; LDSByteSize: 0 bytes/workgroup (compile time only)
; SGPRBlocks: 2
; VGPRBlocks: 2
; NumSGPRsForWavesPerEU: 24
; NumVGPRsForWavesPerEU: 19
; AccumOffset: 20
; Occupancy: 8
; WaveLimiterHint : 0
; COMPUTE_PGM_RSRC2:SCRATCH_EN: 0
; COMPUTE_PGM_RSRC2:USER_SGPR: 6
; COMPUTE_PGM_RSRC2:TRAP_HANDLER: 0
; COMPUTE_PGM_RSRC2:TGID_X_EN: 1
; COMPUTE_PGM_RSRC2:TGID_Y_EN: 0
; COMPUTE_PGM_RSRC2:TGID_Z_EN: 0
; COMPUTE_PGM_RSRC2:TIDIG_COMP_CNT: 1
; COMPUTE_PGM_RSRC3_GFX90A:ACCUM_OFFSET: 4
; COMPUTE_PGM_RSRC3_GFX90A:TG_SPLIT: 0
	.section	.text._ZN4vllm3moe10topkGatingILi2ELi2ELi4ELi8ELi64EifLNS0_11ScoringFuncE1EEEvPKT5_PKbPfiPT4_PiiiibPKf,"axG",@progbits,_ZN4vllm3moe10topkGatingILi2ELi2ELi4ELi8ELi64EifLNS0_11ScoringFuncE1EEEvPKT5_PKbPfiPT4_PiiiibPKf,comdat
	.protected	_ZN4vllm3moe10topkGatingILi2ELi2ELi4ELi8ELi64EifLNS0_11ScoringFuncE1EEEvPKT5_PKbPfiPT4_PiiiibPKf ; -- Begin function _ZN4vllm3moe10topkGatingILi2ELi2ELi4ELi8ELi64EifLNS0_11ScoringFuncE1EEEvPKT5_PKbPfiPT4_PiiiibPKf
	.globl	_ZN4vllm3moe10topkGatingILi2ELi2ELi4ELi8ELi64EifLNS0_11ScoringFuncE1EEEvPKT5_PKbPfiPT4_PiiiibPKf
	.p2align	8
	.type	_ZN4vllm3moe10topkGatingILi2ELi2ELi4ELi8ELi64EifLNS0_11ScoringFuncE1EEEvPKT5_PKbPfiPT4_PiiiibPKf,@function
_ZN4vllm3moe10topkGatingILi2ELi2ELi4ELi8ELi64EifLNS0_11ScoringFuncE1EEEvPKT5_PKbPfiPT4_PiiiibPKf: ; @_ZN4vllm3moe10topkGatingILi2ELi2ELi4ELi8ELi64EifLNS0_11ScoringFuncE1EEEvPKT5_PKbPfiPT4_PiiiibPKf
; %bb.0:
	s_load_dword s16, s[4:5], 0x18
	v_bfe_u32 v1, v0, 10, 10
	s_lshl_b32 s0, s6, 8
	v_lshlrev_b32_e32 v1, 6, v1
	v_and_b32_e32 v0, 0x3ff, v0
	v_add3_u32 v10, v1, v0, s0
	s_waitcnt lgkmcnt(0)
	v_cmp_gt_i32_e32 vcc, s16, v10
	s_and_saveexec_b64 s[0:1], vcc
	s_cbranch_execz .LBB190_19
; %bb.1:
	s_load_dwordx4 s[0:3], s[4:5], 0x0
	s_load_dwordx2 s[6:7], s[4:5], 0x10
	s_waitcnt lgkmcnt(0)
	s_cmp_eq_u64 s[2:3], 0
	s_cbranch_scc1 .LBB190_3
; %bb.2:
	v_ashrrev_i32_e32 v1, 31, v10
	v_mov_b32_e32 v2, s3
	v_add_co_u32_e32 v0, vcc, s2, v10
	v_addc_co_u32_e32 v1, vcc, v2, v1, vcc
	global_load_ubyte v0, v[0:1], off
	s_waitcnt vmcnt(0)
	v_and_b32_e32 v0, 1, v0
	v_cmp_eq_u32_e32 vcc, 1, v0
	s_xor_b64 s[2:3], vcc, -1
	s_orn2_b64 s[12:13], s[2:3], exec
	s_branch .LBB190_4
.LBB190_3:
	s_mov_b64 s[12:13], -1
.LBB190_4:
	v_lshlrev_b32_e32 v0, 1, v10
	v_ashrrev_i32_e32 v1, 31, v0
	v_lshlrev_b64 v[0:1], 2, v[0:1]
	v_mov_b32_e32 v2, s1
	v_add_co_u32_e32 v0, vcc, s0, v0
	v_addc_co_u32_e32 v1, vcc, v2, v1, vcc
	global_load_dwordx2 v[0:1], v[0:1], off
	s_load_dwordx2 s[2:3], s[4:5], 0x40
	s_movk_i32 s8, 0x1f8
	s_waitcnt lgkmcnt(0)
	s_cmp_eq_u64 s[2:3], 0
	s_waitcnt vmcnt(0)
	v_mul_f32_e32 v0, 0xbfb8aa3b, v0
	v_mul_f32_e32 v1, 0xbfb8aa3b, v1
	v_exp_f32_e32 v0, v0
	v_exp_f32_e32 v1, v1
	v_pk_add_f32 v[0:1], v[0:1], 1.0 op_sel_hi:[1,0]
	v_div_scale_f32 v2, s[0:1], v1, v1, 1.0
	v_div_scale_f32 v4, s[0:1], v0, v0, 1.0
	v_rcp_f32_e32 v5, v2
	v_rcp_f32_e32 v6, v4
	v_div_scale_f32 v3, vcc, 1.0, v1, 1.0
	v_fma_f32 v8, -v2, v5, 1.0
	v_fma_f32 v9, -v4, v6, 1.0
	v_fmac_f32_e32 v5, v8, v5
	v_div_scale_f32 v7, s[0:1], 1.0, v0, 1.0
	v_fmac_f32_e32 v6, v9, v6
	v_mul_f32_e32 v8, v3, v5
	v_mul_f32_e32 v9, v7, v6
	v_fma_f32 v11, -v2, v8, v3
	v_fma_f32 v12, -v4, v9, v7
	v_fmac_f32_e32 v8, v11, v5
	v_fmac_f32_e32 v9, v12, v6
	v_fma_f32 v2, -v2, v8, v3
	v_fma_f32 v3, -v4, v9, v7
	v_div_fmas_f32 v2, v2, v5, v8
	s_mov_b64 vcc, s[0:1]
	v_div_fixup_f32 v1, v2, v1, 1.0
	v_div_fmas_f32 v2, v3, v6, v9
	v_div_fixup_f32 v0, v2, v0, 1.0
	v_cmp_class_f32_e64 vcc, v1, s8
	v_cndmask_b32_e32 v1, 0, v1, vcc
	v_cmp_class_f32_e64 vcc, v0, s8
	v_cndmask_b32_e32 v0, 0, v0, vcc
	v_pk_mov_b32 v[2:3], v[0:1], v[0:1] op_sel:[0,1]
	s_cbranch_scc1 .LBB190_6
; %bb.5:
	s_load_dwordx2 s[0:1], s[2:3], 0x0
	s_waitcnt lgkmcnt(0)
	v_pk_add_f32 v[2:3], v[0:1], s[0:1]
.LBB190_6:
	s_load_dwordx4 s[8:11], s[4:5], 0x30
	s_waitcnt lgkmcnt(0)
	s_bitcmp1_b32 s11, 0
	s_cselect_b64 vcc, -1, 0
	s_cmp_gt_i32 s8, 0
	s_cselect_b64 s[14:15], -1, 0
	s_cmp_lt_i32 s8, 1
	s_cbranch_scc1 .LBB190_10
; %bb.7:
	s_load_dwordx4 s[20:23], s[4:5], 0x20
	v_mul_lo_u32 v4, v10, s8
	v_ashrrev_i32_e32 v5, 31, v4
	v_lshlrev_b64 v[8:9], 2, v[4:5]
	v_mov_b32_e32 v5, s7
	v_add_co_u32_e64 v4, s[0:1], s6, v8
	v_addc_co_u32_e64 v5, s[0:1], v5, v9, s[0:1]
	s_waitcnt lgkmcnt(0)
	v_mov_b32_e32 v7, s21
	v_add_co_u32_e64 v6, s[0:1], s20, v8
	v_addc_co_u32_e64 v7, s[0:1], v7, v9, s[0:1]
	v_mov_b32_e32 v11, s23
	v_add_co_u32_e64 v8, s[0:1], s22, v8
	v_addc_co_u32_e64 v9, s[0:1], v11, v9, s[0:1]
	s_mov_b32 s11, 0
	v_mov_b32_e32 v11, 0
	v_mov_b32_e32 v12, 0xc61c4000
	v_mov_b32_e32 v13, v10
.LBB190_8:                              ; =>This Inner Loop Header: Depth=1
	v_cmp_gt_f32_e64 s[0:1], v3, v2
	v_cndmask_b32_e64 v14, 0, 1, s[0:1]
	v_cmp_le_i32_e64 s[2:3], s9, v14
	v_cmp_gt_i32_e64 s[4:5], s10, v14
	s_and_b64 s[2:3], s[2:3], s[4:5]
	v_subrev_u32_e32 v14, s9, v14
	s_and_b64 s[2:3], s[12:13], s[2:3]
	v_cndmask_b32_e64 v15, v0, v1, s[0:1]
	v_cndmask_b32_e64 v14, 2, v14, s[2:3]
	s_add_i32 s11, s11, 1
	global_store_dword v[4:5], v15, off
	global_store_dword v[6:7], v14, off
	;; [unrolled: 1-line block ×3, first 2 shown]
	v_add_f32_e32 v14, v11, v15
	s_cmp_lt_i32 s11, s8
	v_cndmask_b32_e32 v11, v11, v14, vcc
	v_cndmask_b32_e64 v14, v12, v2, s[0:1]
	v_cndmask_b32_e64 v15, v3, v12, s[0:1]
	s_cselect_b64 s[0:1], -1, 0
	v_cndmask_b32_e64 v3, v3, v15, s[0:1]
	v_cndmask_b32_e64 v2, v2, v14, s[0:1]
	v_add_co_u32_e64 v4, s[0:1], 4, v4
	v_addc_co_u32_e64 v5, s[0:1], 0, v5, s[0:1]
	v_add_co_u32_e64 v6, s[0:1], 4, v6
	v_addc_co_u32_e64 v7, s[0:1], 0, v7, s[0:1]
	v_add_co_u32_e64 v8, s[0:1], 4, v8
	v_add_u32_e32 v13, s16, v13
	s_cmp_eq_u32 s8, s11
	v_addc_co_u32_e64 v9, s[0:1], 0, v9, s[0:1]
	s_cbranch_scc0 .LBB190_8
; %bb.9:
	s_and_b64 vcc, exec, vcc
	s_cbranch_vccnz .LBB190_11
	s_branch .LBB190_19
.LBB190_10:
	v_mov_b32_e32 v11, 0
	s_and_b64 vcc, exec, vcc
	s_cbranch_vccz .LBB190_19
.LBB190_11:
	s_andn2_b64 vcc, exec, s[14:15]
	s_cbranch_vccnz .LBB190_19
; %bb.12:
	v_cmp_lt_f32_e32 vcc, 0, v11
	s_mov_b32 s2, 0
	v_cndmask_b32_e32 v0, 1.0, v11, vcc
	v_mul_lo_u32 v4, v10, s8
	s_cmp_eq_u32 s8, 1
	s_mov_b64 s[0:1], -1
	s_cbranch_scc1 .LBB190_16
; %bb.13:
	s_and_b32 s2, s8, 0x7ffffffe
	v_mov_b32_e32 v1, v0
	v_mov_b32_e32 v5, s7
	s_mov_b32 s3, s2
	v_mov_b32_e32 v2, v4
.LBB190_14:                             ; =>This Inner Loop Header: Depth=1
	v_ashrrev_i32_e32 v3, 31, v2
	v_lshlrev_b64 v[6:7], 2, v[2:3]
	v_add_co_u32_e32 v6, vcc, s6, v6
	v_addc_co_u32_e32 v7, vcc, v5, v7, vcc
	global_load_dwordx2 v[8:9], v[6:7], off
	s_add_i32 s3, s3, -2
	s_cmp_lg_u32 s3, 0
	v_add_u32_e32 v2, 2, v2
	s_waitcnt vmcnt(0)
	v_div_scale_f32 v3, s[0:1], v1, v1, v9
	v_div_scale_f32 v11, s[0:1], v0, v0, v8
	v_rcp_f32_e32 v12, v3
	v_rcp_f32_e32 v13, v11
	v_div_scale_f32 v10, vcc, v9, v1, v9
	v_fma_f32 v15, -v3, v12, 1.0
	v_fma_f32 v16, -v11, v13, 1.0
	v_fmac_f32_e32 v12, v15, v12
	v_div_scale_f32 v14, s[0:1], v8, v0, v8
	v_fmac_f32_e32 v13, v16, v13
	v_mul_f32_e32 v15, v10, v12
	v_mul_f32_e32 v16, v14, v13
	v_fma_f32 v17, -v3, v15, v10
	v_fma_f32 v18, -v11, v16, v14
	v_fmac_f32_e32 v15, v17, v12
	v_fmac_f32_e32 v16, v18, v13
	v_fma_f32 v3, -v3, v15, v10
	v_fma_f32 v10, -v11, v16, v14
	v_div_fmas_f32 v3, v3, v12, v15
	s_mov_b64 vcc, s[0:1]
	v_div_fixup_f32 v9, v3, v1, v9
	v_div_fmas_f32 v3, v10, v13, v16
	v_div_fixup_f32 v8, v3, v0, v8
	global_store_dwordx2 v[6:7], v[8:9], off
	s_cbranch_scc1 .LBB190_14
; %bb.15:
	s_cmp_lg_u32 s2, s8
	s_cselect_b64 s[0:1], -1, 0
.LBB190_16:
	s_and_b64 vcc, exec, s[0:1]
	s_cbranch_vccz .LBB190_19
; %bb.17:
	v_ashrrev_i32_e32 v1, 31, v4
	v_add_co_u32_e32 v2, vcc, s2, v4
	v_addc_co_u32_e32 v3, vcc, 0, v1, vcc
	v_lshlrev_b64 v[2:3], 2, v[2:3]
	v_mov_b32_e32 v1, s7
	v_add_co_u32_e32 v2, vcc, s6, v2
	s_sub_i32 s0, s8, s2
	v_addc_co_u32_e32 v3, vcc, v1, v3, vcc
.LBB190_18:                             ; =>This Inner Loop Header: Depth=1
	global_load_dword v1, v[2:3], off
	s_add_i32 s0, s0, -1
	s_cmp_lg_u32 s0, 0
	s_waitcnt vmcnt(0)
	v_div_scale_f32 v4, s[2:3], v0, v0, v1
	v_rcp_f32_e32 v5, v4
	v_div_scale_f32 v6, vcc, v1, v0, v1
	v_fma_f32 v7, -v4, v5, 1.0
	v_fmac_f32_e32 v5, v7, v5
	v_mul_f32_e32 v7, v6, v5
	v_fma_f32 v8, -v4, v7, v6
	v_fmac_f32_e32 v7, v8, v5
	v_fma_f32 v4, -v4, v7, v6
	v_div_fmas_f32 v4, v4, v5, v7
	v_div_fixup_f32 v1, v4, v0, v1
	global_store_dword v[2:3], v1, off
	v_add_co_u32_e32 v2, vcc, 4, v2
	v_addc_co_u32_e32 v3, vcc, 0, v3, vcc
	s_cbranch_scc1 .LBB190_18
.LBB190_19:
	s_endpgm
	.section	.rodata,"a",@progbits
	.p2align	6, 0x0
	.amdhsa_kernel _ZN4vllm3moe10topkGatingILi2ELi2ELi4ELi8ELi64EifLNS0_11ScoringFuncE1EEEvPKT5_PKbPfiPT4_PiiiibPKf
		.amdhsa_group_segment_fixed_size 0
		.amdhsa_private_segment_fixed_size 0
		.amdhsa_kernarg_size 72
		.amdhsa_user_sgpr_count 6
		.amdhsa_user_sgpr_private_segment_buffer 1
		.amdhsa_user_sgpr_dispatch_ptr 0
		.amdhsa_user_sgpr_queue_ptr 0
		.amdhsa_user_sgpr_kernarg_segment_ptr 1
		.amdhsa_user_sgpr_dispatch_id 0
		.amdhsa_user_sgpr_flat_scratch_init 0
		.amdhsa_user_sgpr_kernarg_preload_length 0
		.amdhsa_user_sgpr_kernarg_preload_offset 0
		.amdhsa_user_sgpr_private_segment_size 0
		.amdhsa_uses_dynamic_stack 0
		.amdhsa_system_sgpr_private_segment_wavefront_offset 0
		.amdhsa_system_sgpr_workgroup_id_x 1
		.amdhsa_system_sgpr_workgroup_id_y 0
		.amdhsa_system_sgpr_workgroup_id_z 0
		.amdhsa_system_sgpr_workgroup_info 0
		.amdhsa_system_vgpr_workitem_id 1
		.amdhsa_next_free_vgpr 19
		.amdhsa_next_free_sgpr 24
		.amdhsa_accum_offset 20
		.amdhsa_reserve_vcc 1
		.amdhsa_reserve_flat_scratch 0
		.amdhsa_float_round_mode_32 0
		.amdhsa_float_round_mode_16_64 0
		.amdhsa_float_denorm_mode_32 3
		.amdhsa_float_denorm_mode_16_64 3
		.amdhsa_dx10_clamp 1
		.amdhsa_ieee_mode 1
		.amdhsa_fp16_overflow 0
		.amdhsa_tg_split 0
		.amdhsa_exception_fp_ieee_invalid_op 0
		.amdhsa_exception_fp_denorm_src 0
		.amdhsa_exception_fp_ieee_div_zero 0
		.amdhsa_exception_fp_ieee_overflow 0
		.amdhsa_exception_fp_ieee_underflow 0
		.amdhsa_exception_fp_ieee_inexact 0
		.amdhsa_exception_int_div_zero 0
	.end_amdhsa_kernel
	.section	.text._ZN4vllm3moe10topkGatingILi2ELi2ELi4ELi8ELi64EifLNS0_11ScoringFuncE1EEEvPKT5_PKbPfiPT4_PiiiibPKf,"axG",@progbits,_ZN4vllm3moe10topkGatingILi2ELi2ELi4ELi8ELi64EifLNS0_11ScoringFuncE1EEEvPKT5_PKbPfiPT4_PiiiibPKf,comdat
.Lfunc_end190:
	.size	_ZN4vllm3moe10topkGatingILi2ELi2ELi4ELi8ELi64EifLNS0_11ScoringFuncE1EEEvPKT5_PKbPfiPT4_PiiiibPKf, .Lfunc_end190-_ZN4vllm3moe10topkGatingILi2ELi2ELi4ELi8ELi64EifLNS0_11ScoringFuncE1EEEvPKT5_PKbPfiPT4_PiiiibPKf
                                        ; -- End function
	.section	.AMDGPU.csdata,"",@progbits
; Kernel info:
; codeLenInByte = 1236
; NumSgprs: 28
; NumVgprs: 19
; NumAgprs: 0
; TotalNumVgprs: 19
; ScratchSize: 0
; MemoryBound: 1
; FloatMode: 240
; IeeeMode: 1
; LDSByteSize: 0 bytes/workgroup (compile time only)
; SGPRBlocks: 3
; VGPRBlocks: 2
; NumSGPRsForWavesPerEU: 28
; NumVGPRsForWavesPerEU: 19
; AccumOffset: 20
; Occupancy: 8
; WaveLimiterHint : 0
; COMPUTE_PGM_RSRC2:SCRATCH_EN: 0
; COMPUTE_PGM_RSRC2:USER_SGPR: 6
; COMPUTE_PGM_RSRC2:TRAP_HANDLER: 0
; COMPUTE_PGM_RSRC2:TGID_X_EN: 1
; COMPUTE_PGM_RSRC2:TGID_Y_EN: 0
; COMPUTE_PGM_RSRC2:TGID_Z_EN: 0
; COMPUTE_PGM_RSRC2:TIDIG_COMP_CNT: 1
; COMPUTE_PGM_RSRC3_GFX90A:ACCUM_OFFSET: 4
; COMPUTE_PGM_RSRC3_GFX90A:TG_SPLIT: 0
	.section	.text._ZN4vllm3moe10topkGatingILi2ELi2ELi4ELi8ELi32EifLNS0_11ScoringFuncE1EEEvPKT5_PKbPfiPT4_PiiiibPKf,"axG",@progbits,_ZN4vllm3moe10topkGatingILi2ELi2ELi4ELi8ELi32EifLNS0_11ScoringFuncE1EEEvPKT5_PKbPfiPT4_PiiiibPKf,comdat
	.protected	_ZN4vllm3moe10topkGatingILi2ELi2ELi4ELi8ELi32EifLNS0_11ScoringFuncE1EEEvPKT5_PKbPfiPT4_PiiiibPKf ; -- Begin function _ZN4vllm3moe10topkGatingILi2ELi2ELi4ELi8ELi32EifLNS0_11ScoringFuncE1EEEvPKT5_PKbPfiPT4_PiiiibPKf
	.globl	_ZN4vllm3moe10topkGatingILi2ELi2ELi4ELi8ELi32EifLNS0_11ScoringFuncE1EEEvPKT5_PKbPfiPT4_PiiiibPKf
	.p2align	8
	.type	_ZN4vllm3moe10topkGatingILi2ELi2ELi4ELi8ELi32EifLNS0_11ScoringFuncE1EEEvPKT5_PKbPfiPT4_PiiiibPKf,@function
_ZN4vllm3moe10topkGatingILi2ELi2ELi4ELi8ELi32EifLNS0_11ScoringFuncE1EEEvPKT5_PKbPfiPT4_PiiiibPKf: ; @_ZN4vllm3moe10topkGatingILi2ELi2ELi4ELi8ELi32EifLNS0_11ScoringFuncE1EEEvPKT5_PKbPfiPT4_PiiiibPKf
; %bb.0:
	s_load_dword s16, s[4:5], 0x18
	v_bfe_u32 v1, v0, 10, 10
	s_lshl_b32 s0, s6, 7
	v_lshlrev_b32_e32 v1, 5, v1
	v_and_b32_e32 v0, 0x3ff, v0
	v_add3_u32 v10, v1, v0, s0
	s_waitcnt lgkmcnt(0)
	v_cmp_gt_i32_e32 vcc, s16, v10
	s_and_saveexec_b64 s[0:1], vcc
	s_cbranch_execz .LBB191_19
; %bb.1:
	s_load_dwordx4 s[0:3], s[4:5], 0x0
	s_load_dwordx2 s[6:7], s[4:5], 0x10
	s_waitcnt lgkmcnt(0)
	s_cmp_eq_u64 s[2:3], 0
	s_cbranch_scc1 .LBB191_3
; %bb.2:
	v_ashrrev_i32_e32 v1, 31, v10
	v_mov_b32_e32 v2, s3
	v_add_co_u32_e32 v0, vcc, s2, v10
	v_addc_co_u32_e32 v1, vcc, v2, v1, vcc
	global_load_ubyte v0, v[0:1], off
	s_waitcnt vmcnt(0)
	v_and_b32_e32 v0, 1, v0
	v_cmp_eq_u32_e32 vcc, 1, v0
	s_xor_b64 s[2:3], vcc, -1
	s_orn2_b64 s[12:13], s[2:3], exec
	s_branch .LBB191_4
.LBB191_3:
	s_mov_b64 s[12:13], -1
.LBB191_4:
	v_lshlrev_b32_e32 v0, 1, v10
	v_ashrrev_i32_e32 v1, 31, v0
	v_lshlrev_b64 v[0:1], 2, v[0:1]
	v_mov_b32_e32 v2, s1
	v_add_co_u32_e32 v0, vcc, s0, v0
	v_addc_co_u32_e32 v1, vcc, v2, v1, vcc
	global_load_dwordx2 v[0:1], v[0:1], off
	s_load_dwordx2 s[2:3], s[4:5], 0x40
	s_movk_i32 s8, 0x1f8
	s_waitcnt lgkmcnt(0)
	s_cmp_eq_u64 s[2:3], 0
	s_waitcnt vmcnt(0)
	v_mul_f32_e32 v0, 0xbfb8aa3b, v0
	v_mul_f32_e32 v1, 0xbfb8aa3b, v1
	v_exp_f32_e32 v0, v0
	v_exp_f32_e32 v1, v1
	v_pk_add_f32 v[0:1], v[0:1], 1.0 op_sel_hi:[1,0]
	v_div_scale_f32 v2, s[0:1], v1, v1, 1.0
	v_div_scale_f32 v4, s[0:1], v0, v0, 1.0
	v_rcp_f32_e32 v5, v2
	v_rcp_f32_e32 v6, v4
	v_div_scale_f32 v3, vcc, 1.0, v1, 1.0
	v_fma_f32 v8, -v2, v5, 1.0
	v_fma_f32 v9, -v4, v6, 1.0
	v_fmac_f32_e32 v5, v8, v5
	v_div_scale_f32 v7, s[0:1], 1.0, v0, 1.0
	v_fmac_f32_e32 v6, v9, v6
	v_mul_f32_e32 v8, v3, v5
	v_mul_f32_e32 v9, v7, v6
	v_fma_f32 v11, -v2, v8, v3
	v_fma_f32 v12, -v4, v9, v7
	v_fmac_f32_e32 v8, v11, v5
	v_fmac_f32_e32 v9, v12, v6
	v_fma_f32 v2, -v2, v8, v3
	v_fma_f32 v3, -v4, v9, v7
	v_div_fmas_f32 v2, v2, v5, v8
	s_mov_b64 vcc, s[0:1]
	v_div_fixup_f32 v1, v2, v1, 1.0
	v_div_fmas_f32 v2, v3, v6, v9
	v_div_fixup_f32 v0, v2, v0, 1.0
	v_cmp_class_f32_e64 vcc, v1, s8
	v_cndmask_b32_e32 v1, 0, v1, vcc
	v_cmp_class_f32_e64 vcc, v0, s8
	v_cndmask_b32_e32 v0, 0, v0, vcc
	v_pk_mov_b32 v[2:3], v[0:1], v[0:1] op_sel:[0,1]
	s_cbranch_scc1 .LBB191_6
; %bb.5:
	s_load_dwordx2 s[0:1], s[2:3], 0x0
	s_waitcnt lgkmcnt(0)
	v_pk_add_f32 v[2:3], v[0:1], s[0:1]
.LBB191_6:
	s_load_dwordx4 s[8:11], s[4:5], 0x30
	s_waitcnt lgkmcnt(0)
	s_bitcmp1_b32 s11, 0
	s_cselect_b64 vcc, -1, 0
	s_cmp_gt_i32 s8, 0
	s_cselect_b64 s[14:15], -1, 0
	s_cmp_lt_i32 s8, 1
	s_cbranch_scc1 .LBB191_10
; %bb.7:
	s_load_dwordx4 s[20:23], s[4:5], 0x20
	v_mul_lo_u32 v4, v10, s8
	v_ashrrev_i32_e32 v5, 31, v4
	v_lshlrev_b64 v[8:9], 2, v[4:5]
	v_mov_b32_e32 v5, s7
	v_add_co_u32_e64 v4, s[0:1], s6, v8
	v_addc_co_u32_e64 v5, s[0:1], v5, v9, s[0:1]
	s_waitcnt lgkmcnt(0)
	v_mov_b32_e32 v7, s21
	v_add_co_u32_e64 v6, s[0:1], s20, v8
	v_addc_co_u32_e64 v7, s[0:1], v7, v9, s[0:1]
	v_mov_b32_e32 v11, s23
	v_add_co_u32_e64 v8, s[0:1], s22, v8
	v_addc_co_u32_e64 v9, s[0:1], v11, v9, s[0:1]
	s_mov_b32 s11, 0
	v_mov_b32_e32 v11, 0
	v_mov_b32_e32 v12, 0xc61c4000
	;; [unrolled: 1-line block ×3, first 2 shown]
.LBB191_8:                              ; =>This Inner Loop Header: Depth=1
	v_cmp_gt_f32_e64 s[0:1], v3, v2
	v_cndmask_b32_e64 v14, 0, 1, s[0:1]
	v_cmp_le_i32_e64 s[2:3], s9, v14
	v_cmp_gt_i32_e64 s[4:5], s10, v14
	s_and_b64 s[2:3], s[2:3], s[4:5]
	v_subrev_u32_e32 v14, s9, v14
	s_and_b64 s[2:3], s[12:13], s[2:3]
	v_cndmask_b32_e64 v15, v0, v1, s[0:1]
	v_cndmask_b32_e64 v14, 2, v14, s[2:3]
	s_add_i32 s11, s11, 1
	global_store_dword v[4:5], v15, off
	global_store_dword v[6:7], v14, off
	;; [unrolled: 1-line block ×3, first 2 shown]
	v_add_f32_e32 v14, v11, v15
	s_cmp_lt_i32 s11, s8
	v_cndmask_b32_e32 v11, v11, v14, vcc
	v_cndmask_b32_e64 v14, v12, v2, s[0:1]
	v_cndmask_b32_e64 v15, v3, v12, s[0:1]
	s_cselect_b64 s[0:1], -1, 0
	v_cndmask_b32_e64 v3, v3, v15, s[0:1]
	v_cndmask_b32_e64 v2, v2, v14, s[0:1]
	v_add_co_u32_e64 v4, s[0:1], 4, v4
	v_addc_co_u32_e64 v5, s[0:1], 0, v5, s[0:1]
	v_add_co_u32_e64 v6, s[0:1], 4, v6
	v_addc_co_u32_e64 v7, s[0:1], 0, v7, s[0:1]
	v_add_co_u32_e64 v8, s[0:1], 4, v8
	v_add_u32_e32 v13, s16, v13
	s_cmp_eq_u32 s8, s11
	v_addc_co_u32_e64 v9, s[0:1], 0, v9, s[0:1]
	s_cbranch_scc0 .LBB191_8
; %bb.9:
	s_and_b64 vcc, exec, vcc
	s_cbranch_vccnz .LBB191_11
	s_branch .LBB191_19
.LBB191_10:
	v_mov_b32_e32 v11, 0
	s_and_b64 vcc, exec, vcc
	s_cbranch_vccz .LBB191_19
.LBB191_11:
	s_andn2_b64 vcc, exec, s[14:15]
	s_cbranch_vccnz .LBB191_19
; %bb.12:
	v_cmp_lt_f32_e32 vcc, 0, v11
	s_mov_b32 s2, 0
	v_cndmask_b32_e32 v0, 1.0, v11, vcc
	v_mul_lo_u32 v4, v10, s8
	s_cmp_eq_u32 s8, 1
	s_mov_b64 s[0:1], -1
	s_cbranch_scc1 .LBB191_16
; %bb.13:
	s_and_b32 s2, s8, 0x7ffffffe
	v_mov_b32_e32 v1, v0
	v_mov_b32_e32 v5, s7
	s_mov_b32 s3, s2
	v_mov_b32_e32 v2, v4
.LBB191_14:                             ; =>This Inner Loop Header: Depth=1
	v_ashrrev_i32_e32 v3, 31, v2
	v_lshlrev_b64 v[6:7], 2, v[2:3]
	v_add_co_u32_e32 v6, vcc, s6, v6
	v_addc_co_u32_e32 v7, vcc, v5, v7, vcc
	global_load_dwordx2 v[8:9], v[6:7], off
	s_add_i32 s3, s3, -2
	s_cmp_lg_u32 s3, 0
	v_add_u32_e32 v2, 2, v2
	s_waitcnt vmcnt(0)
	v_div_scale_f32 v3, s[0:1], v1, v1, v9
	v_div_scale_f32 v11, s[0:1], v0, v0, v8
	v_rcp_f32_e32 v12, v3
	v_rcp_f32_e32 v13, v11
	v_div_scale_f32 v10, vcc, v9, v1, v9
	v_fma_f32 v15, -v3, v12, 1.0
	v_fma_f32 v16, -v11, v13, 1.0
	v_fmac_f32_e32 v12, v15, v12
	v_div_scale_f32 v14, s[0:1], v8, v0, v8
	v_fmac_f32_e32 v13, v16, v13
	v_mul_f32_e32 v15, v10, v12
	v_mul_f32_e32 v16, v14, v13
	v_fma_f32 v17, -v3, v15, v10
	v_fma_f32 v18, -v11, v16, v14
	v_fmac_f32_e32 v15, v17, v12
	v_fmac_f32_e32 v16, v18, v13
	v_fma_f32 v3, -v3, v15, v10
	v_fma_f32 v10, -v11, v16, v14
	v_div_fmas_f32 v3, v3, v12, v15
	s_mov_b64 vcc, s[0:1]
	v_div_fixup_f32 v9, v3, v1, v9
	v_div_fmas_f32 v3, v10, v13, v16
	v_div_fixup_f32 v8, v3, v0, v8
	global_store_dwordx2 v[6:7], v[8:9], off
	s_cbranch_scc1 .LBB191_14
; %bb.15:
	s_cmp_lg_u32 s2, s8
	s_cselect_b64 s[0:1], -1, 0
.LBB191_16:
	s_and_b64 vcc, exec, s[0:1]
	s_cbranch_vccz .LBB191_19
; %bb.17:
	v_ashrrev_i32_e32 v1, 31, v4
	v_add_co_u32_e32 v2, vcc, s2, v4
	v_addc_co_u32_e32 v3, vcc, 0, v1, vcc
	v_lshlrev_b64 v[2:3], 2, v[2:3]
	v_mov_b32_e32 v1, s7
	v_add_co_u32_e32 v2, vcc, s6, v2
	s_sub_i32 s0, s8, s2
	v_addc_co_u32_e32 v3, vcc, v1, v3, vcc
.LBB191_18:                             ; =>This Inner Loop Header: Depth=1
	global_load_dword v1, v[2:3], off
	s_add_i32 s0, s0, -1
	s_cmp_lg_u32 s0, 0
	s_waitcnt vmcnt(0)
	v_div_scale_f32 v4, s[2:3], v0, v0, v1
	v_rcp_f32_e32 v5, v4
	v_div_scale_f32 v6, vcc, v1, v0, v1
	v_fma_f32 v7, -v4, v5, 1.0
	v_fmac_f32_e32 v5, v7, v5
	v_mul_f32_e32 v7, v6, v5
	v_fma_f32 v8, -v4, v7, v6
	v_fmac_f32_e32 v7, v8, v5
	v_fma_f32 v4, -v4, v7, v6
	v_div_fmas_f32 v4, v4, v5, v7
	v_div_fixup_f32 v1, v4, v0, v1
	global_store_dword v[2:3], v1, off
	v_add_co_u32_e32 v2, vcc, 4, v2
	v_addc_co_u32_e32 v3, vcc, 0, v3, vcc
	s_cbranch_scc1 .LBB191_18
.LBB191_19:
	s_endpgm
	.section	.rodata,"a",@progbits
	.p2align	6, 0x0
	.amdhsa_kernel _ZN4vllm3moe10topkGatingILi2ELi2ELi4ELi8ELi32EifLNS0_11ScoringFuncE1EEEvPKT5_PKbPfiPT4_PiiiibPKf
		.amdhsa_group_segment_fixed_size 0
		.amdhsa_private_segment_fixed_size 0
		.amdhsa_kernarg_size 72
		.amdhsa_user_sgpr_count 6
		.amdhsa_user_sgpr_private_segment_buffer 1
		.amdhsa_user_sgpr_dispatch_ptr 0
		.amdhsa_user_sgpr_queue_ptr 0
		.amdhsa_user_sgpr_kernarg_segment_ptr 1
		.amdhsa_user_sgpr_dispatch_id 0
		.amdhsa_user_sgpr_flat_scratch_init 0
		.amdhsa_user_sgpr_kernarg_preload_length 0
		.amdhsa_user_sgpr_kernarg_preload_offset 0
		.amdhsa_user_sgpr_private_segment_size 0
		.amdhsa_uses_dynamic_stack 0
		.amdhsa_system_sgpr_private_segment_wavefront_offset 0
		.amdhsa_system_sgpr_workgroup_id_x 1
		.amdhsa_system_sgpr_workgroup_id_y 0
		.amdhsa_system_sgpr_workgroup_id_z 0
		.amdhsa_system_sgpr_workgroup_info 0
		.amdhsa_system_vgpr_workitem_id 1
		.amdhsa_next_free_vgpr 19
		.amdhsa_next_free_sgpr 24
		.amdhsa_accum_offset 20
		.amdhsa_reserve_vcc 1
		.amdhsa_reserve_flat_scratch 0
		.amdhsa_float_round_mode_32 0
		.amdhsa_float_round_mode_16_64 0
		.amdhsa_float_denorm_mode_32 3
		.amdhsa_float_denorm_mode_16_64 3
		.amdhsa_dx10_clamp 1
		.amdhsa_ieee_mode 1
		.amdhsa_fp16_overflow 0
		.amdhsa_tg_split 0
		.amdhsa_exception_fp_ieee_invalid_op 0
		.amdhsa_exception_fp_denorm_src 0
		.amdhsa_exception_fp_ieee_div_zero 0
		.amdhsa_exception_fp_ieee_overflow 0
		.amdhsa_exception_fp_ieee_underflow 0
		.amdhsa_exception_fp_ieee_inexact 0
		.amdhsa_exception_int_div_zero 0
	.end_amdhsa_kernel
	.section	.text._ZN4vllm3moe10topkGatingILi2ELi2ELi4ELi8ELi32EifLNS0_11ScoringFuncE1EEEvPKT5_PKbPfiPT4_PiiiibPKf,"axG",@progbits,_ZN4vllm3moe10topkGatingILi2ELi2ELi4ELi8ELi32EifLNS0_11ScoringFuncE1EEEvPKT5_PKbPfiPT4_PiiiibPKf,comdat
.Lfunc_end191:
	.size	_ZN4vllm3moe10topkGatingILi2ELi2ELi4ELi8ELi32EifLNS0_11ScoringFuncE1EEEvPKT5_PKbPfiPT4_PiiiibPKf, .Lfunc_end191-_ZN4vllm3moe10topkGatingILi2ELi2ELi4ELi8ELi32EifLNS0_11ScoringFuncE1EEEvPKT5_PKbPfiPT4_PiiiibPKf
                                        ; -- End function
	.section	.AMDGPU.csdata,"",@progbits
; Kernel info:
; codeLenInByte = 1236
; NumSgprs: 28
; NumVgprs: 19
; NumAgprs: 0
; TotalNumVgprs: 19
; ScratchSize: 0
; MemoryBound: 1
; FloatMode: 240
; IeeeMode: 1
; LDSByteSize: 0 bytes/workgroup (compile time only)
; SGPRBlocks: 3
; VGPRBlocks: 2
; NumSGPRsForWavesPerEU: 28
; NumVGPRsForWavesPerEU: 19
; AccumOffset: 20
; Occupancy: 8
; WaveLimiterHint : 0
; COMPUTE_PGM_RSRC2:SCRATCH_EN: 0
; COMPUTE_PGM_RSRC2:USER_SGPR: 6
; COMPUTE_PGM_RSRC2:TRAP_HANDLER: 0
; COMPUTE_PGM_RSRC2:TGID_X_EN: 1
; COMPUTE_PGM_RSRC2:TGID_Y_EN: 0
; COMPUTE_PGM_RSRC2:TGID_Z_EN: 0
; COMPUTE_PGM_RSRC2:TIDIG_COMP_CNT: 1
; COMPUTE_PGM_RSRC3_GFX90A:ACCUM_OFFSET: 4
; COMPUTE_PGM_RSRC3_GFX90A:TG_SPLIT: 0
	.section	.text._ZN4vllm3moe10topkGatingILi4ELi4ELi4ELi16ELi64EifLNS0_11ScoringFuncE1EEEvPKT5_PKbPfiPT4_PiiiibPKf,"axG",@progbits,_ZN4vllm3moe10topkGatingILi4ELi4ELi4ELi16ELi64EifLNS0_11ScoringFuncE1EEEvPKT5_PKbPfiPT4_PiiiibPKf,comdat
	.protected	_ZN4vllm3moe10topkGatingILi4ELi4ELi4ELi16ELi64EifLNS0_11ScoringFuncE1EEEvPKT5_PKbPfiPT4_PiiiibPKf ; -- Begin function _ZN4vllm3moe10topkGatingILi4ELi4ELi4ELi16ELi64EifLNS0_11ScoringFuncE1EEEvPKT5_PKbPfiPT4_PiiiibPKf
	.globl	_ZN4vllm3moe10topkGatingILi4ELi4ELi4ELi16ELi64EifLNS0_11ScoringFuncE1EEEvPKT5_PKbPfiPT4_PiiiibPKf
	.p2align	8
	.type	_ZN4vllm3moe10topkGatingILi4ELi4ELi4ELi16ELi64EifLNS0_11ScoringFuncE1EEEvPKT5_PKbPfiPT4_PiiiibPKf,@function
_ZN4vllm3moe10topkGatingILi4ELi4ELi4ELi16ELi64EifLNS0_11ScoringFuncE1EEEvPKT5_PKbPfiPT4_PiiiibPKf: ; @_ZN4vllm3moe10topkGatingILi4ELi4ELi4ELi16ELi64EifLNS0_11ScoringFuncE1EEEvPKT5_PKbPfiPT4_PiiiibPKf
; %bb.0:
	s_load_dword s16, s[4:5], 0x18
	v_bfe_u32 v1, v0, 10, 10
	s_lshl_b32 s0, s6, 8
	v_lshlrev_b32_e32 v1, 6, v1
	v_and_b32_e32 v0, 0x3ff, v0
	v_add3_u32 v14, v1, v0, s0
	s_waitcnt lgkmcnt(0)
	v_cmp_gt_i32_e32 vcc, s16, v14
	s_and_saveexec_b64 s[0:1], vcc
	s_cbranch_execz .LBB192_20
; %bb.1:
	s_load_dwordx4 s[0:3], s[4:5], 0x0
	s_load_dwordx2 s[12:13], s[4:5], 0x10
	s_mov_b64 s[8:9], -1
	s_mov_b64 s[14:15], -1
	s_waitcnt lgkmcnt(0)
	s_cmp_eq_u64 s[2:3], 0
	s_cbranch_scc1 .LBB192_3
; %bb.2:
	v_ashrrev_i32_e32 v1, 31, v14
	v_mov_b32_e32 v2, s3
	v_add_co_u32_e32 v0, vcc, s2, v14
	v_addc_co_u32_e32 v1, vcc, v2, v1, vcc
	global_load_ubyte v0, v[0:1], off
	s_waitcnt vmcnt(0)
	v_and_b32_e32 v0, 1, v0
	v_cmp_eq_u32_e32 vcc, 1, v0
	s_xor_b64 s[2:3], vcc, -1
	s_orn2_b64 s[14:15], s[2:3], exec
.LBB192_3:
	v_lshlrev_b32_e32 v0, 2, v14
	v_ashrrev_i32_e32 v1, 31, v0
	v_lshlrev_b64 v[0:1], 2, v[0:1]
	v_mov_b32_e32 v2, s1
	v_add_co_u32_e32 v0, vcc, s0, v0
	v_addc_co_u32_e32 v1, vcc, v2, v1, vcc
	global_load_dwordx4 v[0:3], v[0:1], off
	v_mov_b32_e32 v4, 0x207
	s_load_dwordx2 s[10:11], s[4:5], 0x40
	s_waitcnt lgkmcnt(0)
	s_cmp_eq_u64 s[10:11], 0
	s_waitcnt vmcnt(0)
	v_mul_f32_e32 v0, 0xbfb8aa3b, v0
	v_mul_f32_e32 v1, 0xbfb8aa3b, v1
	v_exp_f32_e32 v0, v0
	v_exp_f32_e32 v1, v1
	v_mul_f32_e32 v2, 0xbfb8aa3b, v2
	v_mul_f32_e32 v3, 0xbfb8aa3b, v3
	v_exp_f32_e32 v2, v2
	v_exp_f32_e32 v3, v3
	v_pk_add_f32 v[0:1], v[0:1], 1.0 op_sel_hi:[1,0]
	v_div_scale_f32 v5, s[0:1], v1, v1, 1.0
	v_rcp_f32_e32 v13, v5
	v_div_scale_f32 v7, s[0:1], v0, v0, 1.0
	v_pk_add_f32 v[2:3], v[2:3], 1.0 op_sel_hi:[1,0]
	v_rcp_f32_e32 v15, v7
	v_div_scale_f32 v9, s[2:3], v3, v3, 1.0
	v_rcp_f32_e32 v16, v9
	v_fma_f32 v18, -v5, v13, 1.0
	v_div_scale_f32 v6, vcc, 1.0, v1, 1.0
	v_div_scale_f32 v11, s[6:7], v2, v2, 1.0
	v_fmac_f32_e32 v13, v18, v13
	v_rcp_f32_e32 v17, v11
	v_fma_f32 v19, -v7, v15, 1.0
	v_mul_f32_e32 v18, v6, v13
	v_div_scale_f32 v8, s[0:1], 1.0, v0, 1.0
	v_fmac_f32_e32 v15, v19, v15
	v_fma_f32 v22, -v5, v18, v6
	v_fma_f32 v20, -v9, v16, 1.0
	v_mul_f32_e32 v19, v8, v15
	v_fmac_f32_e32 v18, v22, v13
	v_div_scale_f32 v10, s[2:3], 1.0, v3, 1.0
	v_fmac_f32_e32 v16, v20, v16
	v_fma_f32 v23, -v7, v19, v8
	v_fma_f32 v5, -v5, v18, v6
	v_fma_f32 v21, -v11, v17, 1.0
	v_mul_f32_e32 v20, v10, v16
	v_fmac_f32_e32 v19, v23, v15
	v_div_fmas_f32 v5, v5, v13, v18
	v_div_scale_f32 v12, s[6:7], 1.0, v2, 1.0
	v_fmac_f32_e32 v17, v21, v17
	v_fma_f32 v24, -v9, v20, v10
	v_fma_f32 v6, -v7, v19, v8
	v_div_fixup_f32 v1, v5, v1, 1.0
	s_mov_b64 vcc, s[0:1]
	v_mul_f32_e32 v21, v12, v17
	v_fmac_f32_e32 v20, v24, v16
	v_div_fmas_f32 v5, v6, v15, v19
	v_cmp_class_f32_e32 vcc, v1, v4
	v_fma_f32 v25, -v11, v21, v12
	v_fma_f32 v7, -v9, v20, v10
	v_div_fixup_f32 v0, v5, v0, 1.0
	v_cndmask_b32_e64 v1, v1, 0, vcc
	s_mov_b64 vcc, s[2:3]
	v_fmac_f32_e32 v21, v25, v17
	v_div_fmas_f32 v5, v7, v16, v20
	v_cmp_class_f32_e32 vcc, v0, v4
	v_fma_f32 v8, -v11, v21, v12
	v_cndmask_b32_e64 v0, v0, 0, vcc
	s_mov_b64 vcc, s[6:7]
	v_div_fixup_f32 v3, v5, v3, 1.0
	v_div_fmas_f32 v5, v8, v17, v21
	v_div_fixup_f32 v2, v5, v2, 1.0
	v_cmp_class_f32_e32 vcc, v3, v4
	v_cndmask_b32_e64 v3, v3, 0, vcc
	v_cmp_class_f32_e32 vcc, v2, v4
	v_cndmask_b32_e64 v2, v2, 0, vcc
	s_cbranch_scc1 .LBB192_10
; %bb.4:
	s_load_dwordx4 s[0:3], s[10:11], 0x0
	s_waitcnt lgkmcnt(0)
	v_pk_add_f32 v[4:5], s[0:1], v[0:1]
	v_pk_add_f32 v[6:7], s[2:3], v[2:3]
	s_cbranch_execnz .LBB192_6
.LBB192_5:
	v_pk_mov_b32 v[6:7], v[2:3], v[2:3] op_sel:[0,1]
	v_pk_mov_b32 v[4:5], v[0:1], v[0:1] op_sel:[0,1]
.LBB192_6:
	s_load_dwordx4 s[8:11], s[4:5], 0x30
	s_waitcnt lgkmcnt(0)
	s_bitcmp1_b32 s11, 0
	s_cselect_b64 vcc, -1, 0
	s_cmp_gt_i32 s8, 0
	s_cselect_b64 s[6:7], -1, 0
	s_cmp_lt_i32 s8, 1
	s_mov_b32 s11, 0
	s_cbranch_scc1 .LBB192_11
; %bb.7:
	s_load_dwordx4 s[20:23], s[4:5], 0x20
	v_mul_lo_u32 v8, v14, s8
	v_ashrrev_i32_e32 v9, 31, v8
	v_lshlrev_b64 v[12:13], 2, v[8:9]
	v_mov_b32_e32 v9, s13
	v_add_co_u32_e64 v8, s[0:1], s12, v12
	v_addc_co_u32_e64 v9, s[0:1], v9, v13, s[0:1]
	s_waitcnt lgkmcnt(0)
	v_mov_b32_e32 v11, s21
	v_add_co_u32_e64 v10, s[0:1], s20, v12
	v_addc_co_u32_e64 v11, s[0:1], v11, v13, s[0:1]
	v_mov_b32_e32 v15, s23
	v_add_co_u32_e64 v12, s[0:1], s22, v12
	v_addc_co_u32_e64 v13, s[0:1], v15, v13, s[0:1]
	v_mov_b32_e32 v15, 0
	v_mov_b32_e32 v16, 0xc61c4000
	;; [unrolled: 1-line block ×3, first 2 shown]
.LBB192_8:                              ; =>This Inner Loop Header: Depth=1
	v_cmp_gt_f32_e64 s[0:1], v5, v4
	v_cndmask_b32_e64 v20, v4, v5, s[0:1]
	v_cndmask_b32_e64 v18, 0, 1, s[0:1]
	;; [unrolled: 1-line block ×3, first 2 shown]
	v_cmp_gt_f32_e64 s[0:1], v6, v20
	v_cndmask_b32_e64 v20, v20, v6, s[0:1]
	v_cndmask_b32_e64 v18, v18, 2, s[0:1]
	v_cndmask_b32_e64 v19, v19, v2, s[0:1]
	v_cmp_gt_f32_e64 s[0:1], v7, v20
	v_cndmask_b32_e64 v18, v18, 3, s[0:1]
	v_cndmask_b32_e64 v19, v19, v3, s[0:1]
	v_cmp_le_i32_e64 s[0:1], s9, v18
	v_cmp_gt_i32_e64 s[2:3], s10, v18
	s_and_b64 s[0:1], s[0:1], s[2:3]
	v_subrev_u32_e32 v20, s9, v18
	s_and_b64 s[0:1], s[14:15], s[0:1]
	global_store_dword v[8:9], v19, off
	v_cndmask_b32_e64 v20, 4, v20, s[0:1]
	v_add_f32_e32 v19, v15, v19
	v_cmp_ne_u32_e64 s[0:1], 0, v18
	v_cndmask_b32_e32 v15, v15, v19, vcc
	v_cndmask_b32_e64 v19, v16, v4, s[0:1]
	v_cmp_ne_u32_e64 s[0:1], 1, v18
	global_store_dword v[10:11], v20, off
	global_store_dword v[12:13], v17, off
	s_add_i32 s11, s11, 1
	v_cndmask_b32_e64 v20, v16, v5, s[0:1]
	v_cmp_ne_u32_e64 s[0:1], 2, v18
	s_cmp_lt_i32 s11, s8
	v_cndmask_b32_e64 v21, v16, v6, s[0:1]
	v_cmp_ne_u32_e64 s[0:1], 3, v18
	v_cndmask_b32_e64 v18, v16, v7, s[0:1]
	s_cselect_b64 s[0:1], -1, 0
	v_cndmask_b32_e64 v7, v7, v18, s[0:1]
	v_cndmask_b32_e64 v6, v6, v21, s[0:1]
	;; [unrolled: 1-line block ×4, first 2 shown]
	v_add_co_u32_e64 v8, s[0:1], 4, v8
	v_addc_co_u32_e64 v9, s[0:1], 0, v9, s[0:1]
	v_add_co_u32_e64 v10, s[0:1], 4, v10
	v_addc_co_u32_e64 v11, s[0:1], 0, v11, s[0:1]
	v_add_co_u32_e64 v12, s[0:1], 4, v12
	v_add_u32_e32 v17, s16, v17
	s_cmp_eq_u32 s8, s11
	v_addc_co_u32_e64 v13, s[0:1], 0, v13, s[0:1]
	s_cbranch_scc0 .LBB192_8
; %bb.9:
	s_and_b64 vcc, exec, vcc
	s_cbranch_vccnz .LBB192_12
	s_branch .LBB192_20
.LBB192_10:
                                        ; implicit-def: $vgpr4_vgpr5_vgpr6_vgpr7
	s_andn2_b64 vcc, exec, s[8:9]
	s_cbranch_vccz .LBB192_5
	s_branch .LBB192_6
.LBB192_11:
	v_mov_b32_e32 v15, 0
	s_and_b64 vcc, exec, vcc
	s_cbranch_vccz .LBB192_20
.LBB192_12:
	s_andn2_b64 vcc, exec, s[6:7]
	s_cbranch_vccnz .LBB192_20
; %bb.13:
	v_cmp_lt_f32_e32 vcc, 0, v15
	s_mov_b32 s2, 0
	v_cndmask_b32_e32 v0, 1.0, v15, vcc
	v_mul_lo_u32 v4, v14, s8
	s_cmp_eq_u32 s8, 1
	s_mov_b64 s[0:1], -1
	s_cbranch_scc1 .LBB192_17
; %bb.14:
	s_and_b32 s2, s8, 0x7ffffffe
	v_mov_b32_e32 v1, v0
	v_mov_b32_e32 v5, s13
	s_mov_b32 s3, s2
	v_mov_b32_e32 v2, v4
.LBB192_15:                             ; =>This Inner Loop Header: Depth=1
	v_ashrrev_i32_e32 v3, 31, v2
	v_lshlrev_b64 v[6:7], 2, v[2:3]
	v_add_co_u32_e32 v6, vcc, s12, v6
	v_addc_co_u32_e32 v7, vcc, v5, v7, vcc
	global_load_dwordx2 v[8:9], v[6:7], off
	s_add_i32 s3, s3, -2
	s_cmp_lg_u32 s3, 0
	v_add_u32_e32 v2, 2, v2
	s_waitcnt vmcnt(0)
	v_div_scale_f32 v3, s[0:1], v1, v1, v9
	v_div_scale_f32 v11, s[0:1], v0, v0, v8
	v_rcp_f32_e32 v12, v3
	v_rcp_f32_e32 v13, v11
	v_div_scale_f32 v10, vcc, v9, v1, v9
	v_fma_f32 v15, -v3, v12, 1.0
	v_fma_f32 v16, -v11, v13, 1.0
	v_fmac_f32_e32 v12, v15, v12
	v_div_scale_f32 v14, s[0:1], v8, v0, v8
	v_fmac_f32_e32 v13, v16, v13
	v_mul_f32_e32 v15, v10, v12
	v_mul_f32_e32 v16, v14, v13
	v_fma_f32 v17, -v3, v15, v10
	v_fma_f32 v18, -v11, v16, v14
	v_fmac_f32_e32 v15, v17, v12
	v_fmac_f32_e32 v16, v18, v13
	v_fma_f32 v3, -v3, v15, v10
	v_fma_f32 v10, -v11, v16, v14
	v_div_fmas_f32 v3, v3, v12, v15
	s_mov_b64 vcc, s[0:1]
	v_div_fixup_f32 v9, v3, v1, v9
	v_div_fmas_f32 v3, v10, v13, v16
	v_div_fixup_f32 v8, v3, v0, v8
	global_store_dwordx2 v[6:7], v[8:9], off
	s_cbranch_scc1 .LBB192_15
; %bb.16:
	s_cmp_lg_u32 s2, s8
	s_cselect_b64 s[0:1], -1, 0
.LBB192_17:
	s_and_b64 vcc, exec, s[0:1]
	s_cbranch_vccz .LBB192_20
; %bb.18:
	v_ashrrev_i32_e32 v1, 31, v4
	v_add_co_u32_e32 v2, vcc, s2, v4
	v_addc_co_u32_e32 v3, vcc, 0, v1, vcc
	v_lshlrev_b64 v[2:3], 2, v[2:3]
	v_mov_b32_e32 v1, s13
	v_add_co_u32_e32 v2, vcc, s12, v2
	s_sub_i32 s0, s8, s2
	v_addc_co_u32_e32 v3, vcc, v1, v3, vcc
.LBB192_19:                             ; =>This Inner Loop Header: Depth=1
	global_load_dword v1, v[2:3], off
	s_add_i32 s0, s0, -1
	s_cmp_lg_u32 s0, 0
	s_waitcnt vmcnt(0)
	v_div_scale_f32 v4, s[2:3], v0, v0, v1
	v_rcp_f32_e32 v5, v4
	v_div_scale_f32 v6, vcc, v1, v0, v1
	v_fma_f32 v7, -v4, v5, 1.0
	v_fmac_f32_e32 v5, v7, v5
	v_mul_f32_e32 v7, v6, v5
	v_fma_f32 v8, -v4, v7, v6
	v_fmac_f32_e32 v7, v8, v5
	v_fma_f32 v4, -v4, v7, v6
	v_div_fmas_f32 v4, v4, v5, v7
	v_div_fixup_f32 v1, v4, v0, v1
	global_store_dword v[2:3], v1, off
	v_add_co_u32_e32 v2, vcc, 4, v2
	v_addc_co_u32_e32 v3, vcc, 0, v3, vcc
	s_cbranch_scc1 .LBB192_19
.LBB192_20:
	s_endpgm
	.section	.rodata,"a",@progbits
	.p2align	6, 0x0
	.amdhsa_kernel _ZN4vllm3moe10topkGatingILi4ELi4ELi4ELi16ELi64EifLNS0_11ScoringFuncE1EEEvPKT5_PKbPfiPT4_PiiiibPKf
		.amdhsa_group_segment_fixed_size 0
		.amdhsa_private_segment_fixed_size 0
		.amdhsa_kernarg_size 72
		.amdhsa_user_sgpr_count 6
		.amdhsa_user_sgpr_private_segment_buffer 1
		.amdhsa_user_sgpr_dispatch_ptr 0
		.amdhsa_user_sgpr_queue_ptr 0
		.amdhsa_user_sgpr_kernarg_segment_ptr 1
		.amdhsa_user_sgpr_dispatch_id 0
		.amdhsa_user_sgpr_flat_scratch_init 0
		.amdhsa_user_sgpr_kernarg_preload_length 0
		.amdhsa_user_sgpr_kernarg_preload_offset 0
		.amdhsa_user_sgpr_private_segment_size 0
		.amdhsa_uses_dynamic_stack 0
		.amdhsa_system_sgpr_private_segment_wavefront_offset 0
		.amdhsa_system_sgpr_workgroup_id_x 1
		.amdhsa_system_sgpr_workgroup_id_y 0
		.amdhsa_system_sgpr_workgroup_id_z 0
		.amdhsa_system_sgpr_workgroup_info 0
		.amdhsa_system_vgpr_workitem_id 1
		.amdhsa_next_free_vgpr 26
		.amdhsa_next_free_sgpr 24
		.amdhsa_accum_offset 28
		.amdhsa_reserve_vcc 1
		.amdhsa_reserve_flat_scratch 0
		.amdhsa_float_round_mode_32 0
		.amdhsa_float_round_mode_16_64 0
		.amdhsa_float_denorm_mode_32 3
		.amdhsa_float_denorm_mode_16_64 3
		.amdhsa_dx10_clamp 1
		.amdhsa_ieee_mode 1
		.amdhsa_fp16_overflow 0
		.amdhsa_tg_split 0
		.amdhsa_exception_fp_ieee_invalid_op 0
		.amdhsa_exception_fp_denorm_src 0
		.amdhsa_exception_fp_ieee_div_zero 0
		.amdhsa_exception_fp_ieee_overflow 0
		.amdhsa_exception_fp_ieee_underflow 0
		.amdhsa_exception_fp_ieee_inexact 0
		.amdhsa_exception_int_div_zero 0
	.end_amdhsa_kernel
	.section	.text._ZN4vllm3moe10topkGatingILi4ELi4ELi4ELi16ELi64EifLNS0_11ScoringFuncE1EEEvPKT5_PKbPfiPT4_PiiiibPKf,"axG",@progbits,_ZN4vllm3moe10topkGatingILi4ELi4ELi4ELi16ELi64EifLNS0_11ScoringFuncE1EEEvPKT5_PKbPfiPT4_PiiiibPKf,comdat
.Lfunc_end192:
	.size	_ZN4vllm3moe10topkGatingILi4ELi4ELi4ELi16ELi64EifLNS0_11ScoringFuncE1EEEvPKT5_PKbPfiPT4_PiiiibPKf, .Lfunc_end192-_ZN4vllm3moe10topkGatingILi4ELi4ELi4ELi16ELi64EifLNS0_11ScoringFuncE1EEEvPKT5_PKbPfiPT4_PiiiibPKf
                                        ; -- End function
	.section	.AMDGPU.csdata,"",@progbits
; Kernel info:
; codeLenInByte = 1608
; NumSgprs: 28
; NumVgprs: 26
; NumAgprs: 0
; TotalNumVgprs: 26
; ScratchSize: 0
; MemoryBound: 1
; FloatMode: 240
; IeeeMode: 1
; LDSByteSize: 0 bytes/workgroup (compile time only)
; SGPRBlocks: 3
; VGPRBlocks: 3
; NumSGPRsForWavesPerEU: 28
; NumVGPRsForWavesPerEU: 26
; AccumOffset: 28
; Occupancy: 8
; WaveLimiterHint : 0
; COMPUTE_PGM_RSRC2:SCRATCH_EN: 0
; COMPUTE_PGM_RSRC2:USER_SGPR: 6
; COMPUTE_PGM_RSRC2:TRAP_HANDLER: 0
; COMPUTE_PGM_RSRC2:TGID_X_EN: 1
; COMPUTE_PGM_RSRC2:TGID_Y_EN: 0
; COMPUTE_PGM_RSRC2:TGID_Z_EN: 0
; COMPUTE_PGM_RSRC2:TIDIG_COMP_CNT: 1
; COMPUTE_PGM_RSRC3_GFX90A:ACCUM_OFFSET: 6
; COMPUTE_PGM_RSRC3_GFX90A:TG_SPLIT: 0
	.section	.text._ZN4vllm3moe10topkGatingILi4ELi4ELi4ELi16ELi32EifLNS0_11ScoringFuncE1EEEvPKT5_PKbPfiPT4_PiiiibPKf,"axG",@progbits,_ZN4vllm3moe10topkGatingILi4ELi4ELi4ELi16ELi32EifLNS0_11ScoringFuncE1EEEvPKT5_PKbPfiPT4_PiiiibPKf,comdat
	.protected	_ZN4vllm3moe10topkGatingILi4ELi4ELi4ELi16ELi32EifLNS0_11ScoringFuncE1EEEvPKT5_PKbPfiPT4_PiiiibPKf ; -- Begin function _ZN4vllm3moe10topkGatingILi4ELi4ELi4ELi16ELi32EifLNS0_11ScoringFuncE1EEEvPKT5_PKbPfiPT4_PiiiibPKf
	.globl	_ZN4vllm3moe10topkGatingILi4ELi4ELi4ELi16ELi32EifLNS0_11ScoringFuncE1EEEvPKT5_PKbPfiPT4_PiiiibPKf
	.p2align	8
	.type	_ZN4vllm3moe10topkGatingILi4ELi4ELi4ELi16ELi32EifLNS0_11ScoringFuncE1EEEvPKT5_PKbPfiPT4_PiiiibPKf,@function
_ZN4vllm3moe10topkGatingILi4ELi4ELi4ELi16ELi32EifLNS0_11ScoringFuncE1EEEvPKT5_PKbPfiPT4_PiiiibPKf: ; @_ZN4vllm3moe10topkGatingILi4ELi4ELi4ELi16ELi32EifLNS0_11ScoringFuncE1EEEvPKT5_PKbPfiPT4_PiiiibPKf
; %bb.0:
	s_load_dword s16, s[4:5], 0x18
	v_bfe_u32 v1, v0, 10, 10
	s_lshl_b32 s0, s6, 7
	v_lshlrev_b32_e32 v1, 5, v1
	v_and_b32_e32 v0, 0x3ff, v0
	v_add3_u32 v14, v1, v0, s0
	s_waitcnt lgkmcnt(0)
	v_cmp_gt_i32_e32 vcc, s16, v14
	s_and_saveexec_b64 s[0:1], vcc
	s_cbranch_execz .LBB193_20
; %bb.1:
	s_load_dwordx4 s[0:3], s[4:5], 0x0
	s_load_dwordx2 s[12:13], s[4:5], 0x10
	s_mov_b64 s[8:9], -1
	s_mov_b64 s[14:15], -1
	s_waitcnt lgkmcnt(0)
	s_cmp_eq_u64 s[2:3], 0
	s_cbranch_scc1 .LBB193_3
; %bb.2:
	v_ashrrev_i32_e32 v1, 31, v14
	v_mov_b32_e32 v2, s3
	v_add_co_u32_e32 v0, vcc, s2, v14
	v_addc_co_u32_e32 v1, vcc, v2, v1, vcc
	global_load_ubyte v0, v[0:1], off
	s_waitcnt vmcnt(0)
	v_and_b32_e32 v0, 1, v0
	v_cmp_eq_u32_e32 vcc, 1, v0
	s_xor_b64 s[2:3], vcc, -1
	s_orn2_b64 s[14:15], s[2:3], exec
.LBB193_3:
	v_lshlrev_b32_e32 v0, 2, v14
	v_ashrrev_i32_e32 v1, 31, v0
	v_lshlrev_b64 v[0:1], 2, v[0:1]
	v_mov_b32_e32 v2, s1
	v_add_co_u32_e32 v0, vcc, s0, v0
	v_addc_co_u32_e32 v1, vcc, v2, v1, vcc
	global_load_dwordx4 v[0:3], v[0:1], off
	v_mov_b32_e32 v4, 0x207
	s_load_dwordx2 s[10:11], s[4:5], 0x40
	s_waitcnt lgkmcnt(0)
	s_cmp_eq_u64 s[10:11], 0
	s_waitcnt vmcnt(0)
	v_mul_f32_e32 v0, 0xbfb8aa3b, v0
	v_mul_f32_e32 v1, 0xbfb8aa3b, v1
	v_exp_f32_e32 v0, v0
	v_exp_f32_e32 v1, v1
	v_mul_f32_e32 v2, 0xbfb8aa3b, v2
	v_mul_f32_e32 v3, 0xbfb8aa3b, v3
	v_exp_f32_e32 v2, v2
	v_exp_f32_e32 v3, v3
	v_pk_add_f32 v[0:1], v[0:1], 1.0 op_sel_hi:[1,0]
	v_div_scale_f32 v5, s[0:1], v1, v1, 1.0
	v_rcp_f32_e32 v13, v5
	v_div_scale_f32 v7, s[0:1], v0, v0, 1.0
	v_pk_add_f32 v[2:3], v[2:3], 1.0 op_sel_hi:[1,0]
	v_rcp_f32_e32 v15, v7
	v_div_scale_f32 v9, s[2:3], v3, v3, 1.0
	v_rcp_f32_e32 v16, v9
	v_fma_f32 v18, -v5, v13, 1.0
	v_div_scale_f32 v6, vcc, 1.0, v1, 1.0
	v_div_scale_f32 v11, s[6:7], v2, v2, 1.0
	v_fmac_f32_e32 v13, v18, v13
	v_rcp_f32_e32 v17, v11
	v_fma_f32 v19, -v7, v15, 1.0
	v_mul_f32_e32 v18, v6, v13
	v_div_scale_f32 v8, s[0:1], 1.0, v0, 1.0
	v_fmac_f32_e32 v15, v19, v15
	v_fma_f32 v22, -v5, v18, v6
	v_fma_f32 v20, -v9, v16, 1.0
	v_mul_f32_e32 v19, v8, v15
	v_fmac_f32_e32 v18, v22, v13
	v_div_scale_f32 v10, s[2:3], 1.0, v3, 1.0
	v_fmac_f32_e32 v16, v20, v16
	v_fma_f32 v23, -v7, v19, v8
	v_fma_f32 v5, -v5, v18, v6
	v_fma_f32 v21, -v11, v17, 1.0
	v_mul_f32_e32 v20, v10, v16
	v_fmac_f32_e32 v19, v23, v15
	v_div_fmas_f32 v5, v5, v13, v18
	v_div_scale_f32 v12, s[6:7], 1.0, v2, 1.0
	v_fmac_f32_e32 v17, v21, v17
	v_fma_f32 v24, -v9, v20, v10
	v_fma_f32 v6, -v7, v19, v8
	v_div_fixup_f32 v1, v5, v1, 1.0
	s_mov_b64 vcc, s[0:1]
	v_mul_f32_e32 v21, v12, v17
	v_fmac_f32_e32 v20, v24, v16
	v_div_fmas_f32 v5, v6, v15, v19
	v_cmp_class_f32_e32 vcc, v1, v4
	v_fma_f32 v25, -v11, v21, v12
	v_fma_f32 v7, -v9, v20, v10
	v_div_fixup_f32 v0, v5, v0, 1.0
	v_cndmask_b32_e64 v1, v1, 0, vcc
	s_mov_b64 vcc, s[2:3]
	v_fmac_f32_e32 v21, v25, v17
	v_div_fmas_f32 v5, v7, v16, v20
	v_cmp_class_f32_e32 vcc, v0, v4
	v_fma_f32 v8, -v11, v21, v12
	v_cndmask_b32_e64 v0, v0, 0, vcc
	s_mov_b64 vcc, s[6:7]
	v_div_fixup_f32 v3, v5, v3, 1.0
	v_div_fmas_f32 v5, v8, v17, v21
	v_div_fixup_f32 v2, v5, v2, 1.0
	v_cmp_class_f32_e32 vcc, v3, v4
	v_cndmask_b32_e64 v3, v3, 0, vcc
	v_cmp_class_f32_e32 vcc, v2, v4
	v_cndmask_b32_e64 v2, v2, 0, vcc
	s_cbranch_scc1 .LBB193_10
; %bb.4:
	s_load_dwordx4 s[0:3], s[10:11], 0x0
	s_waitcnt lgkmcnt(0)
	v_pk_add_f32 v[4:5], s[0:1], v[0:1]
	v_pk_add_f32 v[6:7], s[2:3], v[2:3]
	s_cbranch_execnz .LBB193_6
.LBB193_5:
	v_pk_mov_b32 v[6:7], v[2:3], v[2:3] op_sel:[0,1]
	v_pk_mov_b32 v[4:5], v[0:1], v[0:1] op_sel:[0,1]
.LBB193_6:
	s_load_dwordx4 s[8:11], s[4:5], 0x30
	s_waitcnt lgkmcnt(0)
	s_bitcmp1_b32 s11, 0
	s_cselect_b64 vcc, -1, 0
	s_cmp_gt_i32 s8, 0
	s_cselect_b64 s[6:7], -1, 0
	s_cmp_lt_i32 s8, 1
	s_mov_b32 s11, 0
	s_cbranch_scc1 .LBB193_11
; %bb.7:
	s_load_dwordx4 s[20:23], s[4:5], 0x20
	v_mul_lo_u32 v8, v14, s8
	v_ashrrev_i32_e32 v9, 31, v8
	v_lshlrev_b64 v[12:13], 2, v[8:9]
	v_mov_b32_e32 v9, s13
	v_add_co_u32_e64 v8, s[0:1], s12, v12
	v_addc_co_u32_e64 v9, s[0:1], v9, v13, s[0:1]
	s_waitcnt lgkmcnt(0)
	v_mov_b32_e32 v11, s21
	v_add_co_u32_e64 v10, s[0:1], s20, v12
	v_addc_co_u32_e64 v11, s[0:1], v11, v13, s[0:1]
	v_mov_b32_e32 v15, s23
	v_add_co_u32_e64 v12, s[0:1], s22, v12
	v_addc_co_u32_e64 v13, s[0:1], v15, v13, s[0:1]
	v_mov_b32_e32 v15, 0
	v_mov_b32_e32 v16, 0xc61c4000
	;; [unrolled: 1-line block ×3, first 2 shown]
.LBB193_8:                              ; =>This Inner Loop Header: Depth=1
	v_cmp_gt_f32_e64 s[0:1], v5, v4
	v_cndmask_b32_e64 v20, v4, v5, s[0:1]
	v_cndmask_b32_e64 v18, 0, 1, s[0:1]
	;; [unrolled: 1-line block ×3, first 2 shown]
	v_cmp_gt_f32_e64 s[0:1], v6, v20
	v_cndmask_b32_e64 v20, v20, v6, s[0:1]
	v_cndmask_b32_e64 v18, v18, 2, s[0:1]
	;; [unrolled: 1-line block ×3, first 2 shown]
	v_cmp_gt_f32_e64 s[0:1], v7, v20
	v_cndmask_b32_e64 v18, v18, 3, s[0:1]
	v_cndmask_b32_e64 v19, v19, v3, s[0:1]
	v_cmp_le_i32_e64 s[0:1], s9, v18
	v_cmp_gt_i32_e64 s[2:3], s10, v18
	s_and_b64 s[0:1], s[0:1], s[2:3]
	v_subrev_u32_e32 v20, s9, v18
	s_and_b64 s[0:1], s[14:15], s[0:1]
	global_store_dword v[8:9], v19, off
	v_cndmask_b32_e64 v20, 4, v20, s[0:1]
	v_add_f32_e32 v19, v15, v19
	v_cmp_ne_u32_e64 s[0:1], 0, v18
	v_cndmask_b32_e32 v15, v15, v19, vcc
	v_cndmask_b32_e64 v19, v16, v4, s[0:1]
	v_cmp_ne_u32_e64 s[0:1], 1, v18
	global_store_dword v[10:11], v20, off
	global_store_dword v[12:13], v17, off
	s_add_i32 s11, s11, 1
	v_cndmask_b32_e64 v20, v16, v5, s[0:1]
	v_cmp_ne_u32_e64 s[0:1], 2, v18
	s_cmp_lt_i32 s11, s8
	v_cndmask_b32_e64 v21, v16, v6, s[0:1]
	v_cmp_ne_u32_e64 s[0:1], 3, v18
	v_cndmask_b32_e64 v18, v16, v7, s[0:1]
	s_cselect_b64 s[0:1], -1, 0
	v_cndmask_b32_e64 v7, v7, v18, s[0:1]
	v_cndmask_b32_e64 v6, v6, v21, s[0:1]
	;; [unrolled: 1-line block ×4, first 2 shown]
	v_add_co_u32_e64 v8, s[0:1], 4, v8
	v_addc_co_u32_e64 v9, s[0:1], 0, v9, s[0:1]
	v_add_co_u32_e64 v10, s[0:1], 4, v10
	v_addc_co_u32_e64 v11, s[0:1], 0, v11, s[0:1]
	v_add_co_u32_e64 v12, s[0:1], 4, v12
	v_add_u32_e32 v17, s16, v17
	s_cmp_eq_u32 s8, s11
	v_addc_co_u32_e64 v13, s[0:1], 0, v13, s[0:1]
	s_cbranch_scc0 .LBB193_8
; %bb.9:
	s_and_b64 vcc, exec, vcc
	s_cbranch_vccnz .LBB193_12
	s_branch .LBB193_20
.LBB193_10:
                                        ; implicit-def: $vgpr4_vgpr5_vgpr6_vgpr7
	s_andn2_b64 vcc, exec, s[8:9]
	s_cbranch_vccz .LBB193_5
	s_branch .LBB193_6
.LBB193_11:
	v_mov_b32_e32 v15, 0
	s_and_b64 vcc, exec, vcc
	s_cbranch_vccz .LBB193_20
.LBB193_12:
	s_andn2_b64 vcc, exec, s[6:7]
	s_cbranch_vccnz .LBB193_20
; %bb.13:
	v_cmp_lt_f32_e32 vcc, 0, v15
	s_mov_b32 s2, 0
	v_cndmask_b32_e32 v0, 1.0, v15, vcc
	v_mul_lo_u32 v4, v14, s8
	s_cmp_eq_u32 s8, 1
	s_mov_b64 s[0:1], -1
	s_cbranch_scc1 .LBB193_17
; %bb.14:
	s_and_b32 s2, s8, 0x7ffffffe
	v_mov_b32_e32 v1, v0
	v_mov_b32_e32 v5, s13
	s_mov_b32 s3, s2
	v_mov_b32_e32 v2, v4
.LBB193_15:                             ; =>This Inner Loop Header: Depth=1
	v_ashrrev_i32_e32 v3, 31, v2
	v_lshlrev_b64 v[6:7], 2, v[2:3]
	v_add_co_u32_e32 v6, vcc, s12, v6
	v_addc_co_u32_e32 v7, vcc, v5, v7, vcc
	global_load_dwordx2 v[8:9], v[6:7], off
	s_add_i32 s3, s3, -2
	s_cmp_lg_u32 s3, 0
	v_add_u32_e32 v2, 2, v2
	s_waitcnt vmcnt(0)
	v_div_scale_f32 v3, s[0:1], v1, v1, v9
	v_div_scale_f32 v11, s[0:1], v0, v0, v8
	v_rcp_f32_e32 v12, v3
	v_rcp_f32_e32 v13, v11
	v_div_scale_f32 v10, vcc, v9, v1, v9
	v_fma_f32 v15, -v3, v12, 1.0
	v_fma_f32 v16, -v11, v13, 1.0
	v_fmac_f32_e32 v12, v15, v12
	v_div_scale_f32 v14, s[0:1], v8, v0, v8
	v_fmac_f32_e32 v13, v16, v13
	v_mul_f32_e32 v15, v10, v12
	v_mul_f32_e32 v16, v14, v13
	v_fma_f32 v17, -v3, v15, v10
	v_fma_f32 v18, -v11, v16, v14
	v_fmac_f32_e32 v15, v17, v12
	v_fmac_f32_e32 v16, v18, v13
	v_fma_f32 v3, -v3, v15, v10
	v_fma_f32 v10, -v11, v16, v14
	v_div_fmas_f32 v3, v3, v12, v15
	s_mov_b64 vcc, s[0:1]
	v_div_fixup_f32 v9, v3, v1, v9
	v_div_fmas_f32 v3, v10, v13, v16
	v_div_fixup_f32 v8, v3, v0, v8
	global_store_dwordx2 v[6:7], v[8:9], off
	s_cbranch_scc1 .LBB193_15
; %bb.16:
	s_cmp_lg_u32 s2, s8
	s_cselect_b64 s[0:1], -1, 0
.LBB193_17:
	s_and_b64 vcc, exec, s[0:1]
	s_cbranch_vccz .LBB193_20
; %bb.18:
	v_ashrrev_i32_e32 v1, 31, v4
	v_add_co_u32_e32 v2, vcc, s2, v4
	v_addc_co_u32_e32 v3, vcc, 0, v1, vcc
	v_lshlrev_b64 v[2:3], 2, v[2:3]
	v_mov_b32_e32 v1, s13
	v_add_co_u32_e32 v2, vcc, s12, v2
	s_sub_i32 s0, s8, s2
	v_addc_co_u32_e32 v3, vcc, v1, v3, vcc
.LBB193_19:                             ; =>This Inner Loop Header: Depth=1
	global_load_dword v1, v[2:3], off
	s_add_i32 s0, s0, -1
	s_cmp_lg_u32 s0, 0
	s_waitcnt vmcnt(0)
	v_div_scale_f32 v4, s[2:3], v0, v0, v1
	v_rcp_f32_e32 v5, v4
	v_div_scale_f32 v6, vcc, v1, v0, v1
	v_fma_f32 v7, -v4, v5, 1.0
	v_fmac_f32_e32 v5, v7, v5
	v_mul_f32_e32 v7, v6, v5
	v_fma_f32 v8, -v4, v7, v6
	v_fmac_f32_e32 v7, v8, v5
	v_fma_f32 v4, -v4, v7, v6
	v_div_fmas_f32 v4, v4, v5, v7
	v_div_fixup_f32 v1, v4, v0, v1
	global_store_dword v[2:3], v1, off
	v_add_co_u32_e32 v2, vcc, 4, v2
	v_addc_co_u32_e32 v3, vcc, 0, v3, vcc
	s_cbranch_scc1 .LBB193_19
.LBB193_20:
	s_endpgm
	.section	.rodata,"a",@progbits
	.p2align	6, 0x0
	.amdhsa_kernel _ZN4vllm3moe10topkGatingILi4ELi4ELi4ELi16ELi32EifLNS0_11ScoringFuncE1EEEvPKT5_PKbPfiPT4_PiiiibPKf
		.amdhsa_group_segment_fixed_size 0
		.amdhsa_private_segment_fixed_size 0
		.amdhsa_kernarg_size 72
		.amdhsa_user_sgpr_count 6
		.amdhsa_user_sgpr_private_segment_buffer 1
		.amdhsa_user_sgpr_dispatch_ptr 0
		.amdhsa_user_sgpr_queue_ptr 0
		.amdhsa_user_sgpr_kernarg_segment_ptr 1
		.amdhsa_user_sgpr_dispatch_id 0
		.amdhsa_user_sgpr_flat_scratch_init 0
		.amdhsa_user_sgpr_kernarg_preload_length 0
		.amdhsa_user_sgpr_kernarg_preload_offset 0
		.amdhsa_user_sgpr_private_segment_size 0
		.amdhsa_uses_dynamic_stack 0
		.amdhsa_system_sgpr_private_segment_wavefront_offset 0
		.amdhsa_system_sgpr_workgroup_id_x 1
		.amdhsa_system_sgpr_workgroup_id_y 0
		.amdhsa_system_sgpr_workgroup_id_z 0
		.amdhsa_system_sgpr_workgroup_info 0
		.amdhsa_system_vgpr_workitem_id 1
		.amdhsa_next_free_vgpr 26
		.amdhsa_next_free_sgpr 24
		.amdhsa_accum_offset 28
		.amdhsa_reserve_vcc 1
		.amdhsa_reserve_flat_scratch 0
		.amdhsa_float_round_mode_32 0
		.amdhsa_float_round_mode_16_64 0
		.amdhsa_float_denorm_mode_32 3
		.amdhsa_float_denorm_mode_16_64 3
		.amdhsa_dx10_clamp 1
		.amdhsa_ieee_mode 1
		.amdhsa_fp16_overflow 0
		.amdhsa_tg_split 0
		.amdhsa_exception_fp_ieee_invalid_op 0
		.amdhsa_exception_fp_denorm_src 0
		.amdhsa_exception_fp_ieee_div_zero 0
		.amdhsa_exception_fp_ieee_overflow 0
		.amdhsa_exception_fp_ieee_underflow 0
		.amdhsa_exception_fp_ieee_inexact 0
		.amdhsa_exception_int_div_zero 0
	.end_amdhsa_kernel
	.section	.text._ZN4vllm3moe10topkGatingILi4ELi4ELi4ELi16ELi32EifLNS0_11ScoringFuncE1EEEvPKT5_PKbPfiPT4_PiiiibPKf,"axG",@progbits,_ZN4vllm3moe10topkGatingILi4ELi4ELi4ELi16ELi32EifLNS0_11ScoringFuncE1EEEvPKT5_PKbPfiPT4_PiiiibPKf,comdat
.Lfunc_end193:
	.size	_ZN4vllm3moe10topkGatingILi4ELi4ELi4ELi16ELi32EifLNS0_11ScoringFuncE1EEEvPKT5_PKbPfiPT4_PiiiibPKf, .Lfunc_end193-_ZN4vllm3moe10topkGatingILi4ELi4ELi4ELi16ELi32EifLNS0_11ScoringFuncE1EEEvPKT5_PKbPfiPT4_PiiiibPKf
                                        ; -- End function
	.section	.AMDGPU.csdata,"",@progbits
; Kernel info:
; codeLenInByte = 1608
; NumSgprs: 28
; NumVgprs: 26
; NumAgprs: 0
; TotalNumVgprs: 26
; ScratchSize: 0
; MemoryBound: 1
; FloatMode: 240
; IeeeMode: 1
; LDSByteSize: 0 bytes/workgroup (compile time only)
; SGPRBlocks: 3
; VGPRBlocks: 3
; NumSGPRsForWavesPerEU: 28
; NumVGPRsForWavesPerEU: 26
; AccumOffset: 28
; Occupancy: 8
; WaveLimiterHint : 0
; COMPUTE_PGM_RSRC2:SCRATCH_EN: 0
; COMPUTE_PGM_RSRC2:USER_SGPR: 6
; COMPUTE_PGM_RSRC2:TRAP_HANDLER: 0
; COMPUTE_PGM_RSRC2:TGID_X_EN: 1
; COMPUTE_PGM_RSRC2:TGID_Y_EN: 0
; COMPUTE_PGM_RSRC2:TGID_Z_EN: 0
; COMPUTE_PGM_RSRC2:TIDIG_COMP_CNT: 1
; COMPUTE_PGM_RSRC3_GFX90A:ACCUM_OFFSET: 6
; COMPUTE_PGM_RSRC3_GFX90A:TG_SPLIT: 0
	.section	.text._ZN4vllm3moe10topkGatingILi4ELi8ELi4ELi16ELi64EifLNS0_11ScoringFuncE1EEEvPKT5_PKbPfiPT4_PiiiibPKf,"axG",@progbits,_ZN4vllm3moe10topkGatingILi4ELi8ELi4ELi16ELi64EifLNS0_11ScoringFuncE1EEEvPKT5_PKbPfiPT4_PiiiibPKf,comdat
	.protected	_ZN4vllm3moe10topkGatingILi4ELi8ELi4ELi16ELi64EifLNS0_11ScoringFuncE1EEEvPKT5_PKbPfiPT4_PiiiibPKf ; -- Begin function _ZN4vllm3moe10topkGatingILi4ELi8ELi4ELi16ELi64EifLNS0_11ScoringFuncE1EEEvPKT5_PKbPfiPT4_PiiiibPKf
	.globl	_ZN4vllm3moe10topkGatingILi4ELi8ELi4ELi16ELi64EifLNS0_11ScoringFuncE1EEEvPKT5_PKbPfiPT4_PiiiibPKf
	.p2align	8
	.type	_ZN4vllm3moe10topkGatingILi4ELi8ELi4ELi16ELi64EifLNS0_11ScoringFuncE1EEEvPKT5_PKbPfiPT4_PiiiibPKf,@function
_ZN4vllm3moe10topkGatingILi4ELi8ELi4ELi16ELi64EifLNS0_11ScoringFuncE1EEEvPKT5_PKbPfiPT4_PiiiibPKf: ; @_ZN4vllm3moe10topkGatingILi4ELi8ELi4ELi16ELi64EifLNS0_11ScoringFuncE1EEEvPKT5_PKbPfiPT4_PiiiibPKf
; %bb.0:
	s_load_dword s24, s[4:5], 0x18
	v_bfe_u32 v1, v0, 10, 10
	v_and_b32_e32 v0, 0x3ff, v0
	s_lshl_b32 s0, s6, 7
	v_lshlrev_b32_e32 v1, 5, v1
	v_lshrrev_b32_e32 v2, 1, v0
	v_add3_u32 v8, s0, v1, v2
	s_waitcnt lgkmcnt(0)
	v_cmp_gt_i32_e32 vcc, s24, v8
	s_and_saveexec_b64 s[0:1], vcc
	s_cbranch_execz .LBB194_30
; %bb.1:
	s_load_dwordx4 s[0:3], s[4:5], 0x0
	s_load_dwordx2 s[16:17], s[4:5], 0x10
	s_mov_b64 s[8:9], -1
	s_mov_b64 s[18:19], -1
	s_waitcnt lgkmcnt(0)
	s_cmp_eq_u64 s[2:3], 0
	s_cbranch_scc1 .LBB194_3
; %bb.2:
	v_ashrrev_i32_e32 v1, 31, v8
	v_mov_b32_e32 v3, s3
	v_add_co_u32_e32 v2, vcc, s2, v8
	v_addc_co_u32_e32 v3, vcc, v3, v1, vcc
	global_load_ubyte v1, v[2:3], off
	s_waitcnt vmcnt(0)
	v_and_b32_e32 v1, 1, v1
	v_cmp_eq_u32_e32 vcc, 1, v1
	s_xor_b64 s[2:3], vcc, -1
	s_orn2_b64 s[18:19], s[2:3], exec
.LBB194_3:
	v_lshlrev_b32_e32 v2, 3, v8
	v_ashrrev_i32_e32 v3, 31, v2
	v_lshlrev_b64 v[2:3], 2, v[2:3]
	v_mov_b32_e32 v1, s1
	v_add_co_u32_e32 v2, vcc, s0, v2
	v_and_b32_e32 v9, 1, v0
	v_addc_co_u32_e32 v1, vcc, v1, v3, vcc
	v_lshlrev_b32_e32 v0, 4, v9
	v_add_co_u32_e32 v0, vcc, v2, v0
	v_addc_co_u32_e32 v1, vcc, 0, v1, vcc
	global_load_dwordx4 v[0:3], v[0:1], off
	v_mov_b32_e32 v4, 0x207
	s_load_dwordx2 s[10:11], s[4:5], 0x40
	v_lshlrev_b32_e32 v10, 2, v9
	s_waitcnt lgkmcnt(0)
	s_cmp_eq_u64 s[10:11], 0
	s_waitcnt vmcnt(0)
	v_mul_f32_e32 v0, 0xbfb8aa3b, v0
	v_mul_f32_e32 v1, 0xbfb8aa3b, v1
	v_exp_f32_e32 v0, v0
	v_exp_f32_e32 v1, v1
	v_mul_f32_e32 v2, 0xbfb8aa3b, v2
	v_mul_f32_e32 v3, 0xbfb8aa3b, v3
	v_exp_f32_e32 v2, v2
	v_exp_f32_e32 v3, v3
	v_pk_add_f32 v[0:1], v[0:1], 1.0 op_sel_hi:[1,0]
	v_div_scale_f32 v5, s[0:1], v1, v1, 1.0
	v_rcp_f32_e32 v16, v5
	v_div_scale_f32 v7, s[0:1], v0, v0, 1.0
	v_pk_add_f32 v[2:3], v[2:3], 1.0 op_sel_hi:[1,0]
	v_rcp_f32_e32 v17, v7
	v_div_scale_f32 v12, s[2:3], v3, v3, 1.0
	v_rcp_f32_e32 v18, v12
	v_fma_f32 v20, -v5, v16, 1.0
	v_div_scale_f32 v6, vcc, 1.0, v1, 1.0
	v_div_scale_f32 v14, s[6:7], v2, v2, 1.0
	v_fmac_f32_e32 v16, v20, v16
	v_rcp_f32_e32 v19, v14
	v_fma_f32 v21, -v7, v17, 1.0
	v_mul_f32_e32 v20, v6, v16
	v_div_scale_f32 v11, s[0:1], 1.0, v0, 1.0
	v_fmac_f32_e32 v17, v21, v17
	v_fma_f32 v24, -v5, v20, v6
	v_fma_f32 v22, -v12, v18, 1.0
	v_mul_f32_e32 v21, v11, v17
	v_fmac_f32_e32 v20, v24, v16
	v_div_scale_f32 v13, s[2:3], 1.0, v3, 1.0
	v_fmac_f32_e32 v18, v22, v18
	v_fma_f32 v25, -v7, v21, v11
	v_fma_f32 v5, -v5, v20, v6
	v_fma_f32 v23, -v14, v19, 1.0
	v_mul_f32_e32 v22, v13, v18
	v_fmac_f32_e32 v21, v25, v17
	v_div_fmas_f32 v5, v5, v16, v20
	v_div_scale_f32 v15, s[6:7], 1.0, v2, 1.0
	v_fmac_f32_e32 v19, v23, v19
	v_fma_f32 v26, -v12, v22, v13
	v_fma_f32 v6, -v7, v21, v11
	v_div_fixup_f32 v1, v5, v1, 1.0
	s_mov_b64 vcc, s[0:1]
	v_mul_f32_e32 v23, v15, v19
	v_fmac_f32_e32 v22, v26, v18
	v_div_fmas_f32 v5, v6, v17, v21
	v_cmp_class_f32_e32 vcc, v1, v4
	v_fma_f32 v27, -v14, v23, v15
	v_fma_f32 v7, -v12, v22, v13
	v_div_fixup_f32 v0, v5, v0, 1.0
	v_cndmask_b32_e64 v1, v1, 0, vcc
	s_mov_b64 vcc, s[2:3]
	v_fmac_f32_e32 v23, v27, v19
	v_div_fmas_f32 v5, v7, v18, v22
	v_cmp_class_f32_e32 vcc, v0, v4
	v_fma_f32 v11, -v14, v23, v15
	v_cndmask_b32_e64 v0, v0, 0, vcc
	s_mov_b64 vcc, s[6:7]
	v_div_fixup_f32 v3, v5, v3, 1.0
	v_div_fmas_f32 v5, v11, v19, v23
	v_div_fixup_f32 v2, v5, v2, 1.0
	v_cmp_class_f32_e32 vcc, v3, v4
	v_cndmask_b32_e64 v3, v3, 0, vcc
	v_cmp_class_f32_e32 vcc, v2, v4
	v_cndmask_b32_e64 v2, v2, 0, vcc
	s_cbranch_scc1 .LBB194_19
; %bb.4:
	v_lshlrev_b32_e32 v4, 2, v10
	global_load_dwordx4 v[4:7], v4, s[10:11]
	s_waitcnt vmcnt(0)
	v_pk_add_f32 v[4:5], v[4:5], v[0:1]
	v_pk_add_f32 v[6:7], v[6:7], v[2:3]
	s_cbranch_execnz .LBB194_6
.LBB194_5:
	v_pk_mov_b32 v[6:7], v[2:3], v[2:3] op_sel:[0,1]
	v_pk_mov_b32 v[4:5], v[0:1], v[0:1] op_sel:[0,1]
.LBB194_6:
	s_load_dwordx4 s[8:11], s[4:5], 0x30
	s_mov_b32 s25, 0
	v_cmp_eq_u32_e64 s[0:1], 0, v9
	s_waitcnt lgkmcnt(0)
	s_bitcmp1_b32 s11, 0
	s_cselect_b64 vcc, -1, 0
	s_cmp_gt_i32 s8, 0
	s_cselect_b64 s[6:7], -1, 0
	s_cmp_lt_i32 s8, 1
	s_cbranch_scc1 .LBB194_20
; %bb.7:
	v_mbcnt_lo_u32_b32 v11, -1, 0
	v_mbcnt_hi_u32_b32 v11, -1, v11
	s_load_dwordx4 s[12:15], s[4:5], 0x20
	v_and_b32_e32 v13, 0x7e, v11
	v_xor_b32_e32 v12, 1, v11
	v_add_u32_e32 v13, 2, v13
	v_cmp_lt_i32_e64 s[2:3], v12, v13
	v_cndmask_b32_e64 v11, v11, v12, s[2:3]
	v_lshlrev_b32_e32 v12, 2, v11
	v_mul_lo_u32 v13, v8, s8
	v_mov_b32_e32 v11, 0
	v_mov_b32_e32 v14, 0xc61c4000
	;; [unrolled: 1-line block ×3, first 2 shown]
	s_branch .LBB194_10
.LBB194_8:                              ;   in Loop: Header=BB194_10 Depth=1
	s_or_b64 exec, exec, s[4:5]
.LBB194_9:                              ;   in Loop: Header=BB194_10 Depth=1
	s_cmp_eq_u32 s8, s25
	v_add_u32_e32 v15, s24, v15
	s_cbranch_scc1 .LBB194_21
.LBB194_10:                             ; =>This Inner Loop Header: Depth=1
	v_cmp_gt_f32_e64 s[2:3], v5, v4
	v_cndmask_b32_e64 v18, v4, v5, s[2:3]
	v_cndmask_b32_e64 v16, 0, 1, s[2:3]
	;; [unrolled: 1-line block ×3, first 2 shown]
	v_cmp_gt_f32_e64 s[2:3], v6, v18
	v_cndmask_b32_e64 v18, v18, v6, s[2:3]
	v_cndmask_b32_e64 v16, v16, 2, s[2:3]
	;; [unrolled: 1-line block ×3, first 2 shown]
	v_cmp_gt_f32_e64 s[2:3], v7, v18
	v_cndmask_b32_e64 v16, v16, 3, s[2:3]
	v_cndmask_b32_e64 v20, v18, v7, s[2:3]
	v_or_b32_e32 v16, v10, v16
	v_cndmask_b32_e64 v17, v17, v3, s[2:3]
	ds_bpermute_b32 v21, v12, v20
	ds_bpermute_b32 v18, v12, v17
	;; [unrolled: 1-line block ×3, first 2 shown]
	s_waitcnt lgkmcnt(0)
	v_cmp_lt_f32_e64 s[20:21], v20, v21
	v_cmp_nlt_f32_e64 s[2:3], v20, v21
	s_and_saveexec_b64 s[22:23], s[2:3]
	s_cbranch_execnz .LBB194_14
; %bb.11:                               ;   in Loop: Header=BB194_10 Depth=1
	s_or_b64 exec, exec, s[22:23]
	s_and_saveexec_b64 s[2:3], s[20:21]
	s_cbranch_execnz .LBB194_15
.LBB194_12:                             ;   in Loop: Header=BB194_10 Depth=1
	s_or_b64 exec, exec, s[2:3]
	s_and_saveexec_b64 s[20:21], s[0:1]
	s_cbranch_execnz .LBB194_16
.LBB194_13:                             ;   in Loop: Header=BB194_10 Depth=1
	s_or_b64 exec, exec, s[20:21]
	s_add_i32 s25, s25, 1
	s_cmp_ge_i32 s25, s8
	s_cbranch_scc1 .LBB194_9
	s_branch .LBB194_17
.LBB194_14:                             ;   in Loop: Header=BB194_10 Depth=1
	v_cmp_eq_f32_e64 s[2:3], v20, v21
	v_cmp_lt_i32_e64 s[4:5], v19, v16
	s_and_b64 s[2:3], s[2:3], s[4:5]
	s_andn2_b64 s[4:5], s[20:21], exec
	s_and_b64 s[2:3], s[2:3], exec
	s_or_b64 s[20:21], s[4:5], s[2:3]
	s_or_b64 exec, exec, s[22:23]
	s_and_saveexec_b64 s[2:3], s[20:21]
	s_cbranch_execz .LBB194_12
.LBB194_15:                             ;   in Loop: Header=BB194_10 Depth=1
	v_mov_b32_e32 v16, v19
	v_mov_b32_e32 v17, v18
	s_or_b64 exec, exec, s[2:3]
	s_and_saveexec_b64 s[20:21], s[0:1]
	s_cbranch_execz .LBB194_13
.LBB194_16:                             ;   in Loop: Header=BB194_10 Depth=1
	v_add_u32_e32 v18, s25, v13
	v_ashrrev_i32_e32 v19, 31, v18
	v_cmp_le_i32_e64 s[2:3], s9, v16
	v_cmp_gt_i32_e64 s[4:5], s10, v16
	v_lshlrev_b64 v[18:19], 2, v[18:19]
	s_and_b64 s[4:5], s[2:3], s[4:5]
	v_mov_b32_e32 v21, s17
	v_add_co_u32_e64 v20, s[2:3], s16, v18
	v_addc_co_u32_e64 v21, s[2:3], v21, v19, s[2:3]
	global_store_dword v[20:21], v17, off
	v_subrev_u32_e32 v20, s9, v16
	s_and_b64 s[2:3], s[18:19], s[4:5]
	v_cndmask_b32_e64 v22, 8, v20, s[2:3]
	v_mov_b32_e32 v21, s13
	v_add_co_u32_e64 v20, s[2:3], s12, v18
	v_addc_co_u32_e64 v21, s[2:3], v21, v19, s[2:3]
	global_store_dword v[20:21], v22, off
	v_mov_b32_e32 v20, s15
	v_add_co_u32_e64 v18, s[2:3], s14, v18
	v_add_f32_e32 v17, v11, v17
	v_addc_co_u32_e64 v19, s[2:3], v20, v19, s[2:3]
	v_cndmask_b32_e32 v11, v11, v17, vcc
	global_store_dword v[18:19], v15, off
	s_or_b64 exec, exec, s[20:21]
	s_add_i32 s25, s25, 1
	s_cmp_ge_i32 s25, s8
	s_cbranch_scc1 .LBB194_9
.LBB194_17:                             ;   in Loop: Header=BB194_10 Depth=1
	v_ashrrev_i32_e32 v18, 31, v16
	v_lshrrev_b32_e32 v17, 30, v18
	v_add_u32_e32 v19, v16, v17
	v_ashrrev_i32_e32 v17, 2, v19
	v_lshrrev_b32_e32 v19, 31, v19
	v_add_u32_e32 v19, v17, v19
	v_and_b32_e32 v19, -2, v19
	v_sub_u32_e32 v19, v17, v19
	v_cmp_eq_u32_e64 s[2:3], v9, v19
	s_and_saveexec_b64 s[4:5], s[2:3]
	s_cbranch_execz .LBB194_8
; %bb.18:                               ;   in Loop: Header=BB194_10 Depth=1
	v_lshrrev_b32_e32 v18, 29, v18
	v_add_u32_e32 v18, v16, v18
	v_lshlrev_b32_e32 v17, 2, v17
	v_ashrrev_i32_e32 v18, 3, v18
	v_sub_u32_e32 v16, v16, v17
	v_lshl_add_u32 v16, v18, 2, v16
	v_cmp_ne_u32_e64 s[2:3], 3, v16
	v_cndmask_b32_e64 v7, v14, v7, s[2:3]
	v_cmp_ne_u32_e64 s[2:3], 2, v16
	v_cndmask_b32_e64 v6, v14, v6, s[2:3]
	;; [unrolled: 2-line block ×4, first 2 shown]
	s_branch .LBB194_8
.LBB194_19:
                                        ; implicit-def: $vgpr4_vgpr5_vgpr6_vgpr7
	s_andn2_b64 vcc, exec, s[8:9]
	s_cbranch_vccz .LBB194_5
	s_branch .LBB194_6
.LBB194_20:
	v_mov_b32_e32 v11, 0
.LBB194_21:
	v_cmp_eq_u32_e64 s[0:1], 0, v9
	s_and_b64 s[0:1], s[0:1], vcc
	s_and_b64 exec, exec, s[0:1]
	s_cbranch_execz .LBB194_30
; %bb.22:
	s_andn2_b64 vcc, exec, s[6:7]
	s_cbranch_vccnz .LBB194_30
; %bb.23:
	v_cmp_lt_f32_e32 vcc, 0, v11
	s_mov_b32 s2, 0
	v_cndmask_b32_e32 v0, 1.0, v11, vcc
	v_mul_lo_u32 v4, v8, s8
	s_cmp_eq_u32 s8, 1
	s_mov_b64 s[0:1], -1
	s_cbranch_scc1 .LBB194_27
; %bb.24:
	s_and_b32 s2, s8, 0x7ffffffe
	v_mov_b32_e32 v1, v0
	v_mov_b32_e32 v5, s17
	s_mov_b32 s3, s2
	v_mov_b32_e32 v2, v4
.LBB194_25:                             ; =>This Inner Loop Header: Depth=1
	v_ashrrev_i32_e32 v3, 31, v2
	v_lshlrev_b64 v[6:7], 2, v[2:3]
	v_add_co_u32_e32 v6, vcc, s16, v6
	v_addc_co_u32_e32 v7, vcc, v5, v7, vcc
	global_load_dwordx2 v[8:9], v[6:7], off
	s_add_i32 s3, s3, -2
	s_cmp_lg_u32 s3, 0
	v_add_u32_e32 v2, 2, v2
	s_waitcnt vmcnt(0)
	v_div_scale_f32 v3, s[0:1], v1, v1, v9
	v_div_scale_f32 v11, s[0:1], v0, v0, v8
	v_rcp_f32_e32 v12, v3
	v_rcp_f32_e32 v13, v11
	v_div_scale_f32 v10, vcc, v9, v1, v9
	v_fma_f32 v15, -v3, v12, 1.0
	v_fma_f32 v16, -v11, v13, 1.0
	v_fmac_f32_e32 v12, v15, v12
	v_div_scale_f32 v14, s[0:1], v8, v0, v8
	v_fmac_f32_e32 v13, v16, v13
	v_mul_f32_e32 v15, v10, v12
	v_mul_f32_e32 v16, v14, v13
	v_fma_f32 v17, -v3, v15, v10
	v_fma_f32 v18, -v11, v16, v14
	v_fmac_f32_e32 v15, v17, v12
	v_fmac_f32_e32 v16, v18, v13
	v_fma_f32 v3, -v3, v15, v10
	v_fma_f32 v10, -v11, v16, v14
	v_div_fmas_f32 v3, v3, v12, v15
	s_mov_b64 vcc, s[0:1]
	v_div_fixup_f32 v9, v3, v1, v9
	v_div_fmas_f32 v3, v10, v13, v16
	v_div_fixup_f32 v8, v3, v0, v8
	global_store_dwordx2 v[6:7], v[8:9], off
	s_cbranch_scc1 .LBB194_25
; %bb.26:
	s_cmp_lg_u32 s2, s8
	s_cselect_b64 s[0:1], -1, 0
.LBB194_27:
	s_and_b64 vcc, exec, s[0:1]
	s_cbranch_vccz .LBB194_30
; %bb.28:
	v_ashrrev_i32_e32 v1, 31, v4
	v_add_co_u32_e32 v2, vcc, s2, v4
	v_addc_co_u32_e32 v3, vcc, 0, v1, vcc
	v_lshlrev_b64 v[2:3], 2, v[2:3]
	v_mov_b32_e32 v1, s17
	v_add_co_u32_e32 v2, vcc, s16, v2
	s_sub_i32 s0, s8, s2
	v_addc_co_u32_e32 v3, vcc, v1, v3, vcc
.LBB194_29:                             ; =>This Inner Loop Header: Depth=1
	global_load_dword v1, v[2:3], off
	s_add_i32 s0, s0, -1
	s_cmp_lg_u32 s0, 0
	s_waitcnt vmcnt(0)
	v_div_scale_f32 v4, s[2:3], v0, v0, v1
	v_rcp_f32_e32 v5, v4
	v_div_scale_f32 v6, vcc, v1, v0, v1
	v_fma_f32 v7, -v4, v5, 1.0
	v_fmac_f32_e32 v5, v7, v5
	v_mul_f32_e32 v7, v6, v5
	v_fma_f32 v8, -v4, v7, v6
	v_fmac_f32_e32 v7, v8, v5
	v_fma_f32 v4, -v4, v7, v6
	v_div_fmas_f32 v4, v4, v5, v7
	v_div_fixup_f32 v1, v4, v0, v1
	global_store_dword v[2:3], v1, off
	v_add_co_u32_e32 v2, vcc, 4, v2
	v_addc_co_u32_e32 v3, vcc, 0, v3, vcc
	s_cbranch_scc1 .LBB194_29
.LBB194_30:
	s_endpgm
	.section	.rodata,"a",@progbits
	.p2align	6, 0x0
	.amdhsa_kernel _ZN4vllm3moe10topkGatingILi4ELi8ELi4ELi16ELi64EifLNS0_11ScoringFuncE1EEEvPKT5_PKbPfiPT4_PiiiibPKf
		.amdhsa_group_segment_fixed_size 0
		.amdhsa_private_segment_fixed_size 0
		.amdhsa_kernarg_size 72
		.amdhsa_user_sgpr_count 6
		.amdhsa_user_sgpr_private_segment_buffer 1
		.amdhsa_user_sgpr_dispatch_ptr 0
		.amdhsa_user_sgpr_queue_ptr 0
		.amdhsa_user_sgpr_kernarg_segment_ptr 1
		.amdhsa_user_sgpr_dispatch_id 0
		.amdhsa_user_sgpr_flat_scratch_init 0
		.amdhsa_user_sgpr_kernarg_preload_length 0
		.amdhsa_user_sgpr_kernarg_preload_offset 0
		.amdhsa_user_sgpr_private_segment_size 0
		.amdhsa_uses_dynamic_stack 0
		.amdhsa_system_sgpr_private_segment_wavefront_offset 0
		.amdhsa_system_sgpr_workgroup_id_x 1
		.amdhsa_system_sgpr_workgroup_id_y 0
		.amdhsa_system_sgpr_workgroup_id_z 0
		.amdhsa_system_sgpr_workgroup_info 0
		.amdhsa_system_vgpr_workitem_id 1
		.amdhsa_next_free_vgpr 28
		.amdhsa_next_free_sgpr 26
		.amdhsa_accum_offset 28
		.amdhsa_reserve_vcc 1
		.amdhsa_reserve_flat_scratch 0
		.amdhsa_float_round_mode_32 0
		.amdhsa_float_round_mode_16_64 0
		.amdhsa_float_denorm_mode_32 3
		.amdhsa_float_denorm_mode_16_64 3
		.amdhsa_dx10_clamp 1
		.amdhsa_ieee_mode 1
		.amdhsa_fp16_overflow 0
		.amdhsa_tg_split 0
		.amdhsa_exception_fp_ieee_invalid_op 0
		.amdhsa_exception_fp_denorm_src 0
		.amdhsa_exception_fp_ieee_div_zero 0
		.amdhsa_exception_fp_ieee_overflow 0
		.amdhsa_exception_fp_ieee_underflow 0
		.amdhsa_exception_fp_ieee_inexact 0
		.amdhsa_exception_int_div_zero 0
	.end_amdhsa_kernel
	.section	.text._ZN4vllm3moe10topkGatingILi4ELi8ELi4ELi16ELi64EifLNS0_11ScoringFuncE1EEEvPKT5_PKbPfiPT4_PiiiibPKf,"axG",@progbits,_ZN4vllm3moe10topkGatingILi4ELi8ELi4ELi16ELi64EifLNS0_11ScoringFuncE1EEEvPKT5_PKbPfiPT4_PiiiibPKf,comdat
.Lfunc_end194:
	.size	_ZN4vllm3moe10topkGatingILi4ELi8ELi4ELi16ELi64EifLNS0_11ScoringFuncE1EEEvPKT5_PKbPfiPT4_PiiiibPKf, .Lfunc_end194-_ZN4vllm3moe10topkGatingILi4ELi8ELi4ELi16ELi64EifLNS0_11ScoringFuncE1EEEvPKT5_PKbPfiPT4_PiiiibPKf
                                        ; -- End function
	.section	.AMDGPU.csdata,"",@progbits
; Kernel info:
; codeLenInByte = 1880
; NumSgprs: 30
; NumVgprs: 28
; NumAgprs: 0
; TotalNumVgprs: 28
; ScratchSize: 0
; MemoryBound: 0
; FloatMode: 240
; IeeeMode: 1
; LDSByteSize: 0 bytes/workgroup (compile time only)
; SGPRBlocks: 3
; VGPRBlocks: 3
; NumSGPRsForWavesPerEU: 30
; NumVGPRsForWavesPerEU: 28
; AccumOffset: 28
; Occupancy: 8
; WaveLimiterHint : 0
; COMPUTE_PGM_RSRC2:SCRATCH_EN: 0
; COMPUTE_PGM_RSRC2:USER_SGPR: 6
; COMPUTE_PGM_RSRC2:TRAP_HANDLER: 0
; COMPUTE_PGM_RSRC2:TGID_X_EN: 1
; COMPUTE_PGM_RSRC2:TGID_Y_EN: 0
; COMPUTE_PGM_RSRC2:TGID_Z_EN: 0
; COMPUTE_PGM_RSRC2:TIDIG_COMP_CNT: 1
; COMPUTE_PGM_RSRC3_GFX90A:ACCUM_OFFSET: 6
; COMPUTE_PGM_RSRC3_GFX90A:TG_SPLIT: 0
	.section	.text._ZN4vllm3moe10topkGatingILi4ELi8ELi4ELi16ELi32EifLNS0_11ScoringFuncE1EEEvPKT5_PKbPfiPT4_PiiiibPKf,"axG",@progbits,_ZN4vllm3moe10topkGatingILi4ELi8ELi4ELi16ELi32EifLNS0_11ScoringFuncE1EEEvPKT5_PKbPfiPT4_PiiiibPKf,comdat
	.protected	_ZN4vllm3moe10topkGatingILi4ELi8ELi4ELi16ELi32EifLNS0_11ScoringFuncE1EEEvPKT5_PKbPfiPT4_PiiiibPKf ; -- Begin function _ZN4vllm3moe10topkGatingILi4ELi8ELi4ELi16ELi32EifLNS0_11ScoringFuncE1EEEvPKT5_PKbPfiPT4_PiiiibPKf
	.globl	_ZN4vllm3moe10topkGatingILi4ELi8ELi4ELi16ELi32EifLNS0_11ScoringFuncE1EEEvPKT5_PKbPfiPT4_PiiiibPKf
	.p2align	8
	.type	_ZN4vllm3moe10topkGatingILi4ELi8ELi4ELi16ELi32EifLNS0_11ScoringFuncE1EEEvPKT5_PKbPfiPT4_PiiiibPKf,@function
_ZN4vllm3moe10topkGatingILi4ELi8ELi4ELi16ELi32EifLNS0_11ScoringFuncE1EEEvPKT5_PKbPfiPT4_PiiiibPKf: ; @_ZN4vllm3moe10topkGatingILi4ELi8ELi4ELi16ELi32EifLNS0_11ScoringFuncE1EEEvPKT5_PKbPfiPT4_PiiiibPKf
; %bb.0:
	s_load_dword s24, s[4:5], 0x18
	v_bfe_u32 v1, v0, 10, 10
	v_and_b32_e32 v0, 0x3ff, v0
	s_lshl_b32 s0, s6, 6
	v_lshlrev_b32_e32 v1, 4, v1
	v_lshrrev_b32_e32 v2, 1, v0
	v_add3_u32 v8, s0, v1, v2
	s_waitcnt lgkmcnt(0)
	v_cmp_gt_i32_e32 vcc, s24, v8
	s_and_saveexec_b64 s[0:1], vcc
	s_cbranch_execz .LBB195_30
; %bb.1:
	s_load_dwordx4 s[0:3], s[4:5], 0x0
	s_load_dwordx2 s[16:17], s[4:5], 0x10
	s_mov_b64 s[8:9], -1
	s_mov_b64 s[18:19], -1
	s_waitcnt lgkmcnt(0)
	s_cmp_eq_u64 s[2:3], 0
	s_cbranch_scc1 .LBB195_3
; %bb.2:
	v_ashrrev_i32_e32 v1, 31, v8
	v_mov_b32_e32 v3, s3
	v_add_co_u32_e32 v2, vcc, s2, v8
	v_addc_co_u32_e32 v3, vcc, v3, v1, vcc
	global_load_ubyte v1, v[2:3], off
	s_waitcnt vmcnt(0)
	v_and_b32_e32 v1, 1, v1
	v_cmp_eq_u32_e32 vcc, 1, v1
	s_xor_b64 s[2:3], vcc, -1
	s_orn2_b64 s[18:19], s[2:3], exec
.LBB195_3:
	v_lshlrev_b32_e32 v2, 3, v8
	v_ashrrev_i32_e32 v3, 31, v2
	v_lshlrev_b64 v[2:3], 2, v[2:3]
	v_mov_b32_e32 v1, s1
	v_add_co_u32_e32 v2, vcc, s0, v2
	v_and_b32_e32 v9, 1, v0
	v_addc_co_u32_e32 v1, vcc, v1, v3, vcc
	v_lshlrev_b32_e32 v0, 4, v9
	v_add_co_u32_e32 v0, vcc, v2, v0
	v_addc_co_u32_e32 v1, vcc, 0, v1, vcc
	global_load_dwordx4 v[0:3], v[0:1], off
	v_mov_b32_e32 v4, 0x207
	s_load_dwordx2 s[10:11], s[4:5], 0x40
	v_lshlrev_b32_e32 v10, 2, v9
	s_waitcnt lgkmcnt(0)
	s_cmp_eq_u64 s[10:11], 0
	s_waitcnt vmcnt(0)
	v_mul_f32_e32 v0, 0xbfb8aa3b, v0
	v_mul_f32_e32 v1, 0xbfb8aa3b, v1
	v_exp_f32_e32 v0, v0
	v_exp_f32_e32 v1, v1
	v_mul_f32_e32 v2, 0xbfb8aa3b, v2
	v_mul_f32_e32 v3, 0xbfb8aa3b, v3
	v_exp_f32_e32 v2, v2
	v_exp_f32_e32 v3, v3
	v_pk_add_f32 v[0:1], v[0:1], 1.0 op_sel_hi:[1,0]
	v_div_scale_f32 v5, s[0:1], v1, v1, 1.0
	v_rcp_f32_e32 v16, v5
	v_div_scale_f32 v7, s[0:1], v0, v0, 1.0
	v_pk_add_f32 v[2:3], v[2:3], 1.0 op_sel_hi:[1,0]
	v_rcp_f32_e32 v17, v7
	v_div_scale_f32 v12, s[2:3], v3, v3, 1.0
	v_rcp_f32_e32 v18, v12
	v_fma_f32 v20, -v5, v16, 1.0
	v_div_scale_f32 v6, vcc, 1.0, v1, 1.0
	v_div_scale_f32 v14, s[6:7], v2, v2, 1.0
	v_fmac_f32_e32 v16, v20, v16
	v_rcp_f32_e32 v19, v14
	v_fma_f32 v21, -v7, v17, 1.0
	v_mul_f32_e32 v20, v6, v16
	v_div_scale_f32 v11, s[0:1], 1.0, v0, 1.0
	v_fmac_f32_e32 v17, v21, v17
	v_fma_f32 v24, -v5, v20, v6
	v_fma_f32 v22, -v12, v18, 1.0
	v_mul_f32_e32 v21, v11, v17
	v_fmac_f32_e32 v20, v24, v16
	v_div_scale_f32 v13, s[2:3], 1.0, v3, 1.0
	v_fmac_f32_e32 v18, v22, v18
	v_fma_f32 v25, -v7, v21, v11
	v_fma_f32 v5, -v5, v20, v6
	v_fma_f32 v23, -v14, v19, 1.0
	v_mul_f32_e32 v22, v13, v18
	v_fmac_f32_e32 v21, v25, v17
	v_div_fmas_f32 v5, v5, v16, v20
	v_div_scale_f32 v15, s[6:7], 1.0, v2, 1.0
	v_fmac_f32_e32 v19, v23, v19
	v_fma_f32 v26, -v12, v22, v13
	v_fma_f32 v6, -v7, v21, v11
	v_div_fixup_f32 v1, v5, v1, 1.0
	s_mov_b64 vcc, s[0:1]
	v_mul_f32_e32 v23, v15, v19
	v_fmac_f32_e32 v22, v26, v18
	v_div_fmas_f32 v5, v6, v17, v21
	v_cmp_class_f32_e32 vcc, v1, v4
	v_fma_f32 v27, -v14, v23, v15
	v_fma_f32 v7, -v12, v22, v13
	v_div_fixup_f32 v0, v5, v0, 1.0
	v_cndmask_b32_e64 v1, v1, 0, vcc
	s_mov_b64 vcc, s[2:3]
	v_fmac_f32_e32 v23, v27, v19
	v_div_fmas_f32 v5, v7, v18, v22
	v_cmp_class_f32_e32 vcc, v0, v4
	v_fma_f32 v11, -v14, v23, v15
	v_cndmask_b32_e64 v0, v0, 0, vcc
	s_mov_b64 vcc, s[6:7]
	v_div_fixup_f32 v3, v5, v3, 1.0
	v_div_fmas_f32 v5, v11, v19, v23
	v_div_fixup_f32 v2, v5, v2, 1.0
	v_cmp_class_f32_e32 vcc, v3, v4
	v_cndmask_b32_e64 v3, v3, 0, vcc
	v_cmp_class_f32_e32 vcc, v2, v4
	v_cndmask_b32_e64 v2, v2, 0, vcc
	s_cbranch_scc1 .LBB195_19
; %bb.4:
	v_lshlrev_b32_e32 v4, 2, v10
	global_load_dwordx4 v[4:7], v4, s[10:11]
	s_waitcnt vmcnt(0)
	v_pk_add_f32 v[4:5], v[4:5], v[0:1]
	v_pk_add_f32 v[6:7], v[6:7], v[2:3]
	s_cbranch_execnz .LBB195_6
.LBB195_5:
	v_pk_mov_b32 v[6:7], v[2:3], v[2:3] op_sel:[0,1]
	v_pk_mov_b32 v[4:5], v[0:1], v[0:1] op_sel:[0,1]
.LBB195_6:
	s_load_dwordx4 s[8:11], s[4:5], 0x30
	s_mov_b32 s25, 0
	v_cmp_eq_u32_e64 s[0:1], 0, v9
	s_waitcnt lgkmcnt(0)
	s_bitcmp1_b32 s11, 0
	s_cselect_b64 vcc, -1, 0
	s_cmp_gt_i32 s8, 0
	s_cselect_b64 s[6:7], -1, 0
	s_cmp_lt_i32 s8, 1
	s_cbranch_scc1 .LBB195_20
; %bb.7:
	v_mbcnt_lo_u32_b32 v11, -1, 0
	v_mbcnt_hi_u32_b32 v11, -1, v11
	s_load_dwordx4 s[12:15], s[4:5], 0x20
	v_and_b32_e32 v13, 0x7e, v11
	v_xor_b32_e32 v12, 1, v11
	v_add_u32_e32 v13, 2, v13
	v_cmp_lt_i32_e64 s[2:3], v12, v13
	v_cndmask_b32_e64 v11, v11, v12, s[2:3]
	v_lshlrev_b32_e32 v12, 2, v11
	v_mul_lo_u32 v13, v8, s8
	v_mov_b32_e32 v11, 0
	v_mov_b32_e32 v14, 0xc61c4000
	;; [unrolled: 1-line block ×3, first 2 shown]
	s_branch .LBB195_10
.LBB195_8:                              ;   in Loop: Header=BB195_10 Depth=1
	s_or_b64 exec, exec, s[4:5]
.LBB195_9:                              ;   in Loop: Header=BB195_10 Depth=1
	s_cmp_eq_u32 s8, s25
	v_add_u32_e32 v15, s24, v15
	s_cbranch_scc1 .LBB195_21
.LBB195_10:                             ; =>This Inner Loop Header: Depth=1
	v_cmp_gt_f32_e64 s[2:3], v5, v4
	v_cndmask_b32_e64 v18, v4, v5, s[2:3]
	v_cndmask_b32_e64 v16, 0, 1, s[2:3]
	;; [unrolled: 1-line block ×3, first 2 shown]
	v_cmp_gt_f32_e64 s[2:3], v6, v18
	v_cndmask_b32_e64 v18, v18, v6, s[2:3]
	v_cndmask_b32_e64 v16, v16, 2, s[2:3]
	v_cndmask_b32_e64 v17, v17, v2, s[2:3]
	v_cmp_gt_f32_e64 s[2:3], v7, v18
	v_cndmask_b32_e64 v16, v16, 3, s[2:3]
	v_cndmask_b32_e64 v20, v18, v7, s[2:3]
	v_or_b32_e32 v16, v10, v16
	v_cndmask_b32_e64 v17, v17, v3, s[2:3]
	ds_bpermute_b32 v21, v12, v20
	ds_bpermute_b32 v18, v12, v17
	;; [unrolled: 1-line block ×3, first 2 shown]
	s_waitcnt lgkmcnt(0)
	v_cmp_lt_f32_e64 s[20:21], v20, v21
	v_cmp_nlt_f32_e64 s[2:3], v20, v21
	s_and_saveexec_b64 s[22:23], s[2:3]
	s_cbranch_execnz .LBB195_14
; %bb.11:                               ;   in Loop: Header=BB195_10 Depth=1
	s_or_b64 exec, exec, s[22:23]
	s_and_saveexec_b64 s[2:3], s[20:21]
	s_cbranch_execnz .LBB195_15
.LBB195_12:                             ;   in Loop: Header=BB195_10 Depth=1
	s_or_b64 exec, exec, s[2:3]
	s_and_saveexec_b64 s[20:21], s[0:1]
	s_cbranch_execnz .LBB195_16
.LBB195_13:                             ;   in Loop: Header=BB195_10 Depth=1
	s_or_b64 exec, exec, s[20:21]
	s_add_i32 s25, s25, 1
	s_cmp_ge_i32 s25, s8
	s_cbranch_scc1 .LBB195_9
	s_branch .LBB195_17
.LBB195_14:                             ;   in Loop: Header=BB195_10 Depth=1
	v_cmp_eq_f32_e64 s[2:3], v20, v21
	v_cmp_lt_i32_e64 s[4:5], v19, v16
	s_and_b64 s[2:3], s[2:3], s[4:5]
	s_andn2_b64 s[4:5], s[20:21], exec
	s_and_b64 s[2:3], s[2:3], exec
	s_or_b64 s[20:21], s[4:5], s[2:3]
	s_or_b64 exec, exec, s[22:23]
	s_and_saveexec_b64 s[2:3], s[20:21]
	s_cbranch_execz .LBB195_12
.LBB195_15:                             ;   in Loop: Header=BB195_10 Depth=1
	v_mov_b32_e32 v16, v19
	v_mov_b32_e32 v17, v18
	s_or_b64 exec, exec, s[2:3]
	s_and_saveexec_b64 s[20:21], s[0:1]
	s_cbranch_execz .LBB195_13
.LBB195_16:                             ;   in Loop: Header=BB195_10 Depth=1
	v_add_u32_e32 v18, s25, v13
	v_ashrrev_i32_e32 v19, 31, v18
	v_cmp_le_i32_e64 s[2:3], s9, v16
	v_cmp_gt_i32_e64 s[4:5], s10, v16
	v_lshlrev_b64 v[18:19], 2, v[18:19]
	s_and_b64 s[4:5], s[2:3], s[4:5]
	v_mov_b32_e32 v21, s17
	v_add_co_u32_e64 v20, s[2:3], s16, v18
	v_addc_co_u32_e64 v21, s[2:3], v21, v19, s[2:3]
	global_store_dword v[20:21], v17, off
	v_subrev_u32_e32 v20, s9, v16
	s_and_b64 s[2:3], s[18:19], s[4:5]
	v_cndmask_b32_e64 v22, 8, v20, s[2:3]
	v_mov_b32_e32 v21, s13
	v_add_co_u32_e64 v20, s[2:3], s12, v18
	v_addc_co_u32_e64 v21, s[2:3], v21, v19, s[2:3]
	global_store_dword v[20:21], v22, off
	v_mov_b32_e32 v20, s15
	v_add_co_u32_e64 v18, s[2:3], s14, v18
	v_add_f32_e32 v17, v11, v17
	v_addc_co_u32_e64 v19, s[2:3], v20, v19, s[2:3]
	v_cndmask_b32_e32 v11, v11, v17, vcc
	global_store_dword v[18:19], v15, off
	s_or_b64 exec, exec, s[20:21]
	s_add_i32 s25, s25, 1
	s_cmp_ge_i32 s25, s8
	s_cbranch_scc1 .LBB195_9
.LBB195_17:                             ;   in Loop: Header=BB195_10 Depth=1
	v_ashrrev_i32_e32 v18, 31, v16
	v_lshrrev_b32_e32 v17, 30, v18
	v_add_u32_e32 v19, v16, v17
	v_ashrrev_i32_e32 v17, 2, v19
	v_lshrrev_b32_e32 v19, 31, v19
	v_add_u32_e32 v19, v17, v19
	v_and_b32_e32 v19, -2, v19
	v_sub_u32_e32 v19, v17, v19
	v_cmp_eq_u32_e64 s[2:3], v9, v19
	s_and_saveexec_b64 s[4:5], s[2:3]
	s_cbranch_execz .LBB195_8
; %bb.18:                               ;   in Loop: Header=BB195_10 Depth=1
	v_lshrrev_b32_e32 v18, 29, v18
	v_add_u32_e32 v18, v16, v18
	v_lshlrev_b32_e32 v17, 2, v17
	v_ashrrev_i32_e32 v18, 3, v18
	v_sub_u32_e32 v16, v16, v17
	v_lshl_add_u32 v16, v18, 2, v16
	v_cmp_ne_u32_e64 s[2:3], 3, v16
	v_cndmask_b32_e64 v7, v14, v7, s[2:3]
	v_cmp_ne_u32_e64 s[2:3], 2, v16
	v_cndmask_b32_e64 v6, v14, v6, s[2:3]
	;; [unrolled: 2-line block ×4, first 2 shown]
	s_branch .LBB195_8
.LBB195_19:
                                        ; implicit-def: $vgpr4_vgpr5_vgpr6_vgpr7
	s_andn2_b64 vcc, exec, s[8:9]
	s_cbranch_vccz .LBB195_5
	s_branch .LBB195_6
.LBB195_20:
	v_mov_b32_e32 v11, 0
.LBB195_21:
	v_cmp_eq_u32_e64 s[0:1], 0, v9
	s_and_b64 s[0:1], s[0:1], vcc
	s_and_b64 exec, exec, s[0:1]
	s_cbranch_execz .LBB195_30
; %bb.22:
	s_andn2_b64 vcc, exec, s[6:7]
	s_cbranch_vccnz .LBB195_30
; %bb.23:
	v_cmp_lt_f32_e32 vcc, 0, v11
	s_mov_b32 s2, 0
	v_cndmask_b32_e32 v0, 1.0, v11, vcc
	v_mul_lo_u32 v4, v8, s8
	s_cmp_eq_u32 s8, 1
	s_mov_b64 s[0:1], -1
	s_cbranch_scc1 .LBB195_27
; %bb.24:
	s_and_b32 s2, s8, 0x7ffffffe
	v_mov_b32_e32 v1, v0
	v_mov_b32_e32 v5, s17
	s_mov_b32 s3, s2
	v_mov_b32_e32 v2, v4
.LBB195_25:                             ; =>This Inner Loop Header: Depth=1
	v_ashrrev_i32_e32 v3, 31, v2
	v_lshlrev_b64 v[6:7], 2, v[2:3]
	v_add_co_u32_e32 v6, vcc, s16, v6
	v_addc_co_u32_e32 v7, vcc, v5, v7, vcc
	global_load_dwordx2 v[8:9], v[6:7], off
	s_add_i32 s3, s3, -2
	s_cmp_lg_u32 s3, 0
	v_add_u32_e32 v2, 2, v2
	s_waitcnt vmcnt(0)
	v_div_scale_f32 v3, s[0:1], v1, v1, v9
	v_div_scale_f32 v11, s[0:1], v0, v0, v8
	v_rcp_f32_e32 v12, v3
	v_rcp_f32_e32 v13, v11
	v_div_scale_f32 v10, vcc, v9, v1, v9
	v_fma_f32 v15, -v3, v12, 1.0
	v_fma_f32 v16, -v11, v13, 1.0
	v_fmac_f32_e32 v12, v15, v12
	v_div_scale_f32 v14, s[0:1], v8, v0, v8
	v_fmac_f32_e32 v13, v16, v13
	v_mul_f32_e32 v15, v10, v12
	v_mul_f32_e32 v16, v14, v13
	v_fma_f32 v17, -v3, v15, v10
	v_fma_f32 v18, -v11, v16, v14
	v_fmac_f32_e32 v15, v17, v12
	v_fmac_f32_e32 v16, v18, v13
	v_fma_f32 v3, -v3, v15, v10
	v_fma_f32 v10, -v11, v16, v14
	v_div_fmas_f32 v3, v3, v12, v15
	s_mov_b64 vcc, s[0:1]
	v_div_fixup_f32 v9, v3, v1, v9
	v_div_fmas_f32 v3, v10, v13, v16
	v_div_fixup_f32 v8, v3, v0, v8
	global_store_dwordx2 v[6:7], v[8:9], off
	s_cbranch_scc1 .LBB195_25
; %bb.26:
	s_cmp_lg_u32 s2, s8
	s_cselect_b64 s[0:1], -1, 0
.LBB195_27:
	s_and_b64 vcc, exec, s[0:1]
	s_cbranch_vccz .LBB195_30
; %bb.28:
	v_ashrrev_i32_e32 v1, 31, v4
	v_add_co_u32_e32 v2, vcc, s2, v4
	v_addc_co_u32_e32 v3, vcc, 0, v1, vcc
	v_lshlrev_b64 v[2:3], 2, v[2:3]
	v_mov_b32_e32 v1, s17
	v_add_co_u32_e32 v2, vcc, s16, v2
	s_sub_i32 s0, s8, s2
	v_addc_co_u32_e32 v3, vcc, v1, v3, vcc
.LBB195_29:                             ; =>This Inner Loop Header: Depth=1
	global_load_dword v1, v[2:3], off
	s_add_i32 s0, s0, -1
	s_cmp_lg_u32 s0, 0
	s_waitcnt vmcnt(0)
	v_div_scale_f32 v4, s[2:3], v0, v0, v1
	v_rcp_f32_e32 v5, v4
	v_div_scale_f32 v6, vcc, v1, v0, v1
	v_fma_f32 v7, -v4, v5, 1.0
	v_fmac_f32_e32 v5, v7, v5
	v_mul_f32_e32 v7, v6, v5
	v_fma_f32 v8, -v4, v7, v6
	v_fmac_f32_e32 v7, v8, v5
	v_fma_f32 v4, -v4, v7, v6
	v_div_fmas_f32 v4, v4, v5, v7
	v_div_fixup_f32 v1, v4, v0, v1
	global_store_dword v[2:3], v1, off
	v_add_co_u32_e32 v2, vcc, 4, v2
	v_addc_co_u32_e32 v3, vcc, 0, v3, vcc
	s_cbranch_scc1 .LBB195_29
.LBB195_30:
	s_endpgm
	.section	.rodata,"a",@progbits
	.p2align	6, 0x0
	.amdhsa_kernel _ZN4vllm3moe10topkGatingILi4ELi8ELi4ELi16ELi32EifLNS0_11ScoringFuncE1EEEvPKT5_PKbPfiPT4_PiiiibPKf
		.amdhsa_group_segment_fixed_size 0
		.amdhsa_private_segment_fixed_size 0
		.amdhsa_kernarg_size 72
		.amdhsa_user_sgpr_count 6
		.amdhsa_user_sgpr_private_segment_buffer 1
		.amdhsa_user_sgpr_dispatch_ptr 0
		.amdhsa_user_sgpr_queue_ptr 0
		.amdhsa_user_sgpr_kernarg_segment_ptr 1
		.amdhsa_user_sgpr_dispatch_id 0
		.amdhsa_user_sgpr_flat_scratch_init 0
		.amdhsa_user_sgpr_kernarg_preload_length 0
		.amdhsa_user_sgpr_kernarg_preload_offset 0
		.amdhsa_user_sgpr_private_segment_size 0
		.amdhsa_uses_dynamic_stack 0
		.amdhsa_system_sgpr_private_segment_wavefront_offset 0
		.amdhsa_system_sgpr_workgroup_id_x 1
		.amdhsa_system_sgpr_workgroup_id_y 0
		.amdhsa_system_sgpr_workgroup_id_z 0
		.amdhsa_system_sgpr_workgroup_info 0
		.amdhsa_system_vgpr_workitem_id 1
		.amdhsa_next_free_vgpr 28
		.amdhsa_next_free_sgpr 26
		.amdhsa_accum_offset 28
		.amdhsa_reserve_vcc 1
		.amdhsa_reserve_flat_scratch 0
		.amdhsa_float_round_mode_32 0
		.amdhsa_float_round_mode_16_64 0
		.amdhsa_float_denorm_mode_32 3
		.amdhsa_float_denorm_mode_16_64 3
		.amdhsa_dx10_clamp 1
		.amdhsa_ieee_mode 1
		.amdhsa_fp16_overflow 0
		.amdhsa_tg_split 0
		.amdhsa_exception_fp_ieee_invalid_op 0
		.amdhsa_exception_fp_denorm_src 0
		.amdhsa_exception_fp_ieee_div_zero 0
		.amdhsa_exception_fp_ieee_overflow 0
		.amdhsa_exception_fp_ieee_underflow 0
		.amdhsa_exception_fp_ieee_inexact 0
		.amdhsa_exception_int_div_zero 0
	.end_amdhsa_kernel
	.section	.text._ZN4vllm3moe10topkGatingILi4ELi8ELi4ELi16ELi32EifLNS0_11ScoringFuncE1EEEvPKT5_PKbPfiPT4_PiiiibPKf,"axG",@progbits,_ZN4vllm3moe10topkGatingILi4ELi8ELi4ELi16ELi32EifLNS0_11ScoringFuncE1EEEvPKT5_PKbPfiPT4_PiiiibPKf,comdat
.Lfunc_end195:
	.size	_ZN4vllm3moe10topkGatingILi4ELi8ELi4ELi16ELi32EifLNS0_11ScoringFuncE1EEEvPKT5_PKbPfiPT4_PiiiibPKf, .Lfunc_end195-_ZN4vllm3moe10topkGatingILi4ELi8ELi4ELi16ELi32EifLNS0_11ScoringFuncE1EEEvPKT5_PKbPfiPT4_PiiiibPKf
                                        ; -- End function
	.section	.AMDGPU.csdata,"",@progbits
; Kernel info:
; codeLenInByte = 1880
; NumSgprs: 30
; NumVgprs: 28
; NumAgprs: 0
; TotalNumVgprs: 28
; ScratchSize: 0
; MemoryBound: 0
; FloatMode: 240
; IeeeMode: 1
; LDSByteSize: 0 bytes/workgroup (compile time only)
; SGPRBlocks: 3
; VGPRBlocks: 3
; NumSGPRsForWavesPerEU: 30
; NumVGPRsForWavesPerEU: 28
; AccumOffset: 28
; Occupancy: 8
; WaveLimiterHint : 0
; COMPUTE_PGM_RSRC2:SCRATCH_EN: 0
; COMPUTE_PGM_RSRC2:USER_SGPR: 6
; COMPUTE_PGM_RSRC2:TRAP_HANDLER: 0
; COMPUTE_PGM_RSRC2:TGID_X_EN: 1
; COMPUTE_PGM_RSRC2:TGID_Y_EN: 0
; COMPUTE_PGM_RSRC2:TGID_Z_EN: 0
; COMPUTE_PGM_RSRC2:TIDIG_COMP_CNT: 1
; COMPUTE_PGM_RSRC3_GFX90A:ACCUM_OFFSET: 6
; COMPUTE_PGM_RSRC3_GFX90A:TG_SPLIT: 0
	.section	.text._ZN4vllm3moe10topkGatingILi4ELi16ELi4ELi16ELi64EifLNS0_11ScoringFuncE1EEEvPKT5_PKbPfiPT4_PiiiibPKf,"axG",@progbits,_ZN4vllm3moe10topkGatingILi4ELi16ELi4ELi16ELi64EifLNS0_11ScoringFuncE1EEEvPKT5_PKbPfiPT4_PiiiibPKf,comdat
	.protected	_ZN4vllm3moe10topkGatingILi4ELi16ELi4ELi16ELi64EifLNS0_11ScoringFuncE1EEEvPKT5_PKbPfiPT4_PiiiibPKf ; -- Begin function _ZN4vllm3moe10topkGatingILi4ELi16ELi4ELi16ELi64EifLNS0_11ScoringFuncE1EEEvPKT5_PKbPfiPT4_PiiiibPKf
	.globl	_ZN4vllm3moe10topkGatingILi4ELi16ELi4ELi16ELi64EifLNS0_11ScoringFuncE1EEEvPKT5_PKbPfiPT4_PiiiibPKf
	.p2align	8
	.type	_ZN4vllm3moe10topkGatingILi4ELi16ELi4ELi16ELi64EifLNS0_11ScoringFuncE1EEEvPKT5_PKbPfiPT4_PiiiibPKf,@function
_ZN4vllm3moe10topkGatingILi4ELi16ELi4ELi16ELi64EifLNS0_11ScoringFuncE1EEEvPKT5_PKbPfiPT4_PiiiibPKf: ; @_ZN4vllm3moe10topkGatingILi4ELi16ELi4ELi16ELi64EifLNS0_11ScoringFuncE1EEEvPKT5_PKbPfiPT4_PiiiibPKf
; %bb.0:
	s_load_dword s24, s[4:5], 0x18
	v_bfe_u32 v1, v0, 10, 10
	v_and_b32_e32 v0, 0x3ff, v0
	s_lshl_b32 s0, s6, 6
	v_lshlrev_b32_e32 v1, 4, v1
	v_lshrrev_b32_e32 v2, 2, v0
	v_add3_u32 v8, s0, v1, v2
	s_waitcnt lgkmcnt(0)
	v_cmp_gt_i32_e32 vcc, s24, v8
	s_and_saveexec_b64 s[0:1], vcc
	s_cbranch_execz .LBB196_34
; %bb.1:
	s_load_dwordx4 s[0:3], s[4:5], 0x0
	s_load_dwordx2 s[16:17], s[4:5], 0x10
	s_mov_b64 s[8:9], -1
	s_mov_b64 s[18:19], -1
	s_waitcnt lgkmcnt(0)
	s_cmp_eq_u64 s[2:3], 0
	s_cbranch_scc1 .LBB196_3
; %bb.2:
	v_ashrrev_i32_e32 v1, 31, v8
	v_mov_b32_e32 v3, s3
	v_add_co_u32_e32 v2, vcc, s2, v8
	v_addc_co_u32_e32 v3, vcc, v3, v1, vcc
	global_load_ubyte v1, v[2:3], off
	s_waitcnt vmcnt(0)
	v_and_b32_e32 v1, 1, v1
	v_cmp_eq_u32_e32 vcc, 1, v1
	s_xor_b64 s[2:3], vcc, -1
	s_orn2_b64 s[18:19], s[2:3], exec
.LBB196_3:
	v_lshlrev_b32_e32 v2, 4, v8
	v_ashrrev_i32_e32 v3, 31, v2
	v_lshlrev_b64 v[2:3], 2, v[2:3]
	v_mov_b32_e32 v1, s1
	v_add_co_u32_e32 v2, vcc, s0, v2
	v_and_b32_e32 v9, 3, v0
	v_addc_co_u32_e32 v1, vcc, v1, v3, vcc
	v_lshlrev_b32_e32 v0, 4, v9
	v_add_co_u32_e32 v0, vcc, v2, v0
	v_addc_co_u32_e32 v1, vcc, 0, v1, vcc
	global_load_dwordx4 v[0:3], v[0:1], off
	v_mov_b32_e32 v4, 0x207
	s_load_dwordx2 s[10:11], s[4:5], 0x40
	v_lshlrev_b32_e32 v10, 2, v9
	s_waitcnt lgkmcnt(0)
	s_cmp_eq_u64 s[10:11], 0
	s_waitcnt vmcnt(0)
	v_mul_f32_e32 v0, 0xbfb8aa3b, v0
	v_mul_f32_e32 v1, 0xbfb8aa3b, v1
	v_exp_f32_e32 v0, v0
	v_exp_f32_e32 v1, v1
	v_mul_f32_e32 v2, 0xbfb8aa3b, v2
	v_mul_f32_e32 v3, 0xbfb8aa3b, v3
	v_exp_f32_e32 v2, v2
	v_exp_f32_e32 v3, v3
	v_pk_add_f32 v[0:1], v[0:1], 1.0 op_sel_hi:[1,0]
	v_div_scale_f32 v5, s[0:1], v1, v1, 1.0
	v_rcp_f32_e32 v16, v5
	v_div_scale_f32 v7, s[0:1], v0, v0, 1.0
	v_pk_add_f32 v[2:3], v[2:3], 1.0 op_sel_hi:[1,0]
	v_rcp_f32_e32 v17, v7
	v_div_scale_f32 v12, s[2:3], v3, v3, 1.0
	v_rcp_f32_e32 v18, v12
	v_fma_f32 v20, -v5, v16, 1.0
	v_div_scale_f32 v6, vcc, 1.0, v1, 1.0
	v_div_scale_f32 v14, s[6:7], v2, v2, 1.0
	v_fmac_f32_e32 v16, v20, v16
	v_rcp_f32_e32 v19, v14
	v_fma_f32 v21, -v7, v17, 1.0
	v_mul_f32_e32 v20, v6, v16
	v_div_scale_f32 v11, s[0:1], 1.0, v0, 1.0
	v_fmac_f32_e32 v17, v21, v17
	v_fma_f32 v24, -v5, v20, v6
	v_fma_f32 v22, -v12, v18, 1.0
	v_mul_f32_e32 v21, v11, v17
	v_fmac_f32_e32 v20, v24, v16
	v_div_scale_f32 v13, s[2:3], 1.0, v3, 1.0
	v_fmac_f32_e32 v18, v22, v18
	v_fma_f32 v25, -v7, v21, v11
	v_fma_f32 v5, -v5, v20, v6
	v_fma_f32 v23, -v14, v19, 1.0
	v_mul_f32_e32 v22, v13, v18
	v_fmac_f32_e32 v21, v25, v17
	v_div_fmas_f32 v5, v5, v16, v20
	v_div_scale_f32 v15, s[6:7], 1.0, v2, 1.0
	v_fmac_f32_e32 v19, v23, v19
	v_fma_f32 v26, -v12, v22, v13
	v_fma_f32 v6, -v7, v21, v11
	v_div_fixup_f32 v1, v5, v1, 1.0
	s_mov_b64 vcc, s[0:1]
	v_mul_f32_e32 v23, v15, v19
	v_fmac_f32_e32 v22, v26, v18
	v_div_fmas_f32 v5, v6, v17, v21
	v_cmp_class_f32_e32 vcc, v1, v4
	v_fma_f32 v27, -v14, v23, v15
	v_fma_f32 v7, -v12, v22, v13
	v_div_fixup_f32 v0, v5, v0, 1.0
	v_cndmask_b32_e64 v1, v1, 0, vcc
	s_mov_b64 vcc, s[2:3]
	v_fmac_f32_e32 v23, v27, v19
	v_div_fmas_f32 v5, v7, v18, v22
	v_cmp_class_f32_e32 vcc, v0, v4
	v_fma_f32 v11, -v14, v23, v15
	v_cndmask_b32_e64 v0, v0, 0, vcc
	s_mov_b64 vcc, s[6:7]
	v_div_fixup_f32 v3, v5, v3, 1.0
	v_div_fmas_f32 v5, v11, v19, v23
	v_div_fixup_f32 v2, v5, v2, 1.0
	v_cmp_class_f32_e32 vcc, v3, v4
	v_cndmask_b32_e64 v3, v3, 0, vcc
	v_cmp_class_f32_e32 vcc, v2, v4
	v_cndmask_b32_e64 v2, v2, 0, vcc
	s_cbranch_scc1 .LBB196_23
; %bb.4:
	v_lshlrev_b32_e32 v4, 2, v10
	global_load_dwordx4 v[4:7], v4, s[10:11]
	s_waitcnt vmcnt(0)
	v_pk_add_f32 v[4:5], v[4:5], v[0:1]
	v_pk_add_f32 v[6:7], v[6:7], v[2:3]
	s_cbranch_execnz .LBB196_6
.LBB196_5:
	v_pk_mov_b32 v[6:7], v[2:3], v[2:3] op_sel:[0,1]
	v_pk_mov_b32 v[4:5], v[0:1], v[0:1] op_sel:[0,1]
.LBB196_6:
	s_load_dwordx4 s[8:11], s[4:5], 0x30
	s_mov_b32 s25, 0
	v_cmp_eq_u32_e64 s[0:1], 0, v9
	s_waitcnt lgkmcnt(0)
	s_bitcmp1_b32 s11, 0
	s_cselect_b64 vcc, -1, 0
	s_cmp_gt_i32 s8, 0
	s_cselect_b64 s[6:7], -1, 0
	s_cmp_lt_i32 s8, 1
	s_cbranch_scc1 .LBB196_24
; %bb.7:
	v_mbcnt_lo_u32_b32 v11, -1, 0
	v_mbcnt_hi_u32_b32 v11, -1, v11
	v_and_b32_e32 v12, 0x7c, v11
	s_load_dwordx4 s[12:15], s[4:5], 0x20
	v_add_u32_e32 v14, 4, v12
	v_xor_b32_e32 v13, 2, v11
	v_cmp_lt_i32_e64 s[2:3], v13, v14
	v_xor_b32_e32 v15, 1, v11
	v_cndmask_b32_e64 v13, v11, v13, s[2:3]
	v_cmp_lt_i32_e64 s[2:3], v15, v14
	v_cndmask_b32_e64 v11, v11, v15, s[2:3]
	v_mul_lo_u32 v12, v8, s8
	v_lshlrev_b32_e32 v13, 2, v13
	v_lshlrev_b32_e32 v14, 2, v11
	v_mov_b32_e32 v11, 0
	v_mov_b32_e32 v15, 0xc61c4000
	;; [unrolled: 1-line block ×3, first 2 shown]
	s_branch .LBB196_10
.LBB196_8:                              ;   in Loop: Header=BB196_10 Depth=1
	s_or_b64 exec, exec, s[4:5]
.LBB196_9:                              ;   in Loop: Header=BB196_10 Depth=1
	s_cmp_eq_u32 s8, s25
	v_add_u32_e32 v16, s24, v16
	s_cbranch_scc1 .LBB196_25
.LBB196_10:                             ; =>This Inner Loop Header: Depth=1
	v_cmp_gt_f32_e64 s[2:3], v5, v4
	v_cndmask_b32_e64 v19, v4, v5, s[2:3]
	v_cndmask_b32_e64 v17, 0, 1, s[2:3]
	;; [unrolled: 1-line block ×3, first 2 shown]
	v_cmp_gt_f32_e64 s[2:3], v6, v19
	v_cndmask_b32_e64 v19, v19, v6, s[2:3]
	v_cndmask_b32_e64 v17, v17, 2, s[2:3]
	;; [unrolled: 1-line block ×3, first 2 shown]
	v_cmp_gt_f32_e64 s[2:3], v7, v19
	v_cndmask_b32_e64 v17, v17, 3, s[2:3]
	v_cndmask_b32_e64 v19, v19, v7, s[2:3]
	v_or_b32_e32 v17, v10, v17
	v_cndmask_b32_e64 v18, v18, v3, s[2:3]
	s_waitcnt lgkmcnt(0)
	ds_bpermute_b32 v20, v13, v19
	ds_bpermute_b32 v22, v13, v18
	;; [unrolled: 1-line block ×3, first 2 shown]
	s_waitcnt lgkmcnt(0)
	v_cmp_lt_f32_e64 s[20:21], v19, v20
	v_cmp_nlt_f32_e64 s[2:3], v19, v20
	s_and_saveexec_b64 s[22:23], s[2:3]
; %bb.11:                               ;   in Loop: Header=BB196_10 Depth=1
	v_cmp_eq_f32_e64 s[2:3], v19, v20
	v_cmp_lt_i32_e64 s[4:5], v21, v17
	s_and_b64 s[2:3], s[2:3], s[4:5]
	s_andn2_b64 s[4:5], s[20:21], exec
	s_and_b64 s[2:3], s[2:3], exec
	s_or_b64 s[20:21], s[4:5], s[2:3]
; %bb.12:                               ;   in Loop: Header=BB196_10 Depth=1
	s_or_b64 exec, exec, s[22:23]
	s_and_saveexec_b64 s[2:3], s[20:21]
; %bb.13:                               ;   in Loop: Header=BB196_10 Depth=1
	v_mov_b32_e32 v18, v22
	v_mov_b32_e32 v19, v20
	;; [unrolled: 1-line block ×3, first 2 shown]
; %bb.14:                               ;   in Loop: Header=BB196_10 Depth=1
	s_or_b64 exec, exec, s[2:3]
	ds_bpermute_b32 v22, v14, v19
	ds_bpermute_b32 v20, v14, v18
	;; [unrolled: 1-line block ×3, first 2 shown]
	s_waitcnt lgkmcnt(2)
	v_cmp_lt_f32_e64 s[20:21], v19, v22
	v_cmp_nlt_f32_e64 s[2:3], v19, v22
	s_and_saveexec_b64 s[22:23], s[2:3]
	s_cbranch_execnz .LBB196_18
; %bb.15:                               ;   in Loop: Header=BB196_10 Depth=1
	s_or_b64 exec, exec, s[22:23]
	s_and_saveexec_b64 s[2:3], s[20:21]
	s_cbranch_execnz .LBB196_19
.LBB196_16:                             ;   in Loop: Header=BB196_10 Depth=1
	s_or_b64 exec, exec, s[2:3]
	s_and_saveexec_b64 s[20:21], s[0:1]
	s_cbranch_execnz .LBB196_20
.LBB196_17:                             ;   in Loop: Header=BB196_10 Depth=1
	s_or_b64 exec, exec, s[20:21]
	s_add_i32 s25, s25, 1
	s_cmp_ge_i32 s25, s8
	s_cbranch_scc1 .LBB196_9
	s_branch .LBB196_21
.LBB196_18:                             ;   in Loop: Header=BB196_10 Depth=1
	v_cmp_eq_f32_e64 s[2:3], v19, v22
	s_waitcnt lgkmcnt(0)
	v_cmp_lt_i32_e64 s[4:5], v21, v17
	s_and_b64 s[2:3], s[2:3], s[4:5]
	s_andn2_b64 s[4:5], s[20:21], exec
	s_and_b64 s[2:3], s[2:3], exec
	s_or_b64 s[20:21], s[4:5], s[2:3]
	s_or_b64 exec, exec, s[22:23]
	s_and_saveexec_b64 s[2:3], s[20:21]
	s_cbranch_execz .LBB196_16
.LBB196_19:                             ;   in Loop: Header=BB196_10 Depth=1
	s_waitcnt lgkmcnt(0)
	v_mov_b32_e32 v17, v21
	v_mov_b32_e32 v18, v20
	s_or_b64 exec, exec, s[2:3]
	s_and_saveexec_b64 s[20:21], s[0:1]
	s_cbranch_execz .LBB196_17
.LBB196_20:                             ;   in Loop: Header=BB196_10 Depth=1
	s_waitcnt lgkmcnt(1)
	v_add_u32_e32 v20, s25, v12
	s_waitcnt lgkmcnt(0)
	v_ashrrev_i32_e32 v21, 31, v20
	v_cmp_le_i32_e64 s[2:3], s9, v17
	v_cmp_gt_i32_e64 s[4:5], s10, v17
	v_lshlrev_b64 v[20:21], 2, v[20:21]
	s_and_b64 s[4:5], s[2:3], s[4:5]
	v_mov_b32_e32 v19, s17
	v_add_co_u32_e64 v22, s[2:3], s16, v20
	v_addc_co_u32_e64 v23, s[2:3], v19, v21, s[2:3]
	v_subrev_u32_e32 v19, s9, v17
	s_and_b64 s[2:3], s[18:19], s[4:5]
	global_store_dword v[22:23], v18, off
	v_cndmask_b32_e64 v19, 16, v19, s[2:3]
	v_mov_b32_e32 v23, s13
	v_add_co_u32_e64 v22, s[2:3], s12, v20
	v_addc_co_u32_e64 v23, s[2:3], v23, v21, s[2:3]
	global_store_dword v[22:23], v19, off
	v_mov_b32_e32 v19, s15
	v_add_co_u32_e64 v20, s[2:3], s14, v20
	v_add_f32_e32 v18, v11, v18
	v_addc_co_u32_e64 v21, s[2:3], v19, v21, s[2:3]
	v_cndmask_b32_e32 v11, v11, v18, vcc
	global_store_dword v[20:21], v16, off
	s_or_b64 exec, exec, s[20:21]
	s_add_i32 s25, s25, 1
	s_cmp_ge_i32 s25, s8
	s_cbranch_scc1 .LBB196_9
.LBB196_21:                             ;   in Loop: Header=BB196_10 Depth=1
	v_ashrrev_i32_e32 v19, 31, v17
	v_lshrrev_b32_e32 v18, 30, v19
	v_add_u32_e32 v18, v17, v18
	v_ashrrev_i32_e32 v18, 2, v18
	s_waitcnt lgkmcnt(1)
	v_lshrrev_b32_e32 v20, 30, v18
	v_add_u32_e32 v20, v18, v20
	v_and_b32_e32 v20, -4, v20
	v_sub_u32_e32 v20, v18, v20
	v_cmp_eq_u32_e64 s[2:3], v9, v20
	s_and_saveexec_b64 s[4:5], s[2:3]
	s_cbranch_execz .LBB196_8
; %bb.22:                               ;   in Loop: Header=BB196_10 Depth=1
	v_lshrrev_b32_e32 v19, 28, v19
	v_add_u32_e32 v19, v17, v19
	v_lshlrev_b32_e32 v18, 2, v18
	v_ashrrev_i32_e32 v19, 4, v19
	v_sub_u32_e32 v17, v17, v18
	v_lshl_add_u32 v17, v19, 2, v17
	v_cmp_ne_u32_e64 s[2:3], 3, v17
	v_cndmask_b32_e64 v7, v15, v7, s[2:3]
	v_cmp_ne_u32_e64 s[2:3], 2, v17
	v_cndmask_b32_e64 v6, v15, v6, s[2:3]
	;; [unrolled: 2-line block ×4, first 2 shown]
	s_branch .LBB196_8
.LBB196_23:
                                        ; implicit-def: $vgpr4_vgpr5_vgpr6_vgpr7
	s_andn2_b64 vcc, exec, s[8:9]
	s_cbranch_vccz .LBB196_5
	s_branch .LBB196_6
.LBB196_24:
	v_mov_b32_e32 v11, 0
.LBB196_25:
	v_cmp_eq_u32_e64 s[0:1], 0, v9
	s_and_b64 s[0:1], s[0:1], vcc
	s_and_b64 exec, exec, s[0:1]
	s_cbranch_execz .LBB196_34
; %bb.26:
	s_andn2_b64 vcc, exec, s[6:7]
	s_cbranch_vccnz .LBB196_34
; %bb.27:
	v_cmp_lt_f32_e32 vcc, 0, v11
	s_mov_b32 s2, 0
	v_cndmask_b32_e32 v0, 1.0, v11, vcc
	v_mul_lo_u32 v4, v8, s8
	s_cmp_eq_u32 s8, 1
	s_mov_b64 s[0:1], -1
	s_cbranch_scc1 .LBB196_31
; %bb.28:
	s_and_b32 s2, s8, 0x7ffffffe
	v_mov_b32_e32 v1, v0
	v_mov_b32_e32 v5, s17
	s_mov_b32 s3, s2
	v_mov_b32_e32 v2, v4
.LBB196_29:                             ; =>This Inner Loop Header: Depth=1
	v_ashrrev_i32_e32 v3, 31, v2
	v_lshlrev_b64 v[6:7], 2, v[2:3]
	v_add_co_u32_e32 v6, vcc, s16, v6
	v_addc_co_u32_e32 v7, vcc, v5, v7, vcc
	global_load_dwordx2 v[8:9], v[6:7], off
	s_add_i32 s3, s3, -2
	s_cmp_lg_u32 s3, 0
	v_add_u32_e32 v2, 2, v2
	s_waitcnt vmcnt(0)
	v_div_scale_f32 v3, s[0:1], v1, v1, v9
	v_div_scale_f32 v11, s[0:1], v0, v0, v8
	v_rcp_f32_e32 v12, v3
	v_rcp_f32_e32 v13, v11
	v_div_scale_f32 v10, vcc, v9, v1, v9
	v_fma_f32 v15, -v3, v12, 1.0
	v_fma_f32 v16, -v11, v13, 1.0
	v_fmac_f32_e32 v12, v15, v12
	v_div_scale_f32 v14, s[0:1], v8, v0, v8
	v_fmac_f32_e32 v13, v16, v13
	v_mul_f32_e32 v15, v10, v12
	v_mul_f32_e32 v16, v14, v13
	v_fma_f32 v17, -v3, v15, v10
	v_fma_f32 v18, -v11, v16, v14
	v_fmac_f32_e32 v15, v17, v12
	v_fmac_f32_e32 v16, v18, v13
	v_fma_f32 v3, -v3, v15, v10
	v_fma_f32 v10, -v11, v16, v14
	v_div_fmas_f32 v3, v3, v12, v15
	s_mov_b64 vcc, s[0:1]
	v_div_fixup_f32 v9, v3, v1, v9
	v_div_fmas_f32 v3, v10, v13, v16
	v_div_fixup_f32 v8, v3, v0, v8
	global_store_dwordx2 v[6:7], v[8:9], off
	s_cbranch_scc1 .LBB196_29
; %bb.30:
	s_cmp_lg_u32 s2, s8
	s_cselect_b64 s[0:1], -1, 0
.LBB196_31:
	s_and_b64 vcc, exec, s[0:1]
	s_cbranch_vccz .LBB196_34
; %bb.32:
	v_ashrrev_i32_e32 v1, 31, v4
	v_add_co_u32_e32 v2, vcc, s2, v4
	v_addc_co_u32_e32 v3, vcc, 0, v1, vcc
	v_lshlrev_b64 v[2:3], 2, v[2:3]
	v_mov_b32_e32 v1, s17
	v_add_co_u32_e32 v2, vcc, s16, v2
	s_sub_i32 s0, s8, s2
	v_addc_co_u32_e32 v3, vcc, v1, v3, vcc
.LBB196_33:                             ; =>This Inner Loop Header: Depth=1
	global_load_dword v1, v[2:3], off
	s_add_i32 s0, s0, -1
	s_cmp_lg_u32 s0, 0
	s_waitcnt vmcnt(0)
	v_div_scale_f32 v4, s[2:3], v0, v0, v1
	v_rcp_f32_e32 v5, v4
	v_div_scale_f32 v6, vcc, v1, v0, v1
	v_fma_f32 v7, -v4, v5, 1.0
	v_fmac_f32_e32 v5, v7, v5
	v_mul_f32_e32 v7, v6, v5
	v_fma_f32 v8, -v4, v7, v6
	v_fmac_f32_e32 v7, v8, v5
	v_fma_f32 v4, -v4, v7, v6
	v_div_fmas_f32 v4, v4, v5, v7
	v_div_fixup_f32 v1, v4, v0, v1
	global_store_dword v[2:3], v1, off
	v_add_co_u32_e32 v2, vcc, 4, v2
	v_addc_co_u32_e32 v3, vcc, 0, v3, vcc
	s_cbranch_scc1 .LBB196_33
.LBB196_34:
	s_endpgm
	.section	.rodata,"a",@progbits
	.p2align	6, 0x0
	.amdhsa_kernel _ZN4vllm3moe10topkGatingILi4ELi16ELi4ELi16ELi64EifLNS0_11ScoringFuncE1EEEvPKT5_PKbPfiPT4_PiiiibPKf
		.amdhsa_group_segment_fixed_size 0
		.amdhsa_private_segment_fixed_size 0
		.amdhsa_kernarg_size 72
		.amdhsa_user_sgpr_count 6
		.amdhsa_user_sgpr_private_segment_buffer 1
		.amdhsa_user_sgpr_dispatch_ptr 0
		.amdhsa_user_sgpr_queue_ptr 0
		.amdhsa_user_sgpr_kernarg_segment_ptr 1
		.amdhsa_user_sgpr_dispatch_id 0
		.amdhsa_user_sgpr_flat_scratch_init 0
		.amdhsa_user_sgpr_kernarg_preload_length 0
		.amdhsa_user_sgpr_kernarg_preload_offset 0
		.amdhsa_user_sgpr_private_segment_size 0
		.amdhsa_uses_dynamic_stack 0
		.amdhsa_system_sgpr_private_segment_wavefront_offset 0
		.amdhsa_system_sgpr_workgroup_id_x 1
		.amdhsa_system_sgpr_workgroup_id_y 0
		.amdhsa_system_sgpr_workgroup_id_z 0
		.amdhsa_system_sgpr_workgroup_info 0
		.amdhsa_system_vgpr_workitem_id 1
		.amdhsa_next_free_vgpr 28
		.amdhsa_next_free_sgpr 26
		.amdhsa_accum_offset 28
		.amdhsa_reserve_vcc 1
		.amdhsa_reserve_flat_scratch 0
		.amdhsa_float_round_mode_32 0
		.amdhsa_float_round_mode_16_64 0
		.amdhsa_float_denorm_mode_32 3
		.amdhsa_float_denorm_mode_16_64 3
		.amdhsa_dx10_clamp 1
		.amdhsa_ieee_mode 1
		.amdhsa_fp16_overflow 0
		.amdhsa_tg_split 0
		.amdhsa_exception_fp_ieee_invalid_op 0
		.amdhsa_exception_fp_denorm_src 0
		.amdhsa_exception_fp_ieee_div_zero 0
		.amdhsa_exception_fp_ieee_overflow 0
		.amdhsa_exception_fp_ieee_underflow 0
		.amdhsa_exception_fp_ieee_inexact 0
		.amdhsa_exception_int_div_zero 0
	.end_amdhsa_kernel
	.section	.text._ZN4vllm3moe10topkGatingILi4ELi16ELi4ELi16ELi64EifLNS0_11ScoringFuncE1EEEvPKT5_PKbPfiPT4_PiiiibPKf,"axG",@progbits,_ZN4vllm3moe10topkGatingILi4ELi16ELi4ELi16ELi64EifLNS0_11ScoringFuncE1EEEvPKT5_PKbPfiPT4_PiiiibPKf,comdat
.Lfunc_end196:
	.size	_ZN4vllm3moe10topkGatingILi4ELi16ELi4ELi16ELi64EifLNS0_11ScoringFuncE1EEEvPKT5_PKbPfiPT4_PiiiibPKf, .Lfunc_end196-_ZN4vllm3moe10topkGatingILi4ELi16ELi4ELi16ELi64EifLNS0_11ScoringFuncE1EEEvPKT5_PKbPfiPT4_PiiiibPKf
                                        ; -- End function
	.section	.AMDGPU.csdata,"",@progbits
; Kernel info:
; codeLenInByte = 2032
; NumSgprs: 30
; NumVgprs: 28
; NumAgprs: 0
; TotalNumVgprs: 28
; ScratchSize: 0
; MemoryBound: 0
; FloatMode: 240
; IeeeMode: 1
; LDSByteSize: 0 bytes/workgroup (compile time only)
; SGPRBlocks: 3
; VGPRBlocks: 3
; NumSGPRsForWavesPerEU: 30
; NumVGPRsForWavesPerEU: 28
; AccumOffset: 28
; Occupancy: 8
; WaveLimiterHint : 0
; COMPUTE_PGM_RSRC2:SCRATCH_EN: 0
; COMPUTE_PGM_RSRC2:USER_SGPR: 6
; COMPUTE_PGM_RSRC2:TRAP_HANDLER: 0
; COMPUTE_PGM_RSRC2:TGID_X_EN: 1
; COMPUTE_PGM_RSRC2:TGID_Y_EN: 0
; COMPUTE_PGM_RSRC2:TGID_Z_EN: 0
; COMPUTE_PGM_RSRC2:TIDIG_COMP_CNT: 1
; COMPUTE_PGM_RSRC3_GFX90A:ACCUM_OFFSET: 6
; COMPUTE_PGM_RSRC3_GFX90A:TG_SPLIT: 0
	.section	.text._ZN4vllm3moe10topkGatingILi4ELi16ELi4ELi16ELi32EifLNS0_11ScoringFuncE1EEEvPKT5_PKbPfiPT4_PiiiibPKf,"axG",@progbits,_ZN4vllm3moe10topkGatingILi4ELi16ELi4ELi16ELi32EifLNS0_11ScoringFuncE1EEEvPKT5_PKbPfiPT4_PiiiibPKf,comdat
	.protected	_ZN4vllm3moe10topkGatingILi4ELi16ELi4ELi16ELi32EifLNS0_11ScoringFuncE1EEEvPKT5_PKbPfiPT4_PiiiibPKf ; -- Begin function _ZN4vllm3moe10topkGatingILi4ELi16ELi4ELi16ELi32EifLNS0_11ScoringFuncE1EEEvPKT5_PKbPfiPT4_PiiiibPKf
	.globl	_ZN4vllm3moe10topkGatingILi4ELi16ELi4ELi16ELi32EifLNS0_11ScoringFuncE1EEEvPKT5_PKbPfiPT4_PiiiibPKf
	.p2align	8
	.type	_ZN4vllm3moe10topkGatingILi4ELi16ELi4ELi16ELi32EifLNS0_11ScoringFuncE1EEEvPKT5_PKbPfiPT4_PiiiibPKf,@function
_ZN4vllm3moe10topkGatingILi4ELi16ELi4ELi16ELi32EifLNS0_11ScoringFuncE1EEEvPKT5_PKbPfiPT4_PiiiibPKf: ; @_ZN4vllm3moe10topkGatingILi4ELi16ELi4ELi16ELi32EifLNS0_11ScoringFuncE1EEEvPKT5_PKbPfiPT4_PiiiibPKf
; %bb.0:
	s_load_dword s24, s[4:5], 0x18
	v_bfe_u32 v1, v0, 10, 10
	v_and_b32_e32 v0, 0x3ff, v0
	s_lshl_b32 s0, s6, 5
	v_lshlrev_b32_e32 v1, 3, v1
	v_lshrrev_b32_e32 v2, 2, v0
	v_add3_u32 v8, s0, v1, v2
	s_waitcnt lgkmcnt(0)
	v_cmp_gt_i32_e32 vcc, s24, v8
	s_and_saveexec_b64 s[0:1], vcc
	s_cbranch_execz .LBB197_34
; %bb.1:
	s_load_dwordx4 s[0:3], s[4:5], 0x0
	s_load_dwordx2 s[16:17], s[4:5], 0x10
	s_mov_b64 s[8:9], -1
	s_mov_b64 s[18:19], -1
	s_waitcnt lgkmcnt(0)
	s_cmp_eq_u64 s[2:3], 0
	s_cbranch_scc1 .LBB197_3
; %bb.2:
	v_ashrrev_i32_e32 v1, 31, v8
	v_mov_b32_e32 v3, s3
	v_add_co_u32_e32 v2, vcc, s2, v8
	v_addc_co_u32_e32 v3, vcc, v3, v1, vcc
	global_load_ubyte v1, v[2:3], off
	s_waitcnt vmcnt(0)
	v_and_b32_e32 v1, 1, v1
	v_cmp_eq_u32_e32 vcc, 1, v1
	s_xor_b64 s[2:3], vcc, -1
	s_orn2_b64 s[18:19], s[2:3], exec
.LBB197_3:
	v_lshlrev_b32_e32 v2, 4, v8
	v_ashrrev_i32_e32 v3, 31, v2
	v_lshlrev_b64 v[2:3], 2, v[2:3]
	v_mov_b32_e32 v1, s1
	v_add_co_u32_e32 v2, vcc, s0, v2
	v_and_b32_e32 v9, 3, v0
	v_addc_co_u32_e32 v1, vcc, v1, v3, vcc
	v_lshlrev_b32_e32 v0, 4, v9
	v_add_co_u32_e32 v0, vcc, v2, v0
	v_addc_co_u32_e32 v1, vcc, 0, v1, vcc
	global_load_dwordx4 v[0:3], v[0:1], off
	v_mov_b32_e32 v4, 0x207
	s_load_dwordx2 s[10:11], s[4:5], 0x40
	v_lshlrev_b32_e32 v10, 2, v9
	s_waitcnt lgkmcnt(0)
	s_cmp_eq_u64 s[10:11], 0
	s_waitcnt vmcnt(0)
	v_mul_f32_e32 v0, 0xbfb8aa3b, v0
	v_mul_f32_e32 v1, 0xbfb8aa3b, v1
	v_exp_f32_e32 v0, v0
	v_exp_f32_e32 v1, v1
	v_mul_f32_e32 v2, 0xbfb8aa3b, v2
	v_mul_f32_e32 v3, 0xbfb8aa3b, v3
	v_exp_f32_e32 v2, v2
	v_exp_f32_e32 v3, v3
	v_pk_add_f32 v[0:1], v[0:1], 1.0 op_sel_hi:[1,0]
	v_div_scale_f32 v5, s[0:1], v1, v1, 1.0
	v_rcp_f32_e32 v16, v5
	v_div_scale_f32 v7, s[0:1], v0, v0, 1.0
	v_pk_add_f32 v[2:3], v[2:3], 1.0 op_sel_hi:[1,0]
	v_rcp_f32_e32 v17, v7
	v_div_scale_f32 v12, s[2:3], v3, v3, 1.0
	v_rcp_f32_e32 v18, v12
	v_fma_f32 v20, -v5, v16, 1.0
	v_div_scale_f32 v6, vcc, 1.0, v1, 1.0
	v_div_scale_f32 v14, s[6:7], v2, v2, 1.0
	v_fmac_f32_e32 v16, v20, v16
	v_rcp_f32_e32 v19, v14
	v_fma_f32 v21, -v7, v17, 1.0
	v_mul_f32_e32 v20, v6, v16
	v_div_scale_f32 v11, s[0:1], 1.0, v0, 1.0
	v_fmac_f32_e32 v17, v21, v17
	v_fma_f32 v24, -v5, v20, v6
	v_fma_f32 v22, -v12, v18, 1.0
	v_mul_f32_e32 v21, v11, v17
	v_fmac_f32_e32 v20, v24, v16
	v_div_scale_f32 v13, s[2:3], 1.0, v3, 1.0
	v_fmac_f32_e32 v18, v22, v18
	v_fma_f32 v25, -v7, v21, v11
	v_fma_f32 v5, -v5, v20, v6
	v_fma_f32 v23, -v14, v19, 1.0
	v_mul_f32_e32 v22, v13, v18
	v_fmac_f32_e32 v21, v25, v17
	v_div_fmas_f32 v5, v5, v16, v20
	v_div_scale_f32 v15, s[6:7], 1.0, v2, 1.0
	v_fmac_f32_e32 v19, v23, v19
	v_fma_f32 v26, -v12, v22, v13
	v_fma_f32 v6, -v7, v21, v11
	v_div_fixup_f32 v1, v5, v1, 1.0
	s_mov_b64 vcc, s[0:1]
	v_mul_f32_e32 v23, v15, v19
	v_fmac_f32_e32 v22, v26, v18
	v_div_fmas_f32 v5, v6, v17, v21
	v_cmp_class_f32_e32 vcc, v1, v4
	v_fma_f32 v27, -v14, v23, v15
	v_fma_f32 v7, -v12, v22, v13
	v_div_fixup_f32 v0, v5, v0, 1.0
	v_cndmask_b32_e64 v1, v1, 0, vcc
	s_mov_b64 vcc, s[2:3]
	v_fmac_f32_e32 v23, v27, v19
	v_div_fmas_f32 v5, v7, v18, v22
	v_cmp_class_f32_e32 vcc, v0, v4
	v_fma_f32 v11, -v14, v23, v15
	v_cndmask_b32_e64 v0, v0, 0, vcc
	s_mov_b64 vcc, s[6:7]
	v_div_fixup_f32 v3, v5, v3, 1.0
	v_div_fmas_f32 v5, v11, v19, v23
	v_div_fixup_f32 v2, v5, v2, 1.0
	v_cmp_class_f32_e32 vcc, v3, v4
	v_cndmask_b32_e64 v3, v3, 0, vcc
	v_cmp_class_f32_e32 vcc, v2, v4
	v_cndmask_b32_e64 v2, v2, 0, vcc
	s_cbranch_scc1 .LBB197_23
; %bb.4:
	v_lshlrev_b32_e32 v4, 2, v10
	global_load_dwordx4 v[4:7], v4, s[10:11]
	s_waitcnt vmcnt(0)
	v_pk_add_f32 v[4:5], v[4:5], v[0:1]
	v_pk_add_f32 v[6:7], v[6:7], v[2:3]
	s_cbranch_execnz .LBB197_6
.LBB197_5:
	v_pk_mov_b32 v[6:7], v[2:3], v[2:3] op_sel:[0,1]
	v_pk_mov_b32 v[4:5], v[0:1], v[0:1] op_sel:[0,1]
.LBB197_6:
	s_load_dwordx4 s[8:11], s[4:5], 0x30
	s_mov_b32 s25, 0
	v_cmp_eq_u32_e64 s[0:1], 0, v9
	s_waitcnt lgkmcnt(0)
	s_bitcmp1_b32 s11, 0
	s_cselect_b64 vcc, -1, 0
	s_cmp_gt_i32 s8, 0
	s_cselect_b64 s[6:7], -1, 0
	s_cmp_lt_i32 s8, 1
	s_cbranch_scc1 .LBB197_24
; %bb.7:
	v_mbcnt_lo_u32_b32 v11, -1, 0
	v_mbcnt_hi_u32_b32 v11, -1, v11
	v_and_b32_e32 v12, 0x7c, v11
	s_load_dwordx4 s[12:15], s[4:5], 0x20
	v_add_u32_e32 v14, 4, v12
	v_xor_b32_e32 v13, 2, v11
	v_cmp_lt_i32_e64 s[2:3], v13, v14
	v_xor_b32_e32 v15, 1, v11
	v_cndmask_b32_e64 v13, v11, v13, s[2:3]
	v_cmp_lt_i32_e64 s[2:3], v15, v14
	v_cndmask_b32_e64 v11, v11, v15, s[2:3]
	v_mul_lo_u32 v12, v8, s8
	v_lshlrev_b32_e32 v13, 2, v13
	v_lshlrev_b32_e32 v14, 2, v11
	v_mov_b32_e32 v11, 0
	v_mov_b32_e32 v15, 0xc61c4000
	v_mov_b32_e32 v16, v8
	s_branch .LBB197_10
.LBB197_8:                              ;   in Loop: Header=BB197_10 Depth=1
	s_or_b64 exec, exec, s[4:5]
.LBB197_9:                              ;   in Loop: Header=BB197_10 Depth=1
	s_cmp_eq_u32 s8, s25
	v_add_u32_e32 v16, s24, v16
	s_cbranch_scc1 .LBB197_25
.LBB197_10:                             ; =>This Inner Loop Header: Depth=1
	v_cmp_gt_f32_e64 s[2:3], v5, v4
	v_cndmask_b32_e64 v19, v4, v5, s[2:3]
	v_cndmask_b32_e64 v17, 0, 1, s[2:3]
	;; [unrolled: 1-line block ×3, first 2 shown]
	v_cmp_gt_f32_e64 s[2:3], v6, v19
	v_cndmask_b32_e64 v19, v19, v6, s[2:3]
	v_cndmask_b32_e64 v17, v17, 2, s[2:3]
	;; [unrolled: 1-line block ×3, first 2 shown]
	v_cmp_gt_f32_e64 s[2:3], v7, v19
	v_cndmask_b32_e64 v17, v17, 3, s[2:3]
	v_cndmask_b32_e64 v19, v19, v7, s[2:3]
	v_or_b32_e32 v17, v10, v17
	v_cndmask_b32_e64 v18, v18, v3, s[2:3]
	s_waitcnt lgkmcnt(0)
	ds_bpermute_b32 v20, v13, v19
	ds_bpermute_b32 v22, v13, v18
	;; [unrolled: 1-line block ×3, first 2 shown]
	s_waitcnt lgkmcnt(0)
	v_cmp_lt_f32_e64 s[20:21], v19, v20
	v_cmp_nlt_f32_e64 s[2:3], v19, v20
	s_and_saveexec_b64 s[22:23], s[2:3]
; %bb.11:                               ;   in Loop: Header=BB197_10 Depth=1
	v_cmp_eq_f32_e64 s[2:3], v19, v20
	v_cmp_lt_i32_e64 s[4:5], v21, v17
	s_and_b64 s[2:3], s[2:3], s[4:5]
	s_andn2_b64 s[4:5], s[20:21], exec
	s_and_b64 s[2:3], s[2:3], exec
	s_or_b64 s[20:21], s[4:5], s[2:3]
; %bb.12:                               ;   in Loop: Header=BB197_10 Depth=1
	s_or_b64 exec, exec, s[22:23]
	s_and_saveexec_b64 s[2:3], s[20:21]
; %bb.13:                               ;   in Loop: Header=BB197_10 Depth=1
	v_mov_b32_e32 v18, v22
	v_mov_b32_e32 v19, v20
	;; [unrolled: 1-line block ×3, first 2 shown]
; %bb.14:                               ;   in Loop: Header=BB197_10 Depth=1
	s_or_b64 exec, exec, s[2:3]
	ds_bpermute_b32 v22, v14, v19
	ds_bpermute_b32 v20, v14, v18
	;; [unrolled: 1-line block ×3, first 2 shown]
	s_waitcnt lgkmcnt(2)
	v_cmp_lt_f32_e64 s[20:21], v19, v22
	v_cmp_nlt_f32_e64 s[2:3], v19, v22
	s_and_saveexec_b64 s[22:23], s[2:3]
	s_cbranch_execnz .LBB197_18
; %bb.15:                               ;   in Loop: Header=BB197_10 Depth=1
	s_or_b64 exec, exec, s[22:23]
	s_and_saveexec_b64 s[2:3], s[20:21]
	s_cbranch_execnz .LBB197_19
.LBB197_16:                             ;   in Loop: Header=BB197_10 Depth=1
	s_or_b64 exec, exec, s[2:3]
	s_and_saveexec_b64 s[20:21], s[0:1]
	s_cbranch_execnz .LBB197_20
.LBB197_17:                             ;   in Loop: Header=BB197_10 Depth=1
	s_or_b64 exec, exec, s[20:21]
	s_add_i32 s25, s25, 1
	s_cmp_ge_i32 s25, s8
	s_cbranch_scc1 .LBB197_9
	s_branch .LBB197_21
.LBB197_18:                             ;   in Loop: Header=BB197_10 Depth=1
	v_cmp_eq_f32_e64 s[2:3], v19, v22
	s_waitcnt lgkmcnt(0)
	v_cmp_lt_i32_e64 s[4:5], v21, v17
	s_and_b64 s[2:3], s[2:3], s[4:5]
	s_andn2_b64 s[4:5], s[20:21], exec
	s_and_b64 s[2:3], s[2:3], exec
	s_or_b64 s[20:21], s[4:5], s[2:3]
	s_or_b64 exec, exec, s[22:23]
	s_and_saveexec_b64 s[2:3], s[20:21]
	s_cbranch_execz .LBB197_16
.LBB197_19:                             ;   in Loop: Header=BB197_10 Depth=1
	s_waitcnt lgkmcnt(0)
	v_mov_b32_e32 v17, v21
	v_mov_b32_e32 v18, v20
	s_or_b64 exec, exec, s[2:3]
	s_and_saveexec_b64 s[20:21], s[0:1]
	s_cbranch_execz .LBB197_17
.LBB197_20:                             ;   in Loop: Header=BB197_10 Depth=1
	s_waitcnt lgkmcnt(1)
	v_add_u32_e32 v20, s25, v12
	s_waitcnt lgkmcnt(0)
	v_ashrrev_i32_e32 v21, 31, v20
	v_cmp_le_i32_e64 s[2:3], s9, v17
	v_cmp_gt_i32_e64 s[4:5], s10, v17
	v_lshlrev_b64 v[20:21], 2, v[20:21]
	s_and_b64 s[4:5], s[2:3], s[4:5]
	v_mov_b32_e32 v19, s17
	v_add_co_u32_e64 v22, s[2:3], s16, v20
	v_addc_co_u32_e64 v23, s[2:3], v19, v21, s[2:3]
	v_subrev_u32_e32 v19, s9, v17
	s_and_b64 s[2:3], s[18:19], s[4:5]
	global_store_dword v[22:23], v18, off
	v_cndmask_b32_e64 v19, 16, v19, s[2:3]
	v_mov_b32_e32 v23, s13
	v_add_co_u32_e64 v22, s[2:3], s12, v20
	v_addc_co_u32_e64 v23, s[2:3], v23, v21, s[2:3]
	global_store_dword v[22:23], v19, off
	v_mov_b32_e32 v19, s15
	v_add_co_u32_e64 v20, s[2:3], s14, v20
	v_add_f32_e32 v18, v11, v18
	v_addc_co_u32_e64 v21, s[2:3], v19, v21, s[2:3]
	v_cndmask_b32_e32 v11, v11, v18, vcc
	global_store_dword v[20:21], v16, off
	s_or_b64 exec, exec, s[20:21]
	s_add_i32 s25, s25, 1
	s_cmp_ge_i32 s25, s8
	s_cbranch_scc1 .LBB197_9
.LBB197_21:                             ;   in Loop: Header=BB197_10 Depth=1
	v_ashrrev_i32_e32 v19, 31, v17
	v_lshrrev_b32_e32 v18, 30, v19
	v_add_u32_e32 v18, v17, v18
	v_ashrrev_i32_e32 v18, 2, v18
	s_waitcnt lgkmcnt(1)
	v_lshrrev_b32_e32 v20, 30, v18
	v_add_u32_e32 v20, v18, v20
	v_and_b32_e32 v20, -4, v20
	v_sub_u32_e32 v20, v18, v20
	v_cmp_eq_u32_e64 s[2:3], v9, v20
	s_and_saveexec_b64 s[4:5], s[2:3]
	s_cbranch_execz .LBB197_8
; %bb.22:                               ;   in Loop: Header=BB197_10 Depth=1
	v_lshrrev_b32_e32 v19, 28, v19
	v_add_u32_e32 v19, v17, v19
	v_lshlrev_b32_e32 v18, 2, v18
	v_ashrrev_i32_e32 v19, 4, v19
	v_sub_u32_e32 v17, v17, v18
	v_lshl_add_u32 v17, v19, 2, v17
	v_cmp_ne_u32_e64 s[2:3], 3, v17
	v_cndmask_b32_e64 v7, v15, v7, s[2:3]
	v_cmp_ne_u32_e64 s[2:3], 2, v17
	v_cndmask_b32_e64 v6, v15, v6, s[2:3]
	;; [unrolled: 2-line block ×4, first 2 shown]
	s_branch .LBB197_8
.LBB197_23:
                                        ; implicit-def: $vgpr4_vgpr5_vgpr6_vgpr7
	s_andn2_b64 vcc, exec, s[8:9]
	s_cbranch_vccz .LBB197_5
	s_branch .LBB197_6
.LBB197_24:
	v_mov_b32_e32 v11, 0
.LBB197_25:
	v_cmp_eq_u32_e64 s[0:1], 0, v9
	s_and_b64 s[0:1], s[0:1], vcc
	s_and_b64 exec, exec, s[0:1]
	s_cbranch_execz .LBB197_34
; %bb.26:
	s_andn2_b64 vcc, exec, s[6:7]
	s_cbranch_vccnz .LBB197_34
; %bb.27:
	v_cmp_lt_f32_e32 vcc, 0, v11
	s_mov_b32 s2, 0
	v_cndmask_b32_e32 v0, 1.0, v11, vcc
	v_mul_lo_u32 v4, v8, s8
	s_cmp_eq_u32 s8, 1
	s_mov_b64 s[0:1], -1
	s_cbranch_scc1 .LBB197_31
; %bb.28:
	s_and_b32 s2, s8, 0x7ffffffe
	v_mov_b32_e32 v1, v0
	v_mov_b32_e32 v5, s17
	s_mov_b32 s3, s2
	v_mov_b32_e32 v2, v4
.LBB197_29:                             ; =>This Inner Loop Header: Depth=1
	v_ashrrev_i32_e32 v3, 31, v2
	v_lshlrev_b64 v[6:7], 2, v[2:3]
	v_add_co_u32_e32 v6, vcc, s16, v6
	v_addc_co_u32_e32 v7, vcc, v5, v7, vcc
	global_load_dwordx2 v[8:9], v[6:7], off
	s_add_i32 s3, s3, -2
	s_cmp_lg_u32 s3, 0
	v_add_u32_e32 v2, 2, v2
	s_waitcnt vmcnt(0)
	v_div_scale_f32 v3, s[0:1], v1, v1, v9
	v_div_scale_f32 v11, s[0:1], v0, v0, v8
	v_rcp_f32_e32 v12, v3
	v_rcp_f32_e32 v13, v11
	v_div_scale_f32 v10, vcc, v9, v1, v9
	v_fma_f32 v15, -v3, v12, 1.0
	v_fma_f32 v16, -v11, v13, 1.0
	v_fmac_f32_e32 v12, v15, v12
	v_div_scale_f32 v14, s[0:1], v8, v0, v8
	v_fmac_f32_e32 v13, v16, v13
	v_mul_f32_e32 v15, v10, v12
	v_mul_f32_e32 v16, v14, v13
	v_fma_f32 v17, -v3, v15, v10
	v_fma_f32 v18, -v11, v16, v14
	v_fmac_f32_e32 v15, v17, v12
	v_fmac_f32_e32 v16, v18, v13
	v_fma_f32 v3, -v3, v15, v10
	v_fma_f32 v10, -v11, v16, v14
	v_div_fmas_f32 v3, v3, v12, v15
	s_mov_b64 vcc, s[0:1]
	v_div_fixup_f32 v9, v3, v1, v9
	v_div_fmas_f32 v3, v10, v13, v16
	v_div_fixup_f32 v8, v3, v0, v8
	global_store_dwordx2 v[6:7], v[8:9], off
	s_cbranch_scc1 .LBB197_29
; %bb.30:
	s_cmp_lg_u32 s2, s8
	s_cselect_b64 s[0:1], -1, 0
.LBB197_31:
	s_and_b64 vcc, exec, s[0:1]
	s_cbranch_vccz .LBB197_34
; %bb.32:
	v_ashrrev_i32_e32 v1, 31, v4
	v_add_co_u32_e32 v2, vcc, s2, v4
	v_addc_co_u32_e32 v3, vcc, 0, v1, vcc
	v_lshlrev_b64 v[2:3], 2, v[2:3]
	v_mov_b32_e32 v1, s17
	v_add_co_u32_e32 v2, vcc, s16, v2
	s_sub_i32 s0, s8, s2
	v_addc_co_u32_e32 v3, vcc, v1, v3, vcc
.LBB197_33:                             ; =>This Inner Loop Header: Depth=1
	global_load_dword v1, v[2:3], off
	s_add_i32 s0, s0, -1
	s_cmp_lg_u32 s0, 0
	s_waitcnt vmcnt(0)
	v_div_scale_f32 v4, s[2:3], v0, v0, v1
	v_rcp_f32_e32 v5, v4
	v_div_scale_f32 v6, vcc, v1, v0, v1
	v_fma_f32 v7, -v4, v5, 1.0
	v_fmac_f32_e32 v5, v7, v5
	v_mul_f32_e32 v7, v6, v5
	v_fma_f32 v8, -v4, v7, v6
	v_fmac_f32_e32 v7, v8, v5
	v_fma_f32 v4, -v4, v7, v6
	v_div_fmas_f32 v4, v4, v5, v7
	v_div_fixup_f32 v1, v4, v0, v1
	global_store_dword v[2:3], v1, off
	v_add_co_u32_e32 v2, vcc, 4, v2
	v_addc_co_u32_e32 v3, vcc, 0, v3, vcc
	s_cbranch_scc1 .LBB197_33
.LBB197_34:
	s_endpgm
	.section	.rodata,"a",@progbits
	.p2align	6, 0x0
	.amdhsa_kernel _ZN4vllm3moe10topkGatingILi4ELi16ELi4ELi16ELi32EifLNS0_11ScoringFuncE1EEEvPKT5_PKbPfiPT4_PiiiibPKf
		.amdhsa_group_segment_fixed_size 0
		.amdhsa_private_segment_fixed_size 0
		.amdhsa_kernarg_size 72
		.amdhsa_user_sgpr_count 6
		.amdhsa_user_sgpr_private_segment_buffer 1
		.amdhsa_user_sgpr_dispatch_ptr 0
		.amdhsa_user_sgpr_queue_ptr 0
		.amdhsa_user_sgpr_kernarg_segment_ptr 1
		.amdhsa_user_sgpr_dispatch_id 0
		.amdhsa_user_sgpr_flat_scratch_init 0
		.amdhsa_user_sgpr_kernarg_preload_length 0
		.amdhsa_user_sgpr_kernarg_preload_offset 0
		.amdhsa_user_sgpr_private_segment_size 0
		.amdhsa_uses_dynamic_stack 0
		.amdhsa_system_sgpr_private_segment_wavefront_offset 0
		.amdhsa_system_sgpr_workgroup_id_x 1
		.amdhsa_system_sgpr_workgroup_id_y 0
		.amdhsa_system_sgpr_workgroup_id_z 0
		.amdhsa_system_sgpr_workgroup_info 0
		.amdhsa_system_vgpr_workitem_id 1
		.amdhsa_next_free_vgpr 28
		.amdhsa_next_free_sgpr 26
		.amdhsa_accum_offset 28
		.amdhsa_reserve_vcc 1
		.amdhsa_reserve_flat_scratch 0
		.amdhsa_float_round_mode_32 0
		.amdhsa_float_round_mode_16_64 0
		.amdhsa_float_denorm_mode_32 3
		.amdhsa_float_denorm_mode_16_64 3
		.amdhsa_dx10_clamp 1
		.amdhsa_ieee_mode 1
		.amdhsa_fp16_overflow 0
		.amdhsa_tg_split 0
		.amdhsa_exception_fp_ieee_invalid_op 0
		.amdhsa_exception_fp_denorm_src 0
		.amdhsa_exception_fp_ieee_div_zero 0
		.amdhsa_exception_fp_ieee_overflow 0
		.amdhsa_exception_fp_ieee_underflow 0
		.amdhsa_exception_fp_ieee_inexact 0
		.amdhsa_exception_int_div_zero 0
	.end_amdhsa_kernel
	.section	.text._ZN4vllm3moe10topkGatingILi4ELi16ELi4ELi16ELi32EifLNS0_11ScoringFuncE1EEEvPKT5_PKbPfiPT4_PiiiibPKf,"axG",@progbits,_ZN4vllm3moe10topkGatingILi4ELi16ELi4ELi16ELi32EifLNS0_11ScoringFuncE1EEEvPKT5_PKbPfiPT4_PiiiibPKf,comdat
.Lfunc_end197:
	.size	_ZN4vllm3moe10topkGatingILi4ELi16ELi4ELi16ELi32EifLNS0_11ScoringFuncE1EEEvPKT5_PKbPfiPT4_PiiiibPKf, .Lfunc_end197-_ZN4vllm3moe10topkGatingILi4ELi16ELi4ELi16ELi32EifLNS0_11ScoringFuncE1EEEvPKT5_PKbPfiPT4_PiiiibPKf
                                        ; -- End function
	.section	.AMDGPU.csdata,"",@progbits
; Kernel info:
; codeLenInByte = 2032
; NumSgprs: 30
; NumVgprs: 28
; NumAgprs: 0
; TotalNumVgprs: 28
; ScratchSize: 0
; MemoryBound: 0
; FloatMode: 240
; IeeeMode: 1
; LDSByteSize: 0 bytes/workgroup (compile time only)
; SGPRBlocks: 3
; VGPRBlocks: 3
; NumSGPRsForWavesPerEU: 30
; NumVGPRsForWavesPerEU: 28
; AccumOffset: 28
; Occupancy: 8
; WaveLimiterHint : 0
; COMPUTE_PGM_RSRC2:SCRATCH_EN: 0
; COMPUTE_PGM_RSRC2:USER_SGPR: 6
; COMPUTE_PGM_RSRC2:TRAP_HANDLER: 0
; COMPUTE_PGM_RSRC2:TGID_X_EN: 1
; COMPUTE_PGM_RSRC2:TGID_Y_EN: 0
; COMPUTE_PGM_RSRC2:TGID_Z_EN: 0
; COMPUTE_PGM_RSRC2:TIDIG_COMP_CNT: 1
; COMPUTE_PGM_RSRC3_GFX90A:ACCUM_OFFSET: 6
; COMPUTE_PGM_RSRC3_GFX90A:TG_SPLIT: 0
	.section	.text._ZN4vllm3moe10topkGatingILi4ELi32ELi4ELi16ELi64EifLNS0_11ScoringFuncE1EEEvPKT5_PKbPfiPT4_PiiiibPKf,"axG",@progbits,_ZN4vllm3moe10topkGatingILi4ELi32ELi4ELi16ELi64EifLNS0_11ScoringFuncE1EEEvPKT5_PKbPfiPT4_PiiiibPKf,comdat
	.protected	_ZN4vllm3moe10topkGatingILi4ELi32ELi4ELi16ELi64EifLNS0_11ScoringFuncE1EEEvPKT5_PKbPfiPT4_PiiiibPKf ; -- Begin function _ZN4vllm3moe10topkGatingILi4ELi32ELi4ELi16ELi64EifLNS0_11ScoringFuncE1EEEvPKT5_PKbPfiPT4_PiiiibPKf
	.globl	_ZN4vllm3moe10topkGatingILi4ELi32ELi4ELi16ELi64EifLNS0_11ScoringFuncE1EEEvPKT5_PKbPfiPT4_PiiiibPKf
	.p2align	8
	.type	_ZN4vllm3moe10topkGatingILi4ELi32ELi4ELi16ELi64EifLNS0_11ScoringFuncE1EEEvPKT5_PKbPfiPT4_PiiiibPKf,@function
_ZN4vllm3moe10topkGatingILi4ELi32ELi4ELi16ELi64EifLNS0_11ScoringFuncE1EEEvPKT5_PKbPfiPT4_PiiiibPKf: ; @_ZN4vllm3moe10topkGatingILi4ELi32ELi4ELi16ELi64EifLNS0_11ScoringFuncE1EEEvPKT5_PKbPfiPT4_PiiiibPKf
; %bb.0:
	s_load_dword s24, s[4:5], 0x18
	v_bfe_u32 v1, v0, 10, 10
	v_and_b32_e32 v0, 0x3ff, v0
	s_lshl_b32 s0, s6, 5
	v_lshlrev_b32_e32 v1, 3, v1
	v_lshrrev_b32_e32 v2, 3, v0
	v_add3_u32 v8, s0, v1, v2
	s_waitcnt lgkmcnt(0)
	v_cmp_gt_i32_e32 vcc, s24, v8
	s_and_saveexec_b64 s[0:1], vcc
	s_cbranch_execz .LBB198_38
; %bb.1:
	s_load_dwordx4 s[0:3], s[4:5], 0x0
	s_load_dwordx2 s[16:17], s[4:5], 0x10
	s_mov_b64 s[8:9], -1
	s_mov_b64 s[18:19], -1
	s_waitcnt lgkmcnt(0)
	s_cmp_eq_u64 s[2:3], 0
	s_cbranch_scc1 .LBB198_3
; %bb.2:
	v_ashrrev_i32_e32 v1, 31, v8
	v_mov_b32_e32 v3, s3
	v_add_co_u32_e32 v2, vcc, s2, v8
	v_addc_co_u32_e32 v3, vcc, v3, v1, vcc
	global_load_ubyte v1, v[2:3], off
	s_waitcnt vmcnt(0)
	v_and_b32_e32 v1, 1, v1
	v_cmp_eq_u32_e32 vcc, 1, v1
	s_xor_b64 s[2:3], vcc, -1
	s_orn2_b64 s[18:19], s[2:3], exec
.LBB198_3:
	v_lshlrev_b32_e32 v2, 5, v8
	v_ashrrev_i32_e32 v3, 31, v2
	v_lshlrev_b64 v[2:3], 2, v[2:3]
	v_mov_b32_e32 v1, s1
	v_add_co_u32_e32 v2, vcc, s0, v2
	v_and_b32_e32 v9, 7, v0
	v_addc_co_u32_e32 v1, vcc, v1, v3, vcc
	v_lshlrev_b32_e32 v0, 4, v9
	v_add_co_u32_e32 v0, vcc, v2, v0
	v_addc_co_u32_e32 v1, vcc, 0, v1, vcc
	global_load_dwordx4 v[0:3], v[0:1], off
	v_mov_b32_e32 v4, 0x207
	s_load_dwordx2 s[10:11], s[4:5], 0x40
	v_lshlrev_b32_e32 v10, 2, v9
	s_waitcnt lgkmcnt(0)
	s_cmp_eq_u64 s[10:11], 0
	s_waitcnt vmcnt(0)
	v_mul_f32_e32 v0, 0xbfb8aa3b, v0
	v_mul_f32_e32 v1, 0xbfb8aa3b, v1
	v_exp_f32_e32 v0, v0
	v_exp_f32_e32 v1, v1
	v_mul_f32_e32 v2, 0xbfb8aa3b, v2
	v_mul_f32_e32 v3, 0xbfb8aa3b, v3
	v_exp_f32_e32 v2, v2
	v_exp_f32_e32 v3, v3
	v_pk_add_f32 v[0:1], v[0:1], 1.0 op_sel_hi:[1,0]
	v_div_scale_f32 v5, s[0:1], v1, v1, 1.0
	v_rcp_f32_e32 v16, v5
	v_div_scale_f32 v7, s[0:1], v0, v0, 1.0
	v_pk_add_f32 v[2:3], v[2:3], 1.0 op_sel_hi:[1,0]
	v_rcp_f32_e32 v17, v7
	v_div_scale_f32 v12, s[2:3], v3, v3, 1.0
	v_rcp_f32_e32 v18, v12
	v_fma_f32 v20, -v5, v16, 1.0
	v_div_scale_f32 v6, vcc, 1.0, v1, 1.0
	v_div_scale_f32 v14, s[6:7], v2, v2, 1.0
	v_fmac_f32_e32 v16, v20, v16
	v_rcp_f32_e32 v19, v14
	v_fma_f32 v21, -v7, v17, 1.0
	v_mul_f32_e32 v20, v6, v16
	v_div_scale_f32 v11, s[0:1], 1.0, v0, 1.0
	v_fmac_f32_e32 v17, v21, v17
	v_fma_f32 v24, -v5, v20, v6
	v_fma_f32 v22, -v12, v18, 1.0
	v_mul_f32_e32 v21, v11, v17
	v_fmac_f32_e32 v20, v24, v16
	v_div_scale_f32 v13, s[2:3], 1.0, v3, 1.0
	v_fmac_f32_e32 v18, v22, v18
	v_fma_f32 v25, -v7, v21, v11
	v_fma_f32 v5, -v5, v20, v6
	v_fma_f32 v23, -v14, v19, 1.0
	v_mul_f32_e32 v22, v13, v18
	v_fmac_f32_e32 v21, v25, v17
	v_div_fmas_f32 v5, v5, v16, v20
	v_div_scale_f32 v15, s[6:7], 1.0, v2, 1.0
	v_fmac_f32_e32 v19, v23, v19
	v_fma_f32 v26, -v12, v22, v13
	v_fma_f32 v6, -v7, v21, v11
	v_div_fixup_f32 v1, v5, v1, 1.0
	s_mov_b64 vcc, s[0:1]
	v_mul_f32_e32 v23, v15, v19
	v_fmac_f32_e32 v22, v26, v18
	v_div_fmas_f32 v5, v6, v17, v21
	v_cmp_class_f32_e32 vcc, v1, v4
	v_fma_f32 v27, -v14, v23, v15
	v_fma_f32 v7, -v12, v22, v13
	v_div_fixup_f32 v0, v5, v0, 1.0
	v_cndmask_b32_e64 v1, v1, 0, vcc
	s_mov_b64 vcc, s[2:3]
	v_fmac_f32_e32 v23, v27, v19
	v_div_fmas_f32 v5, v7, v18, v22
	v_cmp_class_f32_e32 vcc, v0, v4
	v_fma_f32 v11, -v14, v23, v15
	v_cndmask_b32_e64 v0, v0, 0, vcc
	s_mov_b64 vcc, s[6:7]
	v_div_fixup_f32 v3, v5, v3, 1.0
	v_div_fmas_f32 v5, v11, v19, v23
	v_div_fixup_f32 v2, v5, v2, 1.0
	v_cmp_class_f32_e32 vcc, v3, v4
	v_cndmask_b32_e64 v3, v3, 0, vcc
	v_cmp_class_f32_e32 vcc, v2, v4
	v_cndmask_b32_e64 v2, v2, 0, vcc
	s_cbranch_scc1 .LBB198_27
; %bb.4:
	v_lshlrev_b32_e32 v4, 2, v10
	global_load_dwordx4 v[4:7], v4, s[10:11]
	s_waitcnt vmcnt(0)
	v_pk_add_f32 v[4:5], v[4:5], v[0:1]
	v_pk_add_f32 v[6:7], v[6:7], v[2:3]
	s_cbranch_execnz .LBB198_6
.LBB198_5:
	v_pk_mov_b32 v[6:7], v[2:3], v[2:3] op_sel:[0,1]
	v_pk_mov_b32 v[4:5], v[0:1], v[0:1] op_sel:[0,1]
.LBB198_6:
	s_load_dwordx4 s[8:11], s[4:5], 0x30
	s_mov_b32 s25, 0
	v_cmp_eq_u32_e64 s[0:1], 0, v9
	s_waitcnt lgkmcnt(0)
	s_bitcmp1_b32 s11, 0
	s_cselect_b64 vcc, -1, 0
	s_cmp_gt_i32 s8, 0
	s_cselect_b64 s[6:7], -1, 0
	s_cmp_lt_i32 s8, 1
	s_cbranch_scc1 .LBB198_28
; %bb.7:
	v_mbcnt_lo_u32_b32 v11, -1, 0
	v_mbcnt_hi_u32_b32 v11, -1, v11
	v_and_b32_e32 v12, 0x78, v11
	v_add_u32_e32 v15, 8, v12
	v_xor_b32_e32 v13, 4, v11
	s_load_dwordx4 s[12:15], s[4:5], 0x20
	v_cmp_lt_i32_e64 s[2:3], v13, v15
	v_xor_b32_e32 v14, 2, v11
	v_cndmask_b32_e64 v13, v11, v13, s[2:3]
	v_cmp_lt_i32_e64 s[2:3], v14, v15
	v_xor_b32_e32 v16, 1, v11
	v_cndmask_b32_e64 v14, v11, v14, s[2:3]
	v_cmp_lt_i32_e64 s[2:3], v16, v15
	v_cndmask_b32_e64 v11, v11, v16, s[2:3]
	v_mul_lo_u32 v12, v8, s8
	v_lshlrev_b32_e32 v13, 2, v13
	v_lshlrev_b32_e32 v14, 2, v14
	;; [unrolled: 1-line block ×3, first 2 shown]
	v_mov_b32_e32 v11, 0
	v_mov_b32_e32 v16, 0xc61c4000
	v_mov_b32_e32 v17, v8
	s_branch .LBB198_10
.LBB198_8:                              ;   in Loop: Header=BB198_10 Depth=1
	s_or_b64 exec, exec, s[4:5]
.LBB198_9:                              ;   in Loop: Header=BB198_10 Depth=1
	s_cmp_eq_u32 s8, s25
	v_add_u32_e32 v17, s24, v17
	s_cbranch_scc1 .LBB198_29
.LBB198_10:                             ; =>This Inner Loop Header: Depth=1
	v_cmp_gt_f32_e64 s[2:3], v5, v4
	v_cndmask_b32_e64 v20, v4, v5, s[2:3]
	v_cndmask_b32_e64 v18, 0, 1, s[2:3]
	;; [unrolled: 1-line block ×3, first 2 shown]
	v_cmp_gt_f32_e64 s[2:3], v6, v20
	v_cndmask_b32_e64 v20, v20, v6, s[2:3]
	v_cndmask_b32_e64 v18, v18, 2, s[2:3]
	;; [unrolled: 1-line block ×3, first 2 shown]
	v_cmp_gt_f32_e64 s[2:3], v7, v20
	v_cndmask_b32_e64 v18, v18, 3, s[2:3]
	v_cndmask_b32_e64 v20, v20, v7, s[2:3]
	v_or_b32_e32 v18, v10, v18
	v_cndmask_b32_e64 v19, v19, v3, s[2:3]
	s_waitcnt lgkmcnt(0)
	ds_bpermute_b32 v21, v13, v20
	ds_bpermute_b32 v23, v13, v19
	;; [unrolled: 1-line block ×3, first 2 shown]
	s_waitcnt lgkmcnt(0)
	v_cmp_lt_f32_e64 s[20:21], v20, v21
	v_cmp_nlt_f32_e64 s[2:3], v20, v21
	s_and_saveexec_b64 s[22:23], s[2:3]
; %bb.11:                               ;   in Loop: Header=BB198_10 Depth=1
	v_cmp_eq_f32_e64 s[2:3], v20, v21
	v_cmp_lt_i32_e64 s[4:5], v22, v18
	s_and_b64 s[2:3], s[2:3], s[4:5]
	s_andn2_b64 s[4:5], s[20:21], exec
	s_and_b64 s[2:3], s[2:3], exec
	s_or_b64 s[20:21], s[4:5], s[2:3]
; %bb.12:                               ;   in Loop: Header=BB198_10 Depth=1
	s_or_b64 exec, exec, s[22:23]
	s_and_saveexec_b64 s[2:3], s[20:21]
; %bb.13:                               ;   in Loop: Header=BB198_10 Depth=1
	v_mov_b32_e32 v19, v23
	v_mov_b32_e32 v20, v21
	;; [unrolled: 1-line block ×3, first 2 shown]
; %bb.14:                               ;   in Loop: Header=BB198_10 Depth=1
	s_or_b64 exec, exec, s[2:3]
	ds_bpermute_b32 v21, v14, v20
	ds_bpermute_b32 v23, v14, v19
	;; [unrolled: 1-line block ×3, first 2 shown]
	s_waitcnt lgkmcnt(2)
	v_cmp_lt_f32_e64 s[20:21], v20, v21
	v_cmp_nlt_f32_e64 s[2:3], v20, v21
	s_and_saveexec_b64 s[22:23], s[2:3]
	s_cbranch_execz .LBB198_16
; %bb.15:                               ;   in Loop: Header=BB198_10 Depth=1
	v_cmp_eq_f32_e64 s[2:3], v20, v21
	s_waitcnt lgkmcnt(0)
	v_cmp_lt_i32_e64 s[4:5], v22, v18
	s_and_b64 s[2:3], s[2:3], s[4:5]
	s_andn2_b64 s[4:5], s[20:21], exec
	s_and_b64 s[2:3], s[2:3], exec
	s_or_b64 s[20:21], s[4:5], s[2:3]
.LBB198_16:                             ;   in Loop: Header=BB198_10 Depth=1
	s_or_b64 exec, exec, s[22:23]
	s_and_saveexec_b64 s[2:3], s[20:21]
	s_cbranch_execz .LBB198_18
; %bb.17:                               ;   in Loop: Header=BB198_10 Depth=1
	s_waitcnt lgkmcnt(1)
	v_mov_b32_e32 v19, v23
	v_mov_b32_e32 v20, v21
	s_waitcnt lgkmcnt(0)
	v_mov_b32_e32 v18, v22
.LBB198_18:                             ;   in Loop: Header=BB198_10 Depth=1
	s_or_b64 exec, exec, s[2:3]
	s_waitcnt lgkmcnt(1)
	ds_bpermute_b32 v23, v15, v20
	ds_bpermute_b32 v21, v15, v19
	s_waitcnt lgkmcnt(2)
	ds_bpermute_b32 v22, v15, v18
	s_waitcnt lgkmcnt(2)
	v_cmp_lt_f32_e64 s[20:21], v20, v23
	v_cmp_nlt_f32_e64 s[2:3], v20, v23
	s_and_saveexec_b64 s[22:23], s[2:3]
	s_cbranch_execnz .LBB198_22
; %bb.19:                               ;   in Loop: Header=BB198_10 Depth=1
	s_or_b64 exec, exec, s[22:23]
	s_and_saveexec_b64 s[2:3], s[20:21]
	s_cbranch_execnz .LBB198_23
.LBB198_20:                             ;   in Loop: Header=BB198_10 Depth=1
	s_or_b64 exec, exec, s[2:3]
	s_and_saveexec_b64 s[20:21], s[0:1]
	s_cbranch_execnz .LBB198_24
.LBB198_21:                             ;   in Loop: Header=BB198_10 Depth=1
	s_or_b64 exec, exec, s[20:21]
	s_add_i32 s25, s25, 1
	s_cmp_ge_i32 s25, s8
	s_cbranch_scc1 .LBB198_9
	s_branch .LBB198_25
.LBB198_22:                             ;   in Loop: Header=BB198_10 Depth=1
	v_cmp_eq_f32_e64 s[2:3], v20, v23
	s_waitcnt lgkmcnt(0)
	v_cmp_lt_i32_e64 s[4:5], v22, v18
	s_and_b64 s[2:3], s[2:3], s[4:5]
	s_andn2_b64 s[4:5], s[20:21], exec
	s_and_b64 s[2:3], s[2:3], exec
	s_or_b64 s[20:21], s[4:5], s[2:3]
	s_or_b64 exec, exec, s[22:23]
	s_and_saveexec_b64 s[2:3], s[20:21]
	s_cbranch_execz .LBB198_20
.LBB198_23:                             ;   in Loop: Header=BB198_10 Depth=1
	s_waitcnt lgkmcnt(0)
	v_mov_b32_e32 v18, v22
	v_mov_b32_e32 v19, v21
	s_or_b64 exec, exec, s[2:3]
	s_and_saveexec_b64 s[20:21], s[0:1]
	s_cbranch_execz .LBB198_21
.LBB198_24:                             ;   in Loop: Header=BB198_10 Depth=1
	v_add_u32_e32 v20, s25, v12
	s_waitcnt lgkmcnt(1)
	v_ashrrev_i32_e32 v21, 31, v20
	v_cmp_le_i32_e64 s[2:3], s9, v18
	v_cmp_gt_i32_e64 s[4:5], s10, v18
	v_lshlrev_b64 v[20:21], 2, v[20:21]
	s_and_b64 s[4:5], s[2:3], s[4:5]
	v_mov_b32_e32 v23, s17
	s_waitcnt lgkmcnt(0)
	v_add_co_u32_e64 v22, s[2:3], s16, v20
	v_addc_co_u32_e64 v23, s[2:3], v23, v21, s[2:3]
	global_store_dword v[22:23], v19, off
	v_subrev_u32_e32 v22, s9, v18
	s_and_b64 s[2:3], s[18:19], s[4:5]
	v_cndmask_b32_e64 v24, 32, v22, s[2:3]
	v_mov_b32_e32 v23, s13
	v_add_co_u32_e64 v22, s[2:3], s12, v20
	v_addc_co_u32_e64 v23, s[2:3], v23, v21, s[2:3]
	global_store_dword v[22:23], v24, off
	v_mov_b32_e32 v22, s15
	v_add_co_u32_e64 v20, s[2:3], s14, v20
	v_add_f32_e32 v19, v11, v19
	v_addc_co_u32_e64 v21, s[2:3], v22, v21, s[2:3]
	v_cndmask_b32_e32 v11, v11, v19, vcc
	global_store_dword v[20:21], v17, off
	s_or_b64 exec, exec, s[20:21]
	s_add_i32 s25, s25, 1
	s_cmp_ge_i32 s25, s8
	s_cbranch_scc1 .LBB198_9
.LBB198_25:                             ;   in Loop: Header=BB198_10 Depth=1
	v_ashrrev_i32_e32 v20, 31, v18
	v_lshrrev_b32_e32 v19, 30, v20
	v_add_u32_e32 v19, v18, v19
	v_ashrrev_i32_e32 v19, 2, v19
	s_waitcnt lgkmcnt(1)
	v_lshrrev_b32_e32 v21, 29, v19
	v_add_u32_e32 v21, v19, v21
	v_and_b32_e32 v21, -8, v21
	v_sub_u32_e32 v21, v19, v21
	v_cmp_eq_u32_e64 s[2:3], v9, v21
	s_and_saveexec_b64 s[4:5], s[2:3]
	s_cbranch_execz .LBB198_8
; %bb.26:                               ;   in Loop: Header=BB198_10 Depth=1
	v_lshrrev_b32_e32 v20, 27, v20
	v_add_u32_e32 v20, v18, v20
	v_lshlrev_b32_e32 v19, 2, v19
	v_ashrrev_i32_e32 v20, 5, v20
	v_sub_u32_e32 v18, v18, v19
	v_lshl_add_u32 v18, v20, 2, v18
	v_cmp_ne_u32_e64 s[2:3], 3, v18
	v_cndmask_b32_e64 v7, v16, v7, s[2:3]
	v_cmp_ne_u32_e64 s[2:3], 2, v18
	v_cndmask_b32_e64 v6, v16, v6, s[2:3]
	;; [unrolled: 2-line block ×4, first 2 shown]
	s_branch .LBB198_8
.LBB198_27:
                                        ; implicit-def: $vgpr4_vgpr5_vgpr6_vgpr7
	s_andn2_b64 vcc, exec, s[8:9]
	s_cbranch_vccz .LBB198_5
	s_branch .LBB198_6
.LBB198_28:
	v_mov_b32_e32 v11, 0
.LBB198_29:
	v_cmp_eq_u32_e64 s[0:1], 0, v9
	s_and_b64 s[0:1], s[0:1], vcc
	s_and_b64 exec, exec, s[0:1]
	s_cbranch_execz .LBB198_38
; %bb.30:
	s_andn2_b64 vcc, exec, s[6:7]
	s_cbranch_vccnz .LBB198_38
; %bb.31:
	v_cmp_lt_f32_e32 vcc, 0, v11
	s_mov_b32 s2, 0
	v_cndmask_b32_e32 v0, 1.0, v11, vcc
	v_mul_lo_u32 v4, v8, s8
	s_cmp_eq_u32 s8, 1
	s_mov_b64 s[0:1], -1
	s_cbranch_scc1 .LBB198_35
; %bb.32:
	s_and_b32 s2, s8, 0x7ffffffe
	v_mov_b32_e32 v1, v0
	v_mov_b32_e32 v5, s17
	s_mov_b32 s3, s2
	v_mov_b32_e32 v2, v4
.LBB198_33:                             ; =>This Inner Loop Header: Depth=1
	v_ashrrev_i32_e32 v3, 31, v2
	v_lshlrev_b64 v[6:7], 2, v[2:3]
	v_add_co_u32_e32 v6, vcc, s16, v6
	v_addc_co_u32_e32 v7, vcc, v5, v7, vcc
	global_load_dwordx2 v[8:9], v[6:7], off
	s_add_i32 s3, s3, -2
	s_cmp_lg_u32 s3, 0
	v_add_u32_e32 v2, 2, v2
	s_waitcnt vmcnt(0)
	v_div_scale_f32 v3, s[0:1], v1, v1, v9
	v_div_scale_f32 v11, s[0:1], v0, v0, v8
	v_rcp_f32_e32 v12, v3
	v_rcp_f32_e32 v13, v11
	v_div_scale_f32 v10, vcc, v9, v1, v9
	v_fma_f32 v15, -v3, v12, 1.0
	v_fma_f32 v16, -v11, v13, 1.0
	v_fmac_f32_e32 v12, v15, v12
	v_div_scale_f32 v14, s[0:1], v8, v0, v8
	v_fmac_f32_e32 v13, v16, v13
	v_mul_f32_e32 v15, v10, v12
	v_mul_f32_e32 v16, v14, v13
	v_fma_f32 v17, -v3, v15, v10
	v_fma_f32 v18, -v11, v16, v14
	v_fmac_f32_e32 v15, v17, v12
	v_fmac_f32_e32 v16, v18, v13
	v_fma_f32 v3, -v3, v15, v10
	v_fma_f32 v10, -v11, v16, v14
	v_div_fmas_f32 v3, v3, v12, v15
	s_mov_b64 vcc, s[0:1]
	v_div_fixup_f32 v9, v3, v1, v9
	v_div_fmas_f32 v3, v10, v13, v16
	v_div_fixup_f32 v8, v3, v0, v8
	global_store_dwordx2 v[6:7], v[8:9], off
	s_cbranch_scc1 .LBB198_33
; %bb.34:
	s_cmp_lg_u32 s2, s8
	s_cselect_b64 s[0:1], -1, 0
.LBB198_35:
	s_and_b64 vcc, exec, s[0:1]
	s_cbranch_vccz .LBB198_38
; %bb.36:
	v_ashrrev_i32_e32 v1, 31, v4
	v_add_co_u32_e32 v2, vcc, s2, v4
	v_addc_co_u32_e32 v3, vcc, 0, v1, vcc
	v_lshlrev_b64 v[2:3], 2, v[2:3]
	v_mov_b32_e32 v1, s17
	v_add_co_u32_e32 v2, vcc, s16, v2
	s_sub_i32 s0, s8, s2
	v_addc_co_u32_e32 v3, vcc, v1, v3, vcc
.LBB198_37:                             ; =>This Inner Loop Header: Depth=1
	global_load_dword v1, v[2:3], off
	s_add_i32 s0, s0, -1
	s_cmp_lg_u32 s0, 0
	s_waitcnt vmcnt(0)
	v_div_scale_f32 v4, s[2:3], v0, v0, v1
	v_rcp_f32_e32 v5, v4
	v_div_scale_f32 v6, vcc, v1, v0, v1
	v_fma_f32 v7, -v4, v5, 1.0
	v_fmac_f32_e32 v5, v7, v5
	v_mul_f32_e32 v7, v6, v5
	v_fma_f32 v8, -v4, v7, v6
	v_fmac_f32_e32 v7, v8, v5
	v_fma_f32 v4, -v4, v7, v6
	v_div_fmas_f32 v4, v4, v5, v7
	v_div_fixup_f32 v1, v4, v0, v1
	global_store_dword v[2:3], v1, off
	v_add_co_u32_e32 v2, vcc, 4, v2
	v_addc_co_u32_e32 v3, vcc, 0, v3, vcc
	s_cbranch_scc1 .LBB198_37
.LBB198_38:
	s_endpgm
	.section	.rodata,"a",@progbits
	.p2align	6, 0x0
	.amdhsa_kernel _ZN4vllm3moe10topkGatingILi4ELi32ELi4ELi16ELi64EifLNS0_11ScoringFuncE1EEEvPKT5_PKbPfiPT4_PiiiibPKf
		.amdhsa_group_segment_fixed_size 0
		.amdhsa_private_segment_fixed_size 0
		.amdhsa_kernarg_size 72
		.amdhsa_user_sgpr_count 6
		.amdhsa_user_sgpr_private_segment_buffer 1
		.amdhsa_user_sgpr_dispatch_ptr 0
		.amdhsa_user_sgpr_queue_ptr 0
		.amdhsa_user_sgpr_kernarg_segment_ptr 1
		.amdhsa_user_sgpr_dispatch_id 0
		.amdhsa_user_sgpr_flat_scratch_init 0
		.amdhsa_user_sgpr_kernarg_preload_length 0
		.amdhsa_user_sgpr_kernarg_preload_offset 0
		.amdhsa_user_sgpr_private_segment_size 0
		.amdhsa_uses_dynamic_stack 0
		.amdhsa_system_sgpr_private_segment_wavefront_offset 0
		.amdhsa_system_sgpr_workgroup_id_x 1
		.amdhsa_system_sgpr_workgroup_id_y 0
		.amdhsa_system_sgpr_workgroup_id_z 0
		.amdhsa_system_sgpr_workgroup_info 0
		.amdhsa_system_vgpr_workitem_id 1
		.amdhsa_next_free_vgpr 28
		.amdhsa_next_free_sgpr 26
		.amdhsa_accum_offset 28
		.amdhsa_reserve_vcc 1
		.amdhsa_reserve_flat_scratch 0
		.amdhsa_float_round_mode_32 0
		.amdhsa_float_round_mode_16_64 0
		.amdhsa_float_denorm_mode_32 3
		.amdhsa_float_denorm_mode_16_64 3
		.amdhsa_dx10_clamp 1
		.amdhsa_ieee_mode 1
		.amdhsa_fp16_overflow 0
		.amdhsa_tg_split 0
		.amdhsa_exception_fp_ieee_invalid_op 0
		.amdhsa_exception_fp_denorm_src 0
		.amdhsa_exception_fp_ieee_div_zero 0
		.amdhsa_exception_fp_ieee_overflow 0
		.amdhsa_exception_fp_ieee_underflow 0
		.amdhsa_exception_fp_ieee_inexact 0
		.amdhsa_exception_int_div_zero 0
	.end_amdhsa_kernel
	.section	.text._ZN4vllm3moe10topkGatingILi4ELi32ELi4ELi16ELi64EifLNS0_11ScoringFuncE1EEEvPKT5_PKbPfiPT4_PiiiibPKf,"axG",@progbits,_ZN4vllm3moe10topkGatingILi4ELi32ELi4ELi16ELi64EifLNS0_11ScoringFuncE1EEEvPKT5_PKbPfiPT4_PiiiibPKf,comdat
.Lfunc_end198:
	.size	_ZN4vllm3moe10topkGatingILi4ELi32ELi4ELi16ELi64EifLNS0_11ScoringFuncE1EEEvPKT5_PKbPfiPT4_PiiiibPKf, .Lfunc_end198-_ZN4vllm3moe10topkGatingILi4ELi32ELi4ELi16ELi64EifLNS0_11ScoringFuncE1EEEvPKT5_PKbPfiPT4_PiiiibPKf
                                        ; -- End function
	.section	.AMDGPU.csdata,"",@progbits
; Kernel info:
; codeLenInByte = 2188
; NumSgprs: 30
; NumVgprs: 28
; NumAgprs: 0
; TotalNumVgprs: 28
; ScratchSize: 0
; MemoryBound: 0
; FloatMode: 240
; IeeeMode: 1
; LDSByteSize: 0 bytes/workgroup (compile time only)
; SGPRBlocks: 3
; VGPRBlocks: 3
; NumSGPRsForWavesPerEU: 30
; NumVGPRsForWavesPerEU: 28
; AccumOffset: 28
; Occupancy: 8
; WaveLimiterHint : 0
; COMPUTE_PGM_RSRC2:SCRATCH_EN: 0
; COMPUTE_PGM_RSRC2:USER_SGPR: 6
; COMPUTE_PGM_RSRC2:TRAP_HANDLER: 0
; COMPUTE_PGM_RSRC2:TGID_X_EN: 1
; COMPUTE_PGM_RSRC2:TGID_Y_EN: 0
; COMPUTE_PGM_RSRC2:TGID_Z_EN: 0
; COMPUTE_PGM_RSRC2:TIDIG_COMP_CNT: 1
; COMPUTE_PGM_RSRC3_GFX90A:ACCUM_OFFSET: 6
; COMPUTE_PGM_RSRC3_GFX90A:TG_SPLIT: 0
	.section	.text._ZN4vllm3moe10topkGatingILi4ELi32ELi4ELi16ELi32EifLNS0_11ScoringFuncE1EEEvPKT5_PKbPfiPT4_PiiiibPKf,"axG",@progbits,_ZN4vllm3moe10topkGatingILi4ELi32ELi4ELi16ELi32EifLNS0_11ScoringFuncE1EEEvPKT5_PKbPfiPT4_PiiiibPKf,comdat
	.protected	_ZN4vllm3moe10topkGatingILi4ELi32ELi4ELi16ELi32EifLNS0_11ScoringFuncE1EEEvPKT5_PKbPfiPT4_PiiiibPKf ; -- Begin function _ZN4vllm3moe10topkGatingILi4ELi32ELi4ELi16ELi32EifLNS0_11ScoringFuncE1EEEvPKT5_PKbPfiPT4_PiiiibPKf
	.globl	_ZN4vllm3moe10topkGatingILi4ELi32ELi4ELi16ELi32EifLNS0_11ScoringFuncE1EEEvPKT5_PKbPfiPT4_PiiiibPKf
	.p2align	8
	.type	_ZN4vllm3moe10topkGatingILi4ELi32ELi4ELi16ELi32EifLNS0_11ScoringFuncE1EEEvPKT5_PKbPfiPT4_PiiiibPKf,@function
_ZN4vllm3moe10topkGatingILi4ELi32ELi4ELi16ELi32EifLNS0_11ScoringFuncE1EEEvPKT5_PKbPfiPT4_PiiiibPKf: ; @_ZN4vllm3moe10topkGatingILi4ELi32ELi4ELi16ELi32EifLNS0_11ScoringFuncE1EEEvPKT5_PKbPfiPT4_PiiiibPKf
; %bb.0:
	s_load_dword s24, s[4:5], 0x18
	v_bfe_u32 v1, v0, 10, 10
	v_and_b32_e32 v0, 0x3ff, v0
	s_lshl_b32 s0, s6, 4
	v_lshlrev_b32_e32 v1, 2, v1
	v_lshrrev_b32_e32 v2, 3, v0
	v_add3_u32 v8, s0, v1, v2
	s_waitcnt lgkmcnt(0)
	v_cmp_gt_i32_e32 vcc, s24, v8
	s_and_saveexec_b64 s[0:1], vcc
	s_cbranch_execz .LBB199_38
; %bb.1:
	s_load_dwordx4 s[0:3], s[4:5], 0x0
	s_load_dwordx2 s[16:17], s[4:5], 0x10
	s_mov_b64 s[8:9], -1
	s_mov_b64 s[18:19], -1
	s_waitcnt lgkmcnt(0)
	s_cmp_eq_u64 s[2:3], 0
	s_cbranch_scc1 .LBB199_3
; %bb.2:
	v_ashrrev_i32_e32 v1, 31, v8
	v_mov_b32_e32 v3, s3
	v_add_co_u32_e32 v2, vcc, s2, v8
	v_addc_co_u32_e32 v3, vcc, v3, v1, vcc
	global_load_ubyte v1, v[2:3], off
	s_waitcnt vmcnt(0)
	v_and_b32_e32 v1, 1, v1
	v_cmp_eq_u32_e32 vcc, 1, v1
	s_xor_b64 s[2:3], vcc, -1
	s_orn2_b64 s[18:19], s[2:3], exec
.LBB199_3:
	v_lshlrev_b32_e32 v2, 5, v8
	v_ashrrev_i32_e32 v3, 31, v2
	v_lshlrev_b64 v[2:3], 2, v[2:3]
	v_mov_b32_e32 v1, s1
	v_add_co_u32_e32 v2, vcc, s0, v2
	v_and_b32_e32 v9, 7, v0
	v_addc_co_u32_e32 v1, vcc, v1, v3, vcc
	v_lshlrev_b32_e32 v0, 4, v9
	v_add_co_u32_e32 v0, vcc, v2, v0
	v_addc_co_u32_e32 v1, vcc, 0, v1, vcc
	global_load_dwordx4 v[0:3], v[0:1], off
	v_mov_b32_e32 v4, 0x207
	s_load_dwordx2 s[10:11], s[4:5], 0x40
	v_lshlrev_b32_e32 v10, 2, v9
	s_waitcnt lgkmcnt(0)
	s_cmp_eq_u64 s[10:11], 0
	s_waitcnt vmcnt(0)
	v_mul_f32_e32 v0, 0xbfb8aa3b, v0
	v_mul_f32_e32 v1, 0xbfb8aa3b, v1
	v_exp_f32_e32 v0, v0
	v_exp_f32_e32 v1, v1
	v_mul_f32_e32 v2, 0xbfb8aa3b, v2
	v_mul_f32_e32 v3, 0xbfb8aa3b, v3
	v_exp_f32_e32 v2, v2
	v_exp_f32_e32 v3, v3
	v_pk_add_f32 v[0:1], v[0:1], 1.0 op_sel_hi:[1,0]
	v_div_scale_f32 v5, s[0:1], v1, v1, 1.0
	v_rcp_f32_e32 v16, v5
	v_div_scale_f32 v7, s[0:1], v0, v0, 1.0
	v_pk_add_f32 v[2:3], v[2:3], 1.0 op_sel_hi:[1,0]
	v_rcp_f32_e32 v17, v7
	v_div_scale_f32 v12, s[2:3], v3, v3, 1.0
	v_rcp_f32_e32 v18, v12
	v_fma_f32 v20, -v5, v16, 1.0
	v_div_scale_f32 v6, vcc, 1.0, v1, 1.0
	v_div_scale_f32 v14, s[6:7], v2, v2, 1.0
	v_fmac_f32_e32 v16, v20, v16
	v_rcp_f32_e32 v19, v14
	v_fma_f32 v21, -v7, v17, 1.0
	v_mul_f32_e32 v20, v6, v16
	v_div_scale_f32 v11, s[0:1], 1.0, v0, 1.0
	v_fmac_f32_e32 v17, v21, v17
	v_fma_f32 v24, -v5, v20, v6
	v_fma_f32 v22, -v12, v18, 1.0
	v_mul_f32_e32 v21, v11, v17
	v_fmac_f32_e32 v20, v24, v16
	v_div_scale_f32 v13, s[2:3], 1.0, v3, 1.0
	v_fmac_f32_e32 v18, v22, v18
	v_fma_f32 v25, -v7, v21, v11
	v_fma_f32 v5, -v5, v20, v6
	v_fma_f32 v23, -v14, v19, 1.0
	v_mul_f32_e32 v22, v13, v18
	v_fmac_f32_e32 v21, v25, v17
	v_div_fmas_f32 v5, v5, v16, v20
	v_div_scale_f32 v15, s[6:7], 1.0, v2, 1.0
	v_fmac_f32_e32 v19, v23, v19
	v_fma_f32 v26, -v12, v22, v13
	v_fma_f32 v6, -v7, v21, v11
	v_div_fixup_f32 v1, v5, v1, 1.0
	s_mov_b64 vcc, s[0:1]
	v_mul_f32_e32 v23, v15, v19
	v_fmac_f32_e32 v22, v26, v18
	v_div_fmas_f32 v5, v6, v17, v21
	v_cmp_class_f32_e32 vcc, v1, v4
	v_fma_f32 v27, -v14, v23, v15
	v_fma_f32 v7, -v12, v22, v13
	v_div_fixup_f32 v0, v5, v0, 1.0
	v_cndmask_b32_e64 v1, v1, 0, vcc
	s_mov_b64 vcc, s[2:3]
	v_fmac_f32_e32 v23, v27, v19
	v_div_fmas_f32 v5, v7, v18, v22
	v_cmp_class_f32_e32 vcc, v0, v4
	v_fma_f32 v11, -v14, v23, v15
	v_cndmask_b32_e64 v0, v0, 0, vcc
	s_mov_b64 vcc, s[6:7]
	v_div_fixup_f32 v3, v5, v3, 1.0
	v_div_fmas_f32 v5, v11, v19, v23
	v_div_fixup_f32 v2, v5, v2, 1.0
	v_cmp_class_f32_e32 vcc, v3, v4
	v_cndmask_b32_e64 v3, v3, 0, vcc
	v_cmp_class_f32_e32 vcc, v2, v4
	v_cndmask_b32_e64 v2, v2, 0, vcc
	s_cbranch_scc1 .LBB199_27
; %bb.4:
	v_lshlrev_b32_e32 v4, 2, v10
	global_load_dwordx4 v[4:7], v4, s[10:11]
	s_waitcnt vmcnt(0)
	v_pk_add_f32 v[4:5], v[4:5], v[0:1]
	v_pk_add_f32 v[6:7], v[6:7], v[2:3]
	s_cbranch_execnz .LBB199_6
.LBB199_5:
	v_pk_mov_b32 v[6:7], v[2:3], v[2:3] op_sel:[0,1]
	v_pk_mov_b32 v[4:5], v[0:1], v[0:1] op_sel:[0,1]
.LBB199_6:
	s_load_dwordx4 s[8:11], s[4:5], 0x30
	s_mov_b32 s25, 0
	v_cmp_eq_u32_e64 s[0:1], 0, v9
	s_waitcnt lgkmcnt(0)
	s_bitcmp1_b32 s11, 0
	s_cselect_b64 vcc, -1, 0
	s_cmp_gt_i32 s8, 0
	s_cselect_b64 s[6:7], -1, 0
	s_cmp_lt_i32 s8, 1
	s_cbranch_scc1 .LBB199_28
; %bb.7:
	v_mbcnt_lo_u32_b32 v11, -1, 0
	v_mbcnt_hi_u32_b32 v11, -1, v11
	v_and_b32_e32 v12, 0x78, v11
	v_add_u32_e32 v15, 8, v12
	v_xor_b32_e32 v13, 4, v11
	s_load_dwordx4 s[12:15], s[4:5], 0x20
	v_cmp_lt_i32_e64 s[2:3], v13, v15
	v_xor_b32_e32 v14, 2, v11
	v_cndmask_b32_e64 v13, v11, v13, s[2:3]
	v_cmp_lt_i32_e64 s[2:3], v14, v15
	v_xor_b32_e32 v16, 1, v11
	v_cndmask_b32_e64 v14, v11, v14, s[2:3]
	v_cmp_lt_i32_e64 s[2:3], v16, v15
	v_cndmask_b32_e64 v11, v11, v16, s[2:3]
	v_mul_lo_u32 v12, v8, s8
	v_lshlrev_b32_e32 v13, 2, v13
	v_lshlrev_b32_e32 v14, 2, v14
	v_lshlrev_b32_e32 v15, 2, v11
	v_mov_b32_e32 v11, 0
	v_mov_b32_e32 v16, 0xc61c4000
	;; [unrolled: 1-line block ×3, first 2 shown]
	s_branch .LBB199_10
.LBB199_8:                              ;   in Loop: Header=BB199_10 Depth=1
	s_or_b64 exec, exec, s[4:5]
.LBB199_9:                              ;   in Loop: Header=BB199_10 Depth=1
	s_cmp_eq_u32 s8, s25
	v_add_u32_e32 v17, s24, v17
	s_cbranch_scc1 .LBB199_29
.LBB199_10:                             ; =>This Inner Loop Header: Depth=1
	v_cmp_gt_f32_e64 s[2:3], v5, v4
	v_cndmask_b32_e64 v20, v4, v5, s[2:3]
	v_cndmask_b32_e64 v18, 0, 1, s[2:3]
	;; [unrolled: 1-line block ×3, first 2 shown]
	v_cmp_gt_f32_e64 s[2:3], v6, v20
	v_cndmask_b32_e64 v20, v20, v6, s[2:3]
	v_cndmask_b32_e64 v18, v18, 2, s[2:3]
	;; [unrolled: 1-line block ×3, first 2 shown]
	v_cmp_gt_f32_e64 s[2:3], v7, v20
	v_cndmask_b32_e64 v18, v18, 3, s[2:3]
	v_cndmask_b32_e64 v20, v20, v7, s[2:3]
	v_or_b32_e32 v18, v10, v18
	v_cndmask_b32_e64 v19, v19, v3, s[2:3]
	s_waitcnt lgkmcnt(0)
	ds_bpermute_b32 v21, v13, v20
	ds_bpermute_b32 v23, v13, v19
	;; [unrolled: 1-line block ×3, first 2 shown]
	s_waitcnt lgkmcnt(0)
	v_cmp_lt_f32_e64 s[20:21], v20, v21
	v_cmp_nlt_f32_e64 s[2:3], v20, v21
	s_and_saveexec_b64 s[22:23], s[2:3]
; %bb.11:                               ;   in Loop: Header=BB199_10 Depth=1
	v_cmp_eq_f32_e64 s[2:3], v20, v21
	v_cmp_lt_i32_e64 s[4:5], v22, v18
	s_and_b64 s[2:3], s[2:3], s[4:5]
	s_andn2_b64 s[4:5], s[20:21], exec
	s_and_b64 s[2:3], s[2:3], exec
	s_or_b64 s[20:21], s[4:5], s[2:3]
; %bb.12:                               ;   in Loop: Header=BB199_10 Depth=1
	s_or_b64 exec, exec, s[22:23]
	s_and_saveexec_b64 s[2:3], s[20:21]
; %bb.13:                               ;   in Loop: Header=BB199_10 Depth=1
	v_mov_b32_e32 v19, v23
	v_mov_b32_e32 v20, v21
	;; [unrolled: 1-line block ×3, first 2 shown]
; %bb.14:                               ;   in Loop: Header=BB199_10 Depth=1
	s_or_b64 exec, exec, s[2:3]
	ds_bpermute_b32 v21, v14, v20
	ds_bpermute_b32 v23, v14, v19
	;; [unrolled: 1-line block ×3, first 2 shown]
	s_waitcnt lgkmcnt(2)
	v_cmp_lt_f32_e64 s[20:21], v20, v21
	v_cmp_nlt_f32_e64 s[2:3], v20, v21
	s_and_saveexec_b64 s[22:23], s[2:3]
	s_cbranch_execz .LBB199_16
; %bb.15:                               ;   in Loop: Header=BB199_10 Depth=1
	v_cmp_eq_f32_e64 s[2:3], v20, v21
	s_waitcnt lgkmcnt(0)
	v_cmp_lt_i32_e64 s[4:5], v22, v18
	s_and_b64 s[2:3], s[2:3], s[4:5]
	s_andn2_b64 s[4:5], s[20:21], exec
	s_and_b64 s[2:3], s[2:3], exec
	s_or_b64 s[20:21], s[4:5], s[2:3]
.LBB199_16:                             ;   in Loop: Header=BB199_10 Depth=1
	s_or_b64 exec, exec, s[22:23]
	s_and_saveexec_b64 s[2:3], s[20:21]
	s_cbranch_execz .LBB199_18
; %bb.17:                               ;   in Loop: Header=BB199_10 Depth=1
	s_waitcnt lgkmcnt(1)
	v_mov_b32_e32 v19, v23
	v_mov_b32_e32 v20, v21
	s_waitcnt lgkmcnt(0)
	v_mov_b32_e32 v18, v22
.LBB199_18:                             ;   in Loop: Header=BB199_10 Depth=1
	s_or_b64 exec, exec, s[2:3]
	s_waitcnt lgkmcnt(1)
	ds_bpermute_b32 v23, v15, v20
	ds_bpermute_b32 v21, v15, v19
	s_waitcnt lgkmcnt(2)
	ds_bpermute_b32 v22, v15, v18
	s_waitcnt lgkmcnt(2)
	v_cmp_lt_f32_e64 s[20:21], v20, v23
	v_cmp_nlt_f32_e64 s[2:3], v20, v23
	s_and_saveexec_b64 s[22:23], s[2:3]
	s_cbranch_execnz .LBB199_22
; %bb.19:                               ;   in Loop: Header=BB199_10 Depth=1
	s_or_b64 exec, exec, s[22:23]
	s_and_saveexec_b64 s[2:3], s[20:21]
	s_cbranch_execnz .LBB199_23
.LBB199_20:                             ;   in Loop: Header=BB199_10 Depth=1
	s_or_b64 exec, exec, s[2:3]
	s_and_saveexec_b64 s[20:21], s[0:1]
	s_cbranch_execnz .LBB199_24
.LBB199_21:                             ;   in Loop: Header=BB199_10 Depth=1
	s_or_b64 exec, exec, s[20:21]
	s_add_i32 s25, s25, 1
	s_cmp_ge_i32 s25, s8
	s_cbranch_scc1 .LBB199_9
	s_branch .LBB199_25
.LBB199_22:                             ;   in Loop: Header=BB199_10 Depth=1
	v_cmp_eq_f32_e64 s[2:3], v20, v23
	s_waitcnt lgkmcnt(0)
	v_cmp_lt_i32_e64 s[4:5], v22, v18
	s_and_b64 s[2:3], s[2:3], s[4:5]
	s_andn2_b64 s[4:5], s[20:21], exec
	s_and_b64 s[2:3], s[2:3], exec
	s_or_b64 s[20:21], s[4:5], s[2:3]
	s_or_b64 exec, exec, s[22:23]
	s_and_saveexec_b64 s[2:3], s[20:21]
	s_cbranch_execz .LBB199_20
.LBB199_23:                             ;   in Loop: Header=BB199_10 Depth=1
	s_waitcnt lgkmcnt(0)
	v_mov_b32_e32 v18, v22
	v_mov_b32_e32 v19, v21
	s_or_b64 exec, exec, s[2:3]
	s_and_saveexec_b64 s[20:21], s[0:1]
	s_cbranch_execz .LBB199_21
.LBB199_24:                             ;   in Loop: Header=BB199_10 Depth=1
	v_add_u32_e32 v20, s25, v12
	s_waitcnt lgkmcnt(1)
	v_ashrrev_i32_e32 v21, 31, v20
	v_cmp_le_i32_e64 s[2:3], s9, v18
	v_cmp_gt_i32_e64 s[4:5], s10, v18
	v_lshlrev_b64 v[20:21], 2, v[20:21]
	s_and_b64 s[4:5], s[2:3], s[4:5]
	v_mov_b32_e32 v23, s17
	s_waitcnt lgkmcnt(0)
	v_add_co_u32_e64 v22, s[2:3], s16, v20
	v_addc_co_u32_e64 v23, s[2:3], v23, v21, s[2:3]
	global_store_dword v[22:23], v19, off
	v_subrev_u32_e32 v22, s9, v18
	s_and_b64 s[2:3], s[18:19], s[4:5]
	v_cndmask_b32_e64 v24, 32, v22, s[2:3]
	v_mov_b32_e32 v23, s13
	v_add_co_u32_e64 v22, s[2:3], s12, v20
	v_addc_co_u32_e64 v23, s[2:3], v23, v21, s[2:3]
	global_store_dword v[22:23], v24, off
	v_mov_b32_e32 v22, s15
	v_add_co_u32_e64 v20, s[2:3], s14, v20
	v_add_f32_e32 v19, v11, v19
	v_addc_co_u32_e64 v21, s[2:3], v22, v21, s[2:3]
	v_cndmask_b32_e32 v11, v11, v19, vcc
	global_store_dword v[20:21], v17, off
	s_or_b64 exec, exec, s[20:21]
	s_add_i32 s25, s25, 1
	s_cmp_ge_i32 s25, s8
	s_cbranch_scc1 .LBB199_9
.LBB199_25:                             ;   in Loop: Header=BB199_10 Depth=1
	v_ashrrev_i32_e32 v20, 31, v18
	v_lshrrev_b32_e32 v19, 30, v20
	v_add_u32_e32 v19, v18, v19
	v_ashrrev_i32_e32 v19, 2, v19
	s_waitcnt lgkmcnt(1)
	v_lshrrev_b32_e32 v21, 29, v19
	v_add_u32_e32 v21, v19, v21
	v_and_b32_e32 v21, -8, v21
	v_sub_u32_e32 v21, v19, v21
	v_cmp_eq_u32_e64 s[2:3], v9, v21
	s_and_saveexec_b64 s[4:5], s[2:3]
	s_cbranch_execz .LBB199_8
; %bb.26:                               ;   in Loop: Header=BB199_10 Depth=1
	v_lshrrev_b32_e32 v20, 27, v20
	v_add_u32_e32 v20, v18, v20
	v_lshlrev_b32_e32 v19, 2, v19
	v_ashrrev_i32_e32 v20, 5, v20
	v_sub_u32_e32 v18, v18, v19
	v_lshl_add_u32 v18, v20, 2, v18
	v_cmp_ne_u32_e64 s[2:3], 3, v18
	v_cndmask_b32_e64 v7, v16, v7, s[2:3]
	v_cmp_ne_u32_e64 s[2:3], 2, v18
	v_cndmask_b32_e64 v6, v16, v6, s[2:3]
	;; [unrolled: 2-line block ×4, first 2 shown]
	s_branch .LBB199_8
.LBB199_27:
                                        ; implicit-def: $vgpr4_vgpr5_vgpr6_vgpr7
	s_andn2_b64 vcc, exec, s[8:9]
	s_cbranch_vccz .LBB199_5
	s_branch .LBB199_6
.LBB199_28:
	v_mov_b32_e32 v11, 0
.LBB199_29:
	v_cmp_eq_u32_e64 s[0:1], 0, v9
	s_and_b64 s[0:1], s[0:1], vcc
	s_and_b64 exec, exec, s[0:1]
	s_cbranch_execz .LBB199_38
; %bb.30:
	s_andn2_b64 vcc, exec, s[6:7]
	s_cbranch_vccnz .LBB199_38
; %bb.31:
	v_cmp_lt_f32_e32 vcc, 0, v11
	s_mov_b32 s2, 0
	v_cndmask_b32_e32 v0, 1.0, v11, vcc
	v_mul_lo_u32 v4, v8, s8
	s_cmp_eq_u32 s8, 1
	s_mov_b64 s[0:1], -1
	s_cbranch_scc1 .LBB199_35
; %bb.32:
	s_and_b32 s2, s8, 0x7ffffffe
	v_mov_b32_e32 v1, v0
	v_mov_b32_e32 v5, s17
	s_mov_b32 s3, s2
	v_mov_b32_e32 v2, v4
.LBB199_33:                             ; =>This Inner Loop Header: Depth=1
	v_ashrrev_i32_e32 v3, 31, v2
	v_lshlrev_b64 v[6:7], 2, v[2:3]
	v_add_co_u32_e32 v6, vcc, s16, v6
	v_addc_co_u32_e32 v7, vcc, v5, v7, vcc
	global_load_dwordx2 v[8:9], v[6:7], off
	s_add_i32 s3, s3, -2
	s_cmp_lg_u32 s3, 0
	v_add_u32_e32 v2, 2, v2
	s_waitcnt vmcnt(0)
	v_div_scale_f32 v3, s[0:1], v1, v1, v9
	v_div_scale_f32 v11, s[0:1], v0, v0, v8
	v_rcp_f32_e32 v12, v3
	v_rcp_f32_e32 v13, v11
	v_div_scale_f32 v10, vcc, v9, v1, v9
	v_fma_f32 v15, -v3, v12, 1.0
	v_fma_f32 v16, -v11, v13, 1.0
	v_fmac_f32_e32 v12, v15, v12
	v_div_scale_f32 v14, s[0:1], v8, v0, v8
	v_fmac_f32_e32 v13, v16, v13
	v_mul_f32_e32 v15, v10, v12
	v_mul_f32_e32 v16, v14, v13
	v_fma_f32 v17, -v3, v15, v10
	v_fma_f32 v18, -v11, v16, v14
	v_fmac_f32_e32 v15, v17, v12
	v_fmac_f32_e32 v16, v18, v13
	v_fma_f32 v3, -v3, v15, v10
	v_fma_f32 v10, -v11, v16, v14
	v_div_fmas_f32 v3, v3, v12, v15
	s_mov_b64 vcc, s[0:1]
	v_div_fixup_f32 v9, v3, v1, v9
	v_div_fmas_f32 v3, v10, v13, v16
	v_div_fixup_f32 v8, v3, v0, v8
	global_store_dwordx2 v[6:7], v[8:9], off
	s_cbranch_scc1 .LBB199_33
; %bb.34:
	s_cmp_lg_u32 s2, s8
	s_cselect_b64 s[0:1], -1, 0
.LBB199_35:
	s_and_b64 vcc, exec, s[0:1]
	s_cbranch_vccz .LBB199_38
; %bb.36:
	v_ashrrev_i32_e32 v1, 31, v4
	v_add_co_u32_e32 v2, vcc, s2, v4
	v_addc_co_u32_e32 v3, vcc, 0, v1, vcc
	v_lshlrev_b64 v[2:3], 2, v[2:3]
	v_mov_b32_e32 v1, s17
	v_add_co_u32_e32 v2, vcc, s16, v2
	s_sub_i32 s0, s8, s2
	v_addc_co_u32_e32 v3, vcc, v1, v3, vcc
.LBB199_37:                             ; =>This Inner Loop Header: Depth=1
	global_load_dword v1, v[2:3], off
	s_add_i32 s0, s0, -1
	s_cmp_lg_u32 s0, 0
	s_waitcnt vmcnt(0)
	v_div_scale_f32 v4, s[2:3], v0, v0, v1
	v_rcp_f32_e32 v5, v4
	v_div_scale_f32 v6, vcc, v1, v0, v1
	v_fma_f32 v7, -v4, v5, 1.0
	v_fmac_f32_e32 v5, v7, v5
	v_mul_f32_e32 v7, v6, v5
	v_fma_f32 v8, -v4, v7, v6
	v_fmac_f32_e32 v7, v8, v5
	v_fma_f32 v4, -v4, v7, v6
	v_div_fmas_f32 v4, v4, v5, v7
	v_div_fixup_f32 v1, v4, v0, v1
	global_store_dword v[2:3], v1, off
	v_add_co_u32_e32 v2, vcc, 4, v2
	v_addc_co_u32_e32 v3, vcc, 0, v3, vcc
	s_cbranch_scc1 .LBB199_37
.LBB199_38:
	s_endpgm
	.section	.rodata,"a",@progbits
	.p2align	6, 0x0
	.amdhsa_kernel _ZN4vllm3moe10topkGatingILi4ELi32ELi4ELi16ELi32EifLNS0_11ScoringFuncE1EEEvPKT5_PKbPfiPT4_PiiiibPKf
		.amdhsa_group_segment_fixed_size 0
		.amdhsa_private_segment_fixed_size 0
		.amdhsa_kernarg_size 72
		.amdhsa_user_sgpr_count 6
		.amdhsa_user_sgpr_private_segment_buffer 1
		.amdhsa_user_sgpr_dispatch_ptr 0
		.amdhsa_user_sgpr_queue_ptr 0
		.amdhsa_user_sgpr_kernarg_segment_ptr 1
		.amdhsa_user_sgpr_dispatch_id 0
		.amdhsa_user_sgpr_flat_scratch_init 0
		.amdhsa_user_sgpr_kernarg_preload_length 0
		.amdhsa_user_sgpr_kernarg_preload_offset 0
		.amdhsa_user_sgpr_private_segment_size 0
		.amdhsa_uses_dynamic_stack 0
		.amdhsa_system_sgpr_private_segment_wavefront_offset 0
		.amdhsa_system_sgpr_workgroup_id_x 1
		.amdhsa_system_sgpr_workgroup_id_y 0
		.amdhsa_system_sgpr_workgroup_id_z 0
		.amdhsa_system_sgpr_workgroup_info 0
		.amdhsa_system_vgpr_workitem_id 1
		.amdhsa_next_free_vgpr 28
		.amdhsa_next_free_sgpr 26
		.amdhsa_accum_offset 28
		.amdhsa_reserve_vcc 1
		.amdhsa_reserve_flat_scratch 0
		.amdhsa_float_round_mode_32 0
		.amdhsa_float_round_mode_16_64 0
		.amdhsa_float_denorm_mode_32 3
		.amdhsa_float_denorm_mode_16_64 3
		.amdhsa_dx10_clamp 1
		.amdhsa_ieee_mode 1
		.amdhsa_fp16_overflow 0
		.amdhsa_tg_split 0
		.amdhsa_exception_fp_ieee_invalid_op 0
		.amdhsa_exception_fp_denorm_src 0
		.amdhsa_exception_fp_ieee_div_zero 0
		.amdhsa_exception_fp_ieee_overflow 0
		.amdhsa_exception_fp_ieee_underflow 0
		.amdhsa_exception_fp_ieee_inexact 0
		.amdhsa_exception_int_div_zero 0
	.end_amdhsa_kernel
	.section	.text._ZN4vllm3moe10topkGatingILi4ELi32ELi4ELi16ELi32EifLNS0_11ScoringFuncE1EEEvPKT5_PKbPfiPT4_PiiiibPKf,"axG",@progbits,_ZN4vllm3moe10topkGatingILi4ELi32ELi4ELi16ELi32EifLNS0_11ScoringFuncE1EEEvPKT5_PKbPfiPT4_PiiiibPKf,comdat
.Lfunc_end199:
	.size	_ZN4vllm3moe10topkGatingILi4ELi32ELi4ELi16ELi32EifLNS0_11ScoringFuncE1EEEvPKT5_PKbPfiPT4_PiiiibPKf, .Lfunc_end199-_ZN4vllm3moe10topkGatingILi4ELi32ELi4ELi16ELi32EifLNS0_11ScoringFuncE1EEEvPKT5_PKbPfiPT4_PiiiibPKf
                                        ; -- End function
	.section	.AMDGPU.csdata,"",@progbits
; Kernel info:
; codeLenInByte = 2188
; NumSgprs: 30
; NumVgprs: 28
; NumAgprs: 0
; TotalNumVgprs: 28
; ScratchSize: 0
; MemoryBound: 0
; FloatMode: 240
; IeeeMode: 1
; LDSByteSize: 0 bytes/workgroup (compile time only)
; SGPRBlocks: 3
; VGPRBlocks: 3
; NumSGPRsForWavesPerEU: 30
; NumVGPRsForWavesPerEU: 28
; AccumOffset: 28
; Occupancy: 8
; WaveLimiterHint : 0
; COMPUTE_PGM_RSRC2:SCRATCH_EN: 0
; COMPUTE_PGM_RSRC2:USER_SGPR: 6
; COMPUTE_PGM_RSRC2:TRAP_HANDLER: 0
; COMPUTE_PGM_RSRC2:TGID_X_EN: 1
; COMPUTE_PGM_RSRC2:TGID_Y_EN: 0
; COMPUTE_PGM_RSRC2:TGID_Z_EN: 0
; COMPUTE_PGM_RSRC2:TIDIG_COMP_CNT: 1
; COMPUTE_PGM_RSRC3_GFX90A:ACCUM_OFFSET: 6
; COMPUTE_PGM_RSRC3_GFX90A:TG_SPLIT: 0
	.section	.text._ZN4vllm3moe10topkGatingILi4ELi64ELi4ELi16ELi64EifLNS0_11ScoringFuncE1EEEvPKT5_PKbPfiPT4_PiiiibPKf,"axG",@progbits,_ZN4vllm3moe10topkGatingILi4ELi64ELi4ELi16ELi64EifLNS0_11ScoringFuncE1EEEvPKT5_PKbPfiPT4_PiiiibPKf,comdat
	.protected	_ZN4vllm3moe10topkGatingILi4ELi64ELi4ELi16ELi64EifLNS0_11ScoringFuncE1EEEvPKT5_PKbPfiPT4_PiiiibPKf ; -- Begin function _ZN4vllm3moe10topkGatingILi4ELi64ELi4ELi16ELi64EifLNS0_11ScoringFuncE1EEEvPKT5_PKbPfiPT4_PiiiibPKf
	.globl	_ZN4vllm3moe10topkGatingILi4ELi64ELi4ELi16ELi64EifLNS0_11ScoringFuncE1EEEvPKT5_PKbPfiPT4_PiiiibPKf
	.p2align	8
	.type	_ZN4vllm3moe10topkGatingILi4ELi64ELi4ELi16ELi64EifLNS0_11ScoringFuncE1EEEvPKT5_PKbPfiPT4_PiiiibPKf,@function
_ZN4vllm3moe10topkGatingILi4ELi64ELi4ELi16ELi64EifLNS0_11ScoringFuncE1EEEvPKT5_PKbPfiPT4_PiiiibPKf: ; @_ZN4vllm3moe10topkGatingILi4ELi64ELi4ELi16ELi64EifLNS0_11ScoringFuncE1EEEvPKT5_PKbPfiPT4_PiiiibPKf
; %bb.0:
	s_load_dword s24, s[4:5], 0x18
	v_bfe_u32 v1, v0, 10, 10
	v_and_b32_e32 v0, 0x3ff, v0
	s_lshl_b32 s0, s6, 4
	v_lshlrev_b32_e32 v1, 2, v1
	v_lshrrev_b32_e32 v2, 4, v0
	v_add3_u32 v8, s0, v1, v2
	s_waitcnt lgkmcnt(0)
	v_cmp_gt_i32_e32 vcc, s24, v8
	s_and_saveexec_b64 s[0:1], vcc
	s_cbranch_execz .LBB200_42
; %bb.1:
	s_load_dwordx4 s[0:3], s[4:5], 0x0
	s_load_dwordx2 s[16:17], s[4:5], 0x10
	s_mov_b64 s[8:9], -1
	s_mov_b64 s[18:19], -1
	s_waitcnt lgkmcnt(0)
	s_cmp_eq_u64 s[2:3], 0
	s_cbranch_scc1 .LBB200_3
; %bb.2:
	v_ashrrev_i32_e32 v1, 31, v8
	v_mov_b32_e32 v3, s3
	v_add_co_u32_e32 v2, vcc, s2, v8
	v_addc_co_u32_e32 v3, vcc, v3, v1, vcc
	global_load_ubyte v1, v[2:3], off
	s_waitcnt vmcnt(0)
	v_and_b32_e32 v1, 1, v1
	v_cmp_eq_u32_e32 vcc, 1, v1
	s_xor_b64 s[2:3], vcc, -1
	s_orn2_b64 s[18:19], s[2:3], exec
.LBB200_3:
	v_lshlrev_b32_e32 v2, 6, v8
	v_ashrrev_i32_e32 v3, 31, v2
	v_lshlrev_b64 v[2:3], 2, v[2:3]
	v_mov_b32_e32 v1, s1
	v_add_co_u32_e32 v2, vcc, s0, v2
	v_and_b32_e32 v9, 15, v0
	v_addc_co_u32_e32 v1, vcc, v1, v3, vcc
	v_lshlrev_b32_e32 v0, 4, v9
	v_add_co_u32_e32 v0, vcc, v2, v0
	v_addc_co_u32_e32 v1, vcc, 0, v1, vcc
	global_load_dwordx4 v[0:3], v[0:1], off
	v_mov_b32_e32 v4, 0x207
	s_load_dwordx2 s[10:11], s[4:5], 0x40
	v_lshlrev_b32_e32 v10, 2, v9
	s_waitcnt lgkmcnt(0)
	s_cmp_eq_u64 s[10:11], 0
	s_waitcnt vmcnt(0)
	v_mul_f32_e32 v0, 0xbfb8aa3b, v0
	v_mul_f32_e32 v1, 0xbfb8aa3b, v1
	v_exp_f32_e32 v0, v0
	v_exp_f32_e32 v1, v1
	v_mul_f32_e32 v2, 0xbfb8aa3b, v2
	v_mul_f32_e32 v3, 0xbfb8aa3b, v3
	v_exp_f32_e32 v2, v2
	v_exp_f32_e32 v3, v3
	v_pk_add_f32 v[0:1], v[0:1], 1.0 op_sel_hi:[1,0]
	v_div_scale_f32 v5, s[0:1], v1, v1, 1.0
	v_rcp_f32_e32 v16, v5
	v_div_scale_f32 v7, s[0:1], v0, v0, 1.0
	v_pk_add_f32 v[2:3], v[2:3], 1.0 op_sel_hi:[1,0]
	v_rcp_f32_e32 v17, v7
	v_div_scale_f32 v12, s[2:3], v3, v3, 1.0
	v_rcp_f32_e32 v18, v12
	v_fma_f32 v20, -v5, v16, 1.0
	v_div_scale_f32 v6, vcc, 1.0, v1, 1.0
	v_div_scale_f32 v14, s[6:7], v2, v2, 1.0
	v_fmac_f32_e32 v16, v20, v16
	v_rcp_f32_e32 v19, v14
	v_fma_f32 v21, -v7, v17, 1.0
	v_mul_f32_e32 v20, v6, v16
	v_div_scale_f32 v11, s[0:1], 1.0, v0, 1.0
	v_fmac_f32_e32 v17, v21, v17
	v_fma_f32 v24, -v5, v20, v6
	v_fma_f32 v22, -v12, v18, 1.0
	v_mul_f32_e32 v21, v11, v17
	v_fmac_f32_e32 v20, v24, v16
	v_div_scale_f32 v13, s[2:3], 1.0, v3, 1.0
	v_fmac_f32_e32 v18, v22, v18
	v_fma_f32 v25, -v7, v21, v11
	v_fma_f32 v5, -v5, v20, v6
	v_fma_f32 v23, -v14, v19, 1.0
	v_mul_f32_e32 v22, v13, v18
	v_fmac_f32_e32 v21, v25, v17
	v_div_fmas_f32 v5, v5, v16, v20
	v_div_scale_f32 v15, s[6:7], 1.0, v2, 1.0
	v_fmac_f32_e32 v19, v23, v19
	v_fma_f32 v26, -v12, v22, v13
	v_fma_f32 v6, -v7, v21, v11
	v_div_fixup_f32 v1, v5, v1, 1.0
	s_mov_b64 vcc, s[0:1]
	v_mul_f32_e32 v23, v15, v19
	v_fmac_f32_e32 v22, v26, v18
	v_div_fmas_f32 v5, v6, v17, v21
	v_cmp_class_f32_e32 vcc, v1, v4
	v_fma_f32 v27, -v14, v23, v15
	v_fma_f32 v7, -v12, v22, v13
	v_div_fixup_f32 v0, v5, v0, 1.0
	v_cndmask_b32_e64 v1, v1, 0, vcc
	s_mov_b64 vcc, s[2:3]
	v_fmac_f32_e32 v23, v27, v19
	v_div_fmas_f32 v5, v7, v18, v22
	v_cmp_class_f32_e32 vcc, v0, v4
	v_fma_f32 v11, -v14, v23, v15
	v_cndmask_b32_e64 v0, v0, 0, vcc
	s_mov_b64 vcc, s[6:7]
	v_div_fixup_f32 v3, v5, v3, 1.0
	v_div_fmas_f32 v5, v11, v19, v23
	v_div_fixup_f32 v2, v5, v2, 1.0
	v_cmp_class_f32_e32 vcc, v3, v4
	v_cndmask_b32_e64 v3, v3, 0, vcc
	v_cmp_class_f32_e32 vcc, v2, v4
	v_cndmask_b32_e64 v2, v2, 0, vcc
	s_cbranch_scc1 .LBB200_31
; %bb.4:
	v_lshlrev_b32_e32 v4, 2, v10
	global_load_dwordx4 v[4:7], v4, s[10:11]
	s_waitcnt vmcnt(0)
	v_pk_add_f32 v[4:5], v[4:5], v[0:1]
	v_pk_add_f32 v[6:7], v[6:7], v[2:3]
	s_cbranch_execnz .LBB200_6
.LBB200_5:
	v_pk_mov_b32 v[6:7], v[2:3], v[2:3] op_sel:[0,1]
	v_pk_mov_b32 v[4:5], v[0:1], v[0:1] op_sel:[0,1]
.LBB200_6:
	s_load_dwordx4 s[8:11], s[4:5], 0x30
	s_mov_b32 s25, 0
	v_cmp_eq_u32_e64 s[0:1], 0, v9
	s_waitcnt lgkmcnt(0)
	s_bitcmp1_b32 s11, 0
	s_cselect_b64 vcc, -1, 0
	s_cmp_gt_i32 s8, 0
	s_cselect_b64 s[6:7], -1, 0
	s_cmp_lt_i32 s8, 1
	s_cbranch_scc1 .LBB200_32
; %bb.7:
	v_mbcnt_lo_u32_b32 v11, -1, 0
	v_mbcnt_hi_u32_b32 v11, -1, v11
	v_and_b32_e32 v12, 0x70, v11
	v_add_u32_e32 v16, 16, v12
	v_xor_b32_e32 v13, 8, v11
	v_cmp_lt_i32_e64 s[2:3], v13, v16
	v_xor_b32_e32 v14, 4, v11
	s_load_dwordx4 s[12:15], s[4:5], 0x20
	v_cndmask_b32_e64 v13, v11, v13, s[2:3]
	v_cmp_lt_i32_e64 s[2:3], v14, v16
	v_xor_b32_e32 v15, 2, v11
	v_cndmask_b32_e64 v14, v11, v14, s[2:3]
	v_cmp_lt_i32_e64 s[2:3], v15, v16
	v_xor_b32_e32 v17, 1, v11
	v_cndmask_b32_e64 v15, v11, v15, s[2:3]
	v_cmp_lt_i32_e64 s[2:3], v17, v16
	v_cndmask_b32_e64 v11, v11, v17, s[2:3]
	v_mul_lo_u32 v12, v8, s8
	v_lshlrev_b32_e32 v13, 2, v13
	v_lshlrev_b32_e32 v14, 2, v14
	;; [unrolled: 1-line block ×4, first 2 shown]
	v_mov_b32_e32 v11, 0
	v_mov_b32_e32 v17, 0xc61c4000
	v_mov_b32_e32 v18, v8
	s_branch .LBB200_10
.LBB200_8:                              ;   in Loop: Header=BB200_10 Depth=1
	s_or_b64 exec, exec, s[4:5]
.LBB200_9:                              ;   in Loop: Header=BB200_10 Depth=1
	s_cmp_eq_u32 s8, s25
	v_add_u32_e32 v18, s24, v18
	s_cbranch_scc1 .LBB200_33
.LBB200_10:                             ; =>This Inner Loop Header: Depth=1
	v_cmp_gt_f32_e64 s[2:3], v5, v4
	v_cndmask_b32_e64 v21, v4, v5, s[2:3]
	v_cndmask_b32_e64 v19, 0, 1, s[2:3]
	;; [unrolled: 1-line block ×3, first 2 shown]
	v_cmp_gt_f32_e64 s[2:3], v6, v21
	v_cndmask_b32_e64 v21, v21, v6, s[2:3]
	v_cndmask_b32_e64 v19, v19, 2, s[2:3]
	v_cndmask_b32_e64 v20, v20, v2, s[2:3]
	v_cmp_gt_f32_e64 s[2:3], v7, v21
	v_cndmask_b32_e64 v19, v19, 3, s[2:3]
	v_cndmask_b32_e64 v21, v21, v7, s[2:3]
	v_or_b32_e32 v19, v10, v19
	v_cndmask_b32_e64 v20, v20, v3, s[2:3]
	s_waitcnt lgkmcnt(0)
	ds_bpermute_b32 v22, v13, v21
	ds_bpermute_b32 v24, v13, v20
	;; [unrolled: 1-line block ×3, first 2 shown]
	s_waitcnt lgkmcnt(0)
	v_cmp_lt_f32_e64 s[20:21], v21, v22
	v_cmp_nlt_f32_e64 s[2:3], v21, v22
	s_and_saveexec_b64 s[22:23], s[2:3]
; %bb.11:                               ;   in Loop: Header=BB200_10 Depth=1
	v_cmp_eq_f32_e64 s[2:3], v21, v22
	v_cmp_lt_i32_e64 s[4:5], v23, v19
	s_and_b64 s[2:3], s[2:3], s[4:5]
	s_andn2_b64 s[4:5], s[20:21], exec
	s_and_b64 s[2:3], s[2:3], exec
	s_or_b64 s[20:21], s[4:5], s[2:3]
; %bb.12:                               ;   in Loop: Header=BB200_10 Depth=1
	s_or_b64 exec, exec, s[22:23]
	s_and_saveexec_b64 s[2:3], s[20:21]
; %bb.13:                               ;   in Loop: Header=BB200_10 Depth=1
	v_mov_b32_e32 v20, v24
	v_mov_b32_e32 v21, v22
	;; [unrolled: 1-line block ×3, first 2 shown]
; %bb.14:                               ;   in Loop: Header=BB200_10 Depth=1
	s_or_b64 exec, exec, s[2:3]
	ds_bpermute_b32 v22, v14, v21
	ds_bpermute_b32 v24, v14, v20
	;; [unrolled: 1-line block ×3, first 2 shown]
	s_waitcnt lgkmcnt(2)
	v_cmp_lt_f32_e64 s[20:21], v21, v22
	v_cmp_nlt_f32_e64 s[2:3], v21, v22
	s_and_saveexec_b64 s[22:23], s[2:3]
	s_cbranch_execz .LBB200_16
; %bb.15:                               ;   in Loop: Header=BB200_10 Depth=1
	v_cmp_eq_f32_e64 s[2:3], v21, v22
	s_waitcnt lgkmcnt(0)
	v_cmp_lt_i32_e64 s[4:5], v23, v19
	s_and_b64 s[2:3], s[2:3], s[4:5]
	s_andn2_b64 s[4:5], s[20:21], exec
	s_and_b64 s[2:3], s[2:3], exec
	s_or_b64 s[20:21], s[4:5], s[2:3]
.LBB200_16:                             ;   in Loop: Header=BB200_10 Depth=1
	s_or_b64 exec, exec, s[22:23]
	s_and_saveexec_b64 s[2:3], s[20:21]
	s_cbranch_execz .LBB200_18
; %bb.17:                               ;   in Loop: Header=BB200_10 Depth=1
	s_waitcnt lgkmcnt(1)
	v_mov_b32_e32 v20, v24
	v_mov_b32_e32 v21, v22
	s_waitcnt lgkmcnt(0)
	v_mov_b32_e32 v19, v23
.LBB200_18:                             ;   in Loop: Header=BB200_10 Depth=1
	s_or_b64 exec, exec, s[2:3]
	ds_bpermute_b32 v22, v15, v21
	s_waitcnt lgkmcnt(2)
	ds_bpermute_b32 v24, v15, v20
	s_waitcnt lgkmcnt(2)
	;; [unrolled: 2-line block ×3, first 2 shown]
	v_cmp_lt_f32_e64 s[20:21], v21, v22
	v_cmp_nlt_f32_e64 s[2:3], v21, v22
	s_and_saveexec_b64 s[22:23], s[2:3]
	s_cbranch_execz .LBB200_20
; %bb.19:                               ;   in Loop: Header=BB200_10 Depth=1
	v_cmp_eq_f32_e64 s[2:3], v21, v22
	s_waitcnt lgkmcnt(0)
	v_cmp_lt_i32_e64 s[4:5], v23, v19
	s_and_b64 s[2:3], s[2:3], s[4:5]
	s_andn2_b64 s[4:5], s[20:21], exec
	s_and_b64 s[2:3], s[2:3], exec
	s_or_b64 s[20:21], s[4:5], s[2:3]
.LBB200_20:                             ;   in Loop: Header=BB200_10 Depth=1
	s_or_b64 exec, exec, s[22:23]
	s_and_saveexec_b64 s[2:3], s[20:21]
	s_cbranch_execz .LBB200_22
; %bb.21:                               ;   in Loop: Header=BB200_10 Depth=1
	s_waitcnt lgkmcnt(1)
	v_mov_b32_e32 v20, v24
	v_mov_b32_e32 v21, v22
	s_waitcnt lgkmcnt(0)
	v_mov_b32_e32 v19, v23
.LBB200_22:                             ;   in Loop: Header=BB200_10 Depth=1
	s_or_b64 exec, exec, s[2:3]
	s_waitcnt lgkmcnt(1)
	ds_bpermute_b32 v24, v16, v21
	ds_bpermute_b32 v22, v16, v20
	s_waitcnt lgkmcnt(2)
	ds_bpermute_b32 v23, v16, v19
	s_waitcnt lgkmcnt(2)
	v_cmp_lt_f32_e64 s[20:21], v21, v24
	v_cmp_nlt_f32_e64 s[2:3], v21, v24
	s_and_saveexec_b64 s[22:23], s[2:3]
	s_cbranch_execnz .LBB200_26
; %bb.23:                               ;   in Loop: Header=BB200_10 Depth=1
	s_or_b64 exec, exec, s[22:23]
	s_and_saveexec_b64 s[2:3], s[20:21]
	s_cbranch_execnz .LBB200_27
.LBB200_24:                             ;   in Loop: Header=BB200_10 Depth=1
	s_or_b64 exec, exec, s[2:3]
	s_and_saveexec_b64 s[20:21], s[0:1]
	s_cbranch_execnz .LBB200_28
.LBB200_25:                             ;   in Loop: Header=BB200_10 Depth=1
	s_or_b64 exec, exec, s[20:21]
	s_add_i32 s25, s25, 1
	s_cmp_ge_i32 s25, s8
	s_cbranch_scc1 .LBB200_9
	s_branch .LBB200_29
.LBB200_26:                             ;   in Loop: Header=BB200_10 Depth=1
	v_cmp_eq_f32_e64 s[2:3], v21, v24
	s_waitcnt lgkmcnt(0)
	v_cmp_lt_i32_e64 s[4:5], v23, v19
	s_and_b64 s[2:3], s[2:3], s[4:5]
	s_andn2_b64 s[4:5], s[20:21], exec
	s_and_b64 s[2:3], s[2:3], exec
	s_or_b64 s[20:21], s[4:5], s[2:3]
	s_or_b64 exec, exec, s[22:23]
	s_and_saveexec_b64 s[2:3], s[20:21]
	s_cbranch_execz .LBB200_24
.LBB200_27:                             ;   in Loop: Header=BB200_10 Depth=1
	s_waitcnt lgkmcnt(0)
	v_mov_b32_e32 v19, v23
	v_mov_b32_e32 v20, v22
	s_or_b64 exec, exec, s[2:3]
	s_and_saveexec_b64 s[20:21], s[0:1]
	s_cbranch_execz .LBB200_25
.LBB200_28:                             ;   in Loop: Header=BB200_10 Depth=1
	s_waitcnt lgkmcnt(1)
	v_add_u32_e32 v22, s25, v12
	s_waitcnt lgkmcnt(0)
	v_ashrrev_i32_e32 v23, 31, v22
	v_cmp_le_i32_e64 s[2:3], s9, v19
	v_cmp_gt_i32_e64 s[4:5], s10, v19
	v_lshlrev_b64 v[22:23], 2, v[22:23]
	s_and_b64 s[4:5], s[2:3], s[4:5]
	v_mov_b32_e32 v21, s17
	v_add_co_u32_e64 v24, s[2:3], s16, v22
	v_addc_co_u32_e64 v25, s[2:3], v21, v23, s[2:3]
	v_subrev_u32_e32 v21, s9, v19
	s_and_b64 s[2:3], s[18:19], s[4:5]
	global_store_dword v[24:25], v20, off
	v_cndmask_b32_e64 v21, 64, v21, s[2:3]
	v_mov_b32_e32 v25, s13
	v_add_co_u32_e64 v24, s[2:3], s12, v22
	v_addc_co_u32_e64 v25, s[2:3], v25, v23, s[2:3]
	global_store_dword v[24:25], v21, off
	v_mov_b32_e32 v21, s15
	v_add_co_u32_e64 v22, s[2:3], s14, v22
	v_add_f32_e32 v20, v11, v20
	v_addc_co_u32_e64 v23, s[2:3], v21, v23, s[2:3]
	v_cndmask_b32_e32 v11, v11, v20, vcc
	global_store_dword v[22:23], v18, off
	s_or_b64 exec, exec, s[20:21]
	s_add_i32 s25, s25, 1
	s_cmp_ge_i32 s25, s8
	s_cbranch_scc1 .LBB200_9
.LBB200_29:                             ;   in Loop: Header=BB200_10 Depth=1
	v_ashrrev_i32_e32 v21, 31, v19
	v_lshrrev_b32_e32 v20, 30, v21
	s_waitcnt lgkmcnt(1)
	v_add_u32_e32 v22, v19, v20
	v_ashrrev_i32_e32 v20, 2, v22
	v_ashrrev_i32_e32 v22, 31, v22
	v_lshrrev_b32_e32 v22, 28, v22
	v_add_u32_e32 v22, v20, v22
	v_and_b32_e32 v22, -16, v22
	v_sub_u32_e32 v22, v20, v22
	v_cmp_eq_u32_e64 s[2:3], v9, v22
	s_and_saveexec_b64 s[4:5], s[2:3]
	s_cbranch_execz .LBB200_8
; %bb.30:                               ;   in Loop: Header=BB200_10 Depth=1
	v_lshrrev_b32_e32 v21, 26, v21
	v_add_u32_e32 v21, v19, v21
	v_lshlrev_b32_e32 v20, 2, v20
	v_ashrrev_i32_e32 v21, 6, v21
	v_sub_u32_e32 v19, v19, v20
	v_lshl_add_u32 v19, v21, 2, v19
	v_cmp_ne_u32_e64 s[2:3], 3, v19
	v_cndmask_b32_e64 v7, v17, v7, s[2:3]
	v_cmp_ne_u32_e64 s[2:3], 2, v19
	v_cndmask_b32_e64 v6, v17, v6, s[2:3]
	;; [unrolled: 2-line block ×4, first 2 shown]
	s_branch .LBB200_8
.LBB200_31:
                                        ; implicit-def: $vgpr4_vgpr5_vgpr6_vgpr7
	s_andn2_b64 vcc, exec, s[8:9]
	s_cbranch_vccz .LBB200_5
	s_branch .LBB200_6
.LBB200_32:
	v_mov_b32_e32 v11, 0
.LBB200_33:
	v_cmp_eq_u32_e64 s[0:1], 0, v9
	s_and_b64 s[0:1], s[0:1], vcc
	s_and_b64 exec, exec, s[0:1]
	s_cbranch_execz .LBB200_42
; %bb.34:
	s_andn2_b64 vcc, exec, s[6:7]
	s_cbranch_vccnz .LBB200_42
; %bb.35:
	v_cmp_lt_f32_e32 vcc, 0, v11
	s_mov_b32 s2, 0
	v_cndmask_b32_e32 v0, 1.0, v11, vcc
	v_mul_lo_u32 v4, v8, s8
	s_cmp_eq_u32 s8, 1
	s_mov_b64 s[0:1], -1
	s_cbranch_scc1 .LBB200_39
; %bb.36:
	s_and_b32 s2, s8, 0x7ffffffe
	v_mov_b32_e32 v1, v0
	v_mov_b32_e32 v5, s17
	s_mov_b32 s3, s2
	v_mov_b32_e32 v2, v4
.LBB200_37:                             ; =>This Inner Loop Header: Depth=1
	v_ashrrev_i32_e32 v3, 31, v2
	v_lshlrev_b64 v[6:7], 2, v[2:3]
	v_add_co_u32_e32 v6, vcc, s16, v6
	v_addc_co_u32_e32 v7, vcc, v5, v7, vcc
	global_load_dwordx2 v[8:9], v[6:7], off
	s_add_i32 s3, s3, -2
	s_cmp_lg_u32 s3, 0
	v_add_u32_e32 v2, 2, v2
	s_waitcnt vmcnt(0)
	v_div_scale_f32 v3, s[0:1], v1, v1, v9
	v_div_scale_f32 v11, s[0:1], v0, v0, v8
	v_rcp_f32_e32 v12, v3
	v_rcp_f32_e32 v13, v11
	v_div_scale_f32 v10, vcc, v9, v1, v9
	v_fma_f32 v15, -v3, v12, 1.0
	v_fma_f32 v16, -v11, v13, 1.0
	v_fmac_f32_e32 v12, v15, v12
	v_div_scale_f32 v14, s[0:1], v8, v0, v8
	v_fmac_f32_e32 v13, v16, v13
	v_mul_f32_e32 v15, v10, v12
	v_mul_f32_e32 v16, v14, v13
	v_fma_f32 v17, -v3, v15, v10
	v_fma_f32 v18, -v11, v16, v14
	v_fmac_f32_e32 v15, v17, v12
	v_fmac_f32_e32 v16, v18, v13
	v_fma_f32 v3, -v3, v15, v10
	v_fma_f32 v10, -v11, v16, v14
	v_div_fmas_f32 v3, v3, v12, v15
	s_mov_b64 vcc, s[0:1]
	v_div_fixup_f32 v9, v3, v1, v9
	v_div_fmas_f32 v3, v10, v13, v16
	v_div_fixup_f32 v8, v3, v0, v8
	global_store_dwordx2 v[6:7], v[8:9], off
	s_cbranch_scc1 .LBB200_37
; %bb.38:
	s_cmp_lg_u32 s2, s8
	s_cselect_b64 s[0:1], -1, 0
.LBB200_39:
	s_and_b64 vcc, exec, s[0:1]
	s_cbranch_vccz .LBB200_42
; %bb.40:
	v_ashrrev_i32_e32 v1, 31, v4
	v_add_co_u32_e32 v2, vcc, s2, v4
	v_addc_co_u32_e32 v3, vcc, 0, v1, vcc
	v_lshlrev_b64 v[2:3], 2, v[2:3]
	v_mov_b32_e32 v1, s17
	v_add_co_u32_e32 v2, vcc, s16, v2
	s_sub_i32 s0, s8, s2
	v_addc_co_u32_e32 v3, vcc, v1, v3, vcc
.LBB200_41:                             ; =>This Inner Loop Header: Depth=1
	global_load_dword v1, v[2:3], off
	s_add_i32 s0, s0, -1
	s_cmp_lg_u32 s0, 0
	s_waitcnt vmcnt(0)
	v_div_scale_f32 v4, s[2:3], v0, v0, v1
	v_rcp_f32_e32 v5, v4
	v_div_scale_f32 v6, vcc, v1, v0, v1
	v_fma_f32 v7, -v4, v5, 1.0
	v_fmac_f32_e32 v5, v7, v5
	v_mul_f32_e32 v7, v6, v5
	v_fma_f32 v8, -v4, v7, v6
	v_fmac_f32_e32 v7, v8, v5
	v_fma_f32 v4, -v4, v7, v6
	v_div_fmas_f32 v4, v4, v5, v7
	v_div_fixup_f32 v1, v4, v0, v1
	global_store_dword v[2:3], v1, off
	v_add_co_u32_e32 v2, vcc, 4, v2
	v_addc_co_u32_e32 v3, vcc, 0, v3, vcc
	s_cbranch_scc1 .LBB200_41
.LBB200_42:
	s_endpgm
	.section	.rodata,"a",@progbits
	.p2align	6, 0x0
	.amdhsa_kernel _ZN4vllm3moe10topkGatingILi4ELi64ELi4ELi16ELi64EifLNS0_11ScoringFuncE1EEEvPKT5_PKbPfiPT4_PiiiibPKf
		.amdhsa_group_segment_fixed_size 0
		.amdhsa_private_segment_fixed_size 0
		.amdhsa_kernarg_size 72
		.amdhsa_user_sgpr_count 6
		.amdhsa_user_sgpr_private_segment_buffer 1
		.amdhsa_user_sgpr_dispatch_ptr 0
		.amdhsa_user_sgpr_queue_ptr 0
		.amdhsa_user_sgpr_kernarg_segment_ptr 1
		.amdhsa_user_sgpr_dispatch_id 0
		.amdhsa_user_sgpr_flat_scratch_init 0
		.amdhsa_user_sgpr_kernarg_preload_length 0
		.amdhsa_user_sgpr_kernarg_preload_offset 0
		.amdhsa_user_sgpr_private_segment_size 0
		.amdhsa_uses_dynamic_stack 0
		.amdhsa_system_sgpr_private_segment_wavefront_offset 0
		.amdhsa_system_sgpr_workgroup_id_x 1
		.amdhsa_system_sgpr_workgroup_id_y 0
		.amdhsa_system_sgpr_workgroup_id_z 0
		.amdhsa_system_sgpr_workgroup_info 0
		.amdhsa_system_vgpr_workitem_id 1
		.amdhsa_next_free_vgpr 28
		.amdhsa_next_free_sgpr 26
		.amdhsa_accum_offset 28
		.amdhsa_reserve_vcc 1
		.amdhsa_reserve_flat_scratch 0
		.amdhsa_float_round_mode_32 0
		.amdhsa_float_round_mode_16_64 0
		.amdhsa_float_denorm_mode_32 3
		.amdhsa_float_denorm_mode_16_64 3
		.amdhsa_dx10_clamp 1
		.amdhsa_ieee_mode 1
		.amdhsa_fp16_overflow 0
		.amdhsa_tg_split 0
		.amdhsa_exception_fp_ieee_invalid_op 0
		.amdhsa_exception_fp_denorm_src 0
		.amdhsa_exception_fp_ieee_div_zero 0
		.amdhsa_exception_fp_ieee_overflow 0
		.amdhsa_exception_fp_ieee_underflow 0
		.amdhsa_exception_fp_ieee_inexact 0
		.amdhsa_exception_int_div_zero 0
	.end_amdhsa_kernel
	.section	.text._ZN4vllm3moe10topkGatingILi4ELi64ELi4ELi16ELi64EifLNS0_11ScoringFuncE1EEEvPKT5_PKbPfiPT4_PiiiibPKf,"axG",@progbits,_ZN4vllm3moe10topkGatingILi4ELi64ELi4ELi16ELi64EifLNS0_11ScoringFuncE1EEEvPKT5_PKbPfiPT4_PiiiibPKf,comdat
.Lfunc_end200:
	.size	_ZN4vllm3moe10topkGatingILi4ELi64ELi4ELi16ELi64EifLNS0_11ScoringFuncE1EEEvPKT5_PKbPfiPT4_PiiiibPKf, .Lfunc_end200-_ZN4vllm3moe10topkGatingILi4ELi64ELi4ELi16ELi64EifLNS0_11ScoringFuncE1EEEvPKT5_PKbPfiPT4_PiiiibPKf
                                        ; -- End function
	.section	.AMDGPU.csdata,"",@progbits
; Kernel info:
; codeLenInByte = 2348
; NumSgprs: 30
; NumVgprs: 28
; NumAgprs: 0
; TotalNumVgprs: 28
; ScratchSize: 0
; MemoryBound: 0
; FloatMode: 240
; IeeeMode: 1
; LDSByteSize: 0 bytes/workgroup (compile time only)
; SGPRBlocks: 3
; VGPRBlocks: 3
; NumSGPRsForWavesPerEU: 30
; NumVGPRsForWavesPerEU: 28
; AccumOffset: 28
; Occupancy: 8
; WaveLimiterHint : 0
; COMPUTE_PGM_RSRC2:SCRATCH_EN: 0
; COMPUTE_PGM_RSRC2:USER_SGPR: 6
; COMPUTE_PGM_RSRC2:TRAP_HANDLER: 0
; COMPUTE_PGM_RSRC2:TGID_X_EN: 1
; COMPUTE_PGM_RSRC2:TGID_Y_EN: 0
; COMPUTE_PGM_RSRC2:TGID_Z_EN: 0
; COMPUTE_PGM_RSRC2:TIDIG_COMP_CNT: 1
; COMPUTE_PGM_RSRC3_GFX90A:ACCUM_OFFSET: 6
; COMPUTE_PGM_RSRC3_GFX90A:TG_SPLIT: 0
	.section	.text._ZN4vllm3moe10topkGatingILi4ELi64ELi4ELi16ELi32EifLNS0_11ScoringFuncE1EEEvPKT5_PKbPfiPT4_PiiiibPKf,"axG",@progbits,_ZN4vllm3moe10topkGatingILi4ELi64ELi4ELi16ELi32EifLNS0_11ScoringFuncE1EEEvPKT5_PKbPfiPT4_PiiiibPKf,comdat
	.protected	_ZN4vllm3moe10topkGatingILi4ELi64ELi4ELi16ELi32EifLNS0_11ScoringFuncE1EEEvPKT5_PKbPfiPT4_PiiiibPKf ; -- Begin function _ZN4vllm3moe10topkGatingILi4ELi64ELi4ELi16ELi32EifLNS0_11ScoringFuncE1EEEvPKT5_PKbPfiPT4_PiiiibPKf
	.globl	_ZN4vllm3moe10topkGatingILi4ELi64ELi4ELi16ELi32EifLNS0_11ScoringFuncE1EEEvPKT5_PKbPfiPT4_PiiiibPKf
	.p2align	8
	.type	_ZN4vllm3moe10topkGatingILi4ELi64ELi4ELi16ELi32EifLNS0_11ScoringFuncE1EEEvPKT5_PKbPfiPT4_PiiiibPKf,@function
_ZN4vllm3moe10topkGatingILi4ELi64ELi4ELi16ELi32EifLNS0_11ScoringFuncE1EEEvPKT5_PKbPfiPT4_PiiiibPKf: ; @_ZN4vllm3moe10topkGatingILi4ELi64ELi4ELi16ELi32EifLNS0_11ScoringFuncE1EEEvPKT5_PKbPfiPT4_PiiiibPKf
; %bb.0:
	s_load_dword s24, s[4:5], 0x18
	v_bfe_u32 v1, v0, 10, 10
	v_and_b32_e32 v0, 0x3ff, v0
	s_lshl_b32 s0, s6, 3
	v_lshlrev_b32_e32 v1, 1, v1
	v_lshrrev_b32_e32 v2, 4, v0
	v_add3_u32 v8, s0, v1, v2
	s_waitcnt lgkmcnt(0)
	v_cmp_gt_i32_e32 vcc, s24, v8
	s_and_saveexec_b64 s[0:1], vcc
	s_cbranch_execz .LBB201_42
; %bb.1:
	s_load_dwordx4 s[0:3], s[4:5], 0x0
	s_load_dwordx2 s[16:17], s[4:5], 0x10
	s_mov_b64 s[8:9], -1
	s_mov_b64 s[18:19], -1
	s_waitcnt lgkmcnt(0)
	s_cmp_eq_u64 s[2:3], 0
	s_cbranch_scc1 .LBB201_3
; %bb.2:
	v_ashrrev_i32_e32 v1, 31, v8
	v_mov_b32_e32 v3, s3
	v_add_co_u32_e32 v2, vcc, s2, v8
	v_addc_co_u32_e32 v3, vcc, v3, v1, vcc
	global_load_ubyte v1, v[2:3], off
	s_waitcnt vmcnt(0)
	v_and_b32_e32 v1, 1, v1
	v_cmp_eq_u32_e32 vcc, 1, v1
	s_xor_b64 s[2:3], vcc, -1
	s_orn2_b64 s[18:19], s[2:3], exec
.LBB201_3:
	v_lshlrev_b32_e32 v2, 6, v8
	v_ashrrev_i32_e32 v3, 31, v2
	v_lshlrev_b64 v[2:3], 2, v[2:3]
	v_mov_b32_e32 v1, s1
	v_add_co_u32_e32 v2, vcc, s0, v2
	v_and_b32_e32 v9, 15, v0
	v_addc_co_u32_e32 v1, vcc, v1, v3, vcc
	v_lshlrev_b32_e32 v0, 4, v9
	v_add_co_u32_e32 v0, vcc, v2, v0
	v_addc_co_u32_e32 v1, vcc, 0, v1, vcc
	global_load_dwordx4 v[0:3], v[0:1], off
	v_mov_b32_e32 v4, 0x207
	s_load_dwordx2 s[10:11], s[4:5], 0x40
	v_lshlrev_b32_e32 v10, 2, v9
	s_waitcnt lgkmcnt(0)
	s_cmp_eq_u64 s[10:11], 0
	s_waitcnt vmcnt(0)
	v_mul_f32_e32 v0, 0xbfb8aa3b, v0
	v_mul_f32_e32 v1, 0xbfb8aa3b, v1
	v_exp_f32_e32 v0, v0
	v_exp_f32_e32 v1, v1
	v_mul_f32_e32 v2, 0xbfb8aa3b, v2
	v_mul_f32_e32 v3, 0xbfb8aa3b, v3
	v_exp_f32_e32 v2, v2
	v_exp_f32_e32 v3, v3
	v_pk_add_f32 v[0:1], v[0:1], 1.0 op_sel_hi:[1,0]
	v_div_scale_f32 v5, s[0:1], v1, v1, 1.0
	v_rcp_f32_e32 v16, v5
	v_div_scale_f32 v7, s[0:1], v0, v0, 1.0
	v_pk_add_f32 v[2:3], v[2:3], 1.0 op_sel_hi:[1,0]
	v_rcp_f32_e32 v17, v7
	v_div_scale_f32 v12, s[2:3], v3, v3, 1.0
	v_rcp_f32_e32 v18, v12
	v_fma_f32 v20, -v5, v16, 1.0
	v_div_scale_f32 v6, vcc, 1.0, v1, 1.0
	v_div_scale_f32 v14, s[6:7], v2, v2, 1.0
	v_fmac_f32_e32 v16, v20, v16
	v_rcp_f32_e32 v19, v14
	v_fma_f32 v21, -v7, v17, 1.0
	v_mul_f32_e32 v20, v6, v16
	v_div_scale_f32 v11, s[0:1], 1.0, v0, 1.0
	v_fmac_f32_e32 v17, v21, v17
	v_fma_f32 v24, -v5, v20, v6
	v_fma_f32 v22, -v12, v18, 1.0
	v_mul_f32_e32 v21, v11, v17
	v_fmac_f32_e32 v20, v24, v16
	v_div_scale_f32 v13, s[2:3], 1.0, v3, 1.0
	v_fmac_f32_e32 v18, v22, v18
	v_fma_f32 v25, -v7, v21, v11
	v_fma_f32 v5, -v5, v20, v6
	v_fma_f32 v23, -v14, v19, 1.0
	v_mul_f32_e32 v22, v13, v18
	v_fmac_f32_e32 v21, v25, v17
	v_div_fmas_f32 v5, v5, v16, v20
	v_div_scale_f32 v15, s[6:7], 1.0, v2, 1.0
	v_fmac_f32_e32 v19, v23, v19
	v_fma_f32 v26, -v12, v22, v13
	v_fma_f32 v6, -v7, v21, v11
	v_div_fixup_f32 v1, v5, v1, 1.0
	s_mov_b64 vcc, s[0:1]
	v_mul_f32_e32 v23, v15, v19
	v_fmac_f32_e32 v22, v26, v18
	v_div_fmas_f32 v5, v6, v17, v21
	v_cmp_class_f32_e32 vcc, v1, v4
	v_fma_f32 v27, -v14, v23, v15
	v_fma_f32 v7, -v12, v22, v13
	v_div_fixup_f32 v0, v5, v0, 1.0
	v_cndmask_b32_e64 v1, v1, 0, vcc
	s_mov_b64 vcc, s[2:3]
	v_fmac_f32_e32 v23, v27, v19
	v_div_fmas_f32 v5, v7, v18, v22
	v_cmp_class_f32_e32 vcc, v0, v4
	v_fma_f32 v11, -v14, v23, v15
	v_cndmask_b32_e64 v0, v0, 0, vcc
	s_mov_b64 vcc, s[6:7]
	v_div_fixup_f32 v3, v5, v3, 1.0
	v_div_fmas_f32 v5, v11, v19, v23
	v_div_fixup_f32 v2, v5, v2, 1.0
	v_cmp_class_f32_e32 vcc, v3, v4
	v_cndmask_b32_e64 v3, v3, 0, vcc
	v_cmp_class_f32_e32 vcc, v2, v4
	v_cndmask_b32_e64 v2, v2, 0, vcc
	s_cbranch_scc1 .LBB201_31
; %bb.4:
	v_lshlrev_b32_e32 v4, 2, v10
	global_load_dwordx4 v[4:7], v4, s[10:11]
	s_waitcnt vmcnt(0)
	v_pk_add_f32 v[4:5], v[4:5], v[0:1]
	v_pk_add_f32 v[6:7], v[6:7], v[2:3]
	s_cbranch_execnz .LBB201_6
.LBB201_5:
	v_pk_mov_b32 v[6:7], v[2:3], v[2:3] op_sel:[0,1]
	v_pk_mov_b32 v[4:5], v[0:1], v[0:1] op_sel:[0,1]
.LBB201_6:
	s_load_dwordx4 s[8:11], s[4:5], 0x30
	s_mov_b32 s25, 0
	v_cmp_eq_u32_e64 s[0:1], 0, v9
	s_waitcnt lgkmcnt(0)
	s_bitcmp1_b32 s11, 0
	s_cselect_b64 vcc, -1, 0
	s_cmp_gt_i32 s8, 0
	s_cselect_b64 s[6:7], -1, 0
	s_cmp_lt_i32 s8, 1
	s_cbranch_scc1 .LBB201_32
; %bb.7:
	v_mbcnt_lo_u32_b32 v11, -1, 0
	v_mbcnt_hi_u32_b32 v11, -1, v11
	v_and_b32_e32 v12, 0x70, v11
	v_add_u32_e32 v16, 16, v12
	v_xor_b32_e32 v13, 8, v11
	v_cmp_lt_i32_e64 s[2:3], v13, v16
	v_xor_b32_e32 v14, 4, v11
	s_load_dwordx4 s[12:15], s[4:5], 0x20
	v_cndmask_b32_e64 v13, v11, v13, s[2:3]
	v_cmp_lt_i32_e64 s[2:3], v14, v16
	v_xor_b32_e32 v15, 2, v11
	v_cndmask_b32_e64 v14, v11, v14, s[2:3]
	v_cmp_lt_i32_e64 s[2:3], v15, v16
	v_xor_b32_e32 v17, 1, v11
	v_cndmask_b32_e64 v15, v11, v15, s[2:3]
	v_cmp_lt_i32_e64 s[2:3], v17, v16
	v_cndmask_b32_e64 v11, v11, v17, s[2:3]
	v_mul_lo_u32 v12, v8, s8
	v_lshlrev_b32_e32 v13, 2, v13
	v_lshlrev_b32_e32 v14, 2, v14
	;; [unrolled: 1-line block ×4, first 2 shown]
	v_mov_b32_e32 v11, 0
	v_mov_b32_e32 v17, 0xc61c4000
	;; [unrolled: 1-line block ×3, first 2 shown]
	s_branch .LBB201_10
.LBB201_8:                              ;   in Loop: Header=BB201_10 Depth=1
	s_or_b64 exec, exec, s[4:5]
.LBB201_9:                              ;   in Loop: Header=BB201_10 Depth=1
	s_cmp_eq_u32 s8, s25
	v_add_u32_e32 v18, s24, v18
	s_cbranch_scc1 .LBB201_33
.LBB201_10:                             ; =>This Inner Loop Header: Depth=1
	v_cmp_gt_f32_e64 s[2:3], v5, v4
	v_cndmask_b32_e64 v21, v4, v5, s[2:3]
	v_cndmask_b32_e64 v19, 0, 1, s[2:3]
	;; [unrolled: 1-line block ×3, first 2 shown]
	v_cmp_gt_f32_e64 s[2:3], v6, v21
	v_cndmask_b32_e64 v21, v21, v6, s[2:3]
	v_cndmask_b32_e64 v19, v19, 2, s[2:3]
	;; [unrolled: 1-line block ×3, first 2 shown]
	v_cmp_gt_f32_e64 s[2:3], v7, v21
	v_cndmask_b32_e64 v19, v19, 3, s[2:3]
	v_cndmask_b32_e64 v21, v21, v7, s[2:3]
	v_or_b32_e32 v19, v10, v19
	v_cndmask_b32_e64 v20, v20, v3, s[2:3]
	s_waitcnt lgkmcnt(0)
	ds_bpermute_b32 v22, v13, v21
	ds_bpermute_b32 v24, v13, v20
	;; [unrolled: 1-line block ×3, first 2 shown]
	s_waitcnt lgkmcnt(0)
	v_cmp_lt_f32_e64 s[20:21], v21, v22
	v_cmp_nlt_f32_e64 s[2:3], v21, v22
	s_and_saveexec_b64 s[22:23], s[2:3]
; %bb.11:                               ;   in Loop: Header=BB201_10 Depth=1
	v_cmp_eq_f32_e64 s[2:3], v21, v22
	v_cmp_lt_i32_e64 s[4:5], v23, v19
	s_and_b64 s[2:3], s[2:3], s[4:5]
	s_andn2_b64 s[4:5], s[20:21], exec
	s_and_b64 s[2:3], s[2:3], exec
	s_or_b64 s[20:21], s[4:5], s[2:3]
; %bb.12:                               ;   in Loop: Header=BB201_10 Depth=1
	s_or_b64 exec, exec, s[22:23]
	s_and_saveexec_b64 s[2:3], s[20:21]
; %bb.13:                               ;   in Loop: Header=BB201_10 Depth=1
	v_mov_b32_e32 v20, v24
	v_mov_b32_e32 v21, v22
	;; [unrolled: 1-line block ×3, first 2 shown]
; %bb.14:                               ;   in Loop: Header=BB201_10 Depth=1
	s_or_b64 exec, exec, s[2:3]
	ds_bpermute_b32 v22, v14, v21
	ds_bpermute_b32 v24, v14, v20
	;; [unrolled: 1-line block ×3, first 2 shown]
	s_waitcnt lgkmcnt(2)
	v_cmp_lt_f32_e64 s[20:21], v21, v22
	v_cmp_nlt_f32_e64 s[2:3], v21, v22
	s_and_saveexec_b64 s[22:23], s[2:3]
	s_cbranch_execz .LBB201_16
; %bb.15:                               ;   in Loop: Header=BB201_10 Depth=1
	v_cmp_eq_f32_e64 s[2:3], v21, v22
	s_waitcnt lgkmcnt(0)
	v_cmp_lt_i32_e64 s[4:5], v23, v19
	s_and_b64 s[2:3], s[2:3], s[4:5]
	s_andn2_b64 s[4:5], s[20:21], exec
	s_and_b64 s[2:3], s[2:3], exec
	s_or_b64 s[20:21], s[4:5], s[2:3]
.LBB201_16:                             ;   in Loop: Header=BB201_10 Depth=1
	s_or_b64 exec, exec, s[22:23]
	s_and_saveexec_b64 s[2:3], s[20:21]
	s_cbranch_execz .LBB201_18
; %bb.17:                               ;   in Loop: Header=BB201_10 Depth=1
	s_waitcnt lgkmcnt(1)
	v_mov_b32_e32 v20, v24
	v_mov_b32_e32 v21, v22
	s_waitcnt lgkmcnt(0)
	v_mov_b32_e32 v19, v23
.LBB201_18:                             ;   in Loop: Header=BB201_10 Depth=1
	s_or_b64 exec, exec, s[2:3]
	ds_bpermute_b32 v22, v15, v21
	s_waitcnt lgkmcnt(2)
	ds_bpermute_b32 v24, v15, v20
	s_waitcnt lgkmcnt(2)
	;; [unrolled: 2-line block ×3, first 2 shown]
	v_cmp_lt_f32_e64 s[20:21], v21, v22
	v_cmp_nlt_f32_e64 s[2:3], v21, v22
	s_and_saveexec_b64 s[22:23], s[2:3]
	s_cbranch_execz .LBB201_20
; %bb.19:                               ;   in Loop: Header=BB201_10 Depth=1
	v_cmp_eq_f32_e64 s[2:3], v21, v22
	s_waitcnt lgkmcnt(0)
	v_cmp_lt_i32_e64 s[4:5], v23, v19
	s_and_b64 s[2:3], s[2:3], s[4:5]
	s_andn2_b64 s[4:5], s[20:21], exec
	s_and_b64 s[2:3], s[2:3], exec
	s_or_b64 s[20:21], s[4:5], s[2:3]
.LBB201_20:                             ;   in Loop: Header=BB201_10 Depth=1
	s_or_b64 exec, exec, s[22:23]
	s_and_saveexec_b64 s[2:3], s[20:21]
	s_cbranch_execz .LBB201_22
; %bb.21:                               ;   in Loop: Header=BB201_10 Depth=1
	s_waitcnt lgkmcnt(1)
	v_mov_b32_e32 v20, v24
	v_mov_b32_e32 v21, v22
	s_waitcnt lgkmcnt(0)
	v_mov_b32_e32 v19, v23
.LBB201_22:                             ;   in Loop: Header=BB201_10 Depth=1
	s_or_b64 exec, exec, s[2:3]
	s_waitcnt lgkmcnt(1)
	ds_bpermute_b32 v24, v16, v21
	ds_bpermute_b32 v22, v16, v20
	s_waitcnt lgkmcnt(2)
	ds_bpermute_b32 v23, v16, v19
	s_waitcnt lgkmcnt(2)
	v_cmp_lt_f32_e64 s[20:21], v21, v24
	v_cmp_nlt_f32_e64 s[2:3], v21, v24
	s_and_saveexec_b64 s[22:23], s[2:3]
	s_cbranch_execnz .LBB201_26
; %bb.23:                               ;   in Loop: Header=BB201_10 Depth=1
	s_or_b64 exec, exec, s[22:23]
	s_and_saveexec_b64 s[2:3], s[20:21]
	s_cbranch_execnz .LBB201_27
.LBB201_24:                             ;   in Loop: Header=BB201_10 Depth=1
	s_or_b64 exec, exec, s[2:3]
	s_and_saveexec_b64 s[20:21], s[0:1]
	s_cbranch_execnz .LBB201_28
.LBB201_25:                             ;   in Loop: Header=BB201_10 Depth=1
	s_or_b64 exec, exec, s[20:21]
	s_add_i32 s25, s25, 1
	s_cmp_ge_i32 s25, s8
	s_cbranch_scc1 .LBB201_9
	s_branch .LBB201_29
.LBB201_26:                             ;   in Loop: Header=BB201_10 Depth=1
	v_cmp_eq_f32_e64 s[2:3], v21, v24
	s_waitcnt lgkmcnt(0)
	v_cmp_lt_i32_e64 s[4:5], v23, v19
	s_and_b64 s[2:3], s[2:3], s[4:5]
	s_andn2_b64 s[4:5], s[20:21], exec
	s_and_b64 s[2:3], s[2:3], exec
	s_or_b64 s[20:21], s[4:5], s[2:3]
	s_or_b64 exec, exec, s[22:23]
	s_and_saveexec_b64 s[2:3], s[20:21]
	s_cbranch_execz .LBB201_24
.LBB201_27:                             ;   in Loop: Header=BB201_10 Depth=1
	s_waitcnt lgkmcnt(0)
	v_mov_b32_e32 v19, v23
	v_mov_b32_e32 v20, v22
	s_or_b64 exec, exec, s[2:3]
	s_and_saveexec_b64 s[20:21], s[0:1]
	s_cbranch_execz .LBB201_25
.LBB201_28:                             ;   in Loop: Header=BB201_10 Depth=1
	s_waitcnt lgkmcnt(1)
	v_add_u32_e32 v22, s25, v12
	s_waitcnt lgkmcnt(0)
	v_ashrrev_i32_e32 v23, 31, v22
	v_cmp_le_i32_e64 s[2:3], s9, v19
	v_cmp_gt_i32_e64 s[4:5], s10, v19
	v_lshlrev_b64 v[22:23], 2, v[22:23]
	s_and_b64 s[4:5], s[2:3], s[4:5]
	v_mov_b32_e32 v21, s17
	v_add_co_u32_e64 v24, s[2:3], s16, v22
	v_addc_co_u32_e64 v25, s[2:3], v21, v23, s[2:3]
	v_subrev_u32_e32 v21, s9, v19
	s_and_b64 s[2:3], s[18:19], s[4:5]
	global_store_dword v[24:25], v20, off
	v_cndmask_b32_e64 v21, 64, v21, s[2:3]
	v_mov_b32_e32 v25, s13
	v_add_co_u32_e64 v24, s[2:3], s12, v22
	v_addc_co_u32_e64 v25, s[2:3], v25, v23, s[2:3]
	global_store_dword v[24:25], v21, off
	v_mov_b32_e32 v21, s15
	v_add_co_u32_e64 v22, s[2:3], s14, v22
	v_add_f32_e32 v20, v11, v20
	v_addc_co_u32_e64 v23, s[2:3], v21, v23, s[2:3]
	v_cndmask_b32_e32 v11, v11, v20, vcc
	global_store_dword v[22:23], v18, off
	s_or_b64 exec, exec, s[20:21]
	s_add_i32 s25, s25, 1
	s_cmp_ge_i32 s25, s8
	s_cbranch_scc1 .LBB201_9
.LBB201_29:                             ;   in Loop: Header=BB201_10 Depth=1
	v_ashrrev_i32_e32 v21, 31, v19
	v_lshrrev_b32_e32 v20, 30, v21
	s_waitcnt lgkmcnt(1)
	v_add_u32_e32 v22, v19, v20
	v_ashrrev_i32_e32 v20, 2, v22
	v_ashrrev_i32_e32 v22, 31, v22
	v_lshrrev_b32_e32 v22, 28, v22
	v_add_u32_e32 v22, v20, v22
	v_and_b32_e32 v22, -16, v22
	v_sub_u32_e32 v22, v20, v22
	v_cmp_eq_u32_e64 s[2:3], v9, v22
	s_and_saveexec_b64 s[4:5], s[2:3]
	s_cbranch_execz .LBB201_8
; %bb.30:                               ;   in Loop: Header=BB201_10 Depth=1
	v_lshrrev_b32_e32 v21, 26, v21
	v_add_u32_e32 v21, v19, v21
	v_lshlrev_b32_e32 v20, 2, v20
	v_ashrrev_i32_e32 v21, 6, v21
	v_sub_u32_e32 v19, v19, v20
	v_lshl_add_u32 v19, v21, 2, v19
	v_cmp_ne_u32_e64 s[2:3], 3, v19
	v_cndmask_b32_e64 v7, v17, v7, s[2:3]
	v_cmp_ne_u32_e64 s[2:3], 2, v19
	v_cndmask_b32_e64 v6, v17, v6, s[2:3]
	v_cmp_ne_u32_e64 s[2:3], 1, v19
	v_cndmask_b32_e64 v5, v17, v5, s[2:3]
	v_cmp_ne_u32_e64 s[2:3], 0, v19
	v_cndmask_b32_e64 v4, v17, v4, s[2:3]
	s_branch .LBB201_8
.LBB201_31:
                                        ; implicit-def: $vgpr4_vgpr5_vgpr6_vgpr7
	s_andn2_b64 vcc, exec, s[8:9]
	s_cbranch_vccz .LBB201_5
	s_branch .LBB201_6
.LBB201_32:
	v_mov_b32_e32 v11, 0
.LBB201_33:
	v_cmp_eq_u32_e64 s[0:1], 0, v9
	s_and_b64 s[0:1], s[0:1], vcc
	s_and_b64 exec, exec, s[0:1]
	s_cbranch_execz .LBB201_42
; %bb.34:
	s_andn2_b64 vcc, exec, s[6:7]
	s_cbranch_vccnz .LBB201_42
; %bb.35:
	v_cmp_lt_f32_e32 vcc, 0, v11
	s_mov_b32 s2, 0
	v_cndmask_b32_e32 v0, 1.0, v11, vcc
	v_mul_lo_u32 v4, v8, s8
	s_cmp_eq_u32 s8, 1
	s_mov_b64 s[0:1], -1
	s_cbranch_scc1 .LBB201_39
; %bb.36:
	s_and_b32 s2, s8, 0x7ffffffe
	v_mov_b32_e32 v1, v0
	v_mov_b32_e32 v5, s17
	s_mov_b32 s3, s2
	v_mov_b32_e32 v2, v4
.LBB201_37:                             ; =>This Inner Loop Header: Depth=1
	v_ashrrev_i32_e32 v3, 31, v2
	v_lshlrev_b64 v[6:7], 2, v[2:3]
	v_add_co_u32_e32 v6, vcc, s16, v6
	v_addc_co_u32_e32 v7, vcc, v5, v7, vcc
	global_load_dwordx2 v[8:9], v[6:7], off
	s_add_i32 s3, s3, -2
	s_cmp_lg_u32 s3, 0
	v_add_u32_e32 v2, 2, v2
	s_waitcnt vmcnt(0)
	v_div_scale_f32 v3, s[0:1], v1, v1, v9
	v_div_scale_f32 v11, s[0:1], v0, v0, v8
	v_rcp_f32_e32 v12, v3
	v_rcp_f32_e32 v13, v11
	v_div_scale_f32 v10, vcc, v9, v1, v9
	v_fma_f32 v15, -v3, v12, 1.0
	v_fma_f32 v16, -v11, v13, 1.0
	v_fmac_f32_e32 v12, v15, v12
	v_div_scale_f32 v14, s[0:1], v8, v0, v8
	v_fmac_f32_e32 v13, v16, v13
	v_mul_f32_e32 v15, v10, v12
	v_mul_f32_e32 v16, v14, v13
	v_fma_f32 v17, -v3, v15, v10
	v_fma_f32 v18, -v11, v16, v14
	v_fmac_f32_e32 v15, v17, v12
	v_fmac_f32_e32 v16, v18, v13
	v_fma_f32 v3, -v3, v15, v10
	v_fma_f32 v10, -v11, v16, v14
	v_div_fmas_f32 v3, v3, v12, v15
	s_mov_b64 vcc, s[0:1]
	v_div_fixup_f32 v9, v3, v1, v9
	v_div_fmas_f32 v3, v10, v13, v16
	v_div_fixup_f32 v8, v3, v0, v8
	global_store_dwordx2 v[6:7], v[8:9], off
	s_cbranch_scc1 .LBB201_37
; %bb.38:
	s_cmp_lg_u32 s2, s8
	s_cselect_b64 s[0:1], -1, 0
.LBB201_39:
	s_and_b64 vcc, exec, s[0:1]
	s_cbranch_vccz .LBB201_42
; %bb.40:
	v_ashrrev_i32_e32 v1, 31, v4
	v_add_co_u32_e32 v2, vcc, s2, v4
	v_addc_co_u32_e32 v3, vcc, 0, v1, vcc
	v_lshlrev_b64 v[2:3], 2, v[2:3]
	v_mov_b32_e32 v1, s17
	v_add_co_u32_e32 v2, vcc, s16, v2
	s_sub_i32 s0, s8, s2
	v_addc_co_u32_e32 v3, vcc, v1, v3, vcc
.LBB201_41:                             ; =>This Inner Loop Header: Depth=1
	global_load_dword v1, v[2:3], off
	s_add_i32 s0, s0, -1
	s_cmp_lg_u32 s0, 0
	s_waitcnt vmcnt(0)
	v_div_scale_f32 v4, s[2:3], v0, v0, v1
	v_rcp_f32_e32 v5, v4
	v_div_scale_f32 v6, vcc, v1, v0, v1
	v_fma_f32 v7, -v4, v5, 1.0
	v_fmac_f32_e32 v5, v7, v5
	v_mul_f32_e32 v7, v6, v5
	v_fma_f32 v8, -v4, v7, v6
	v_fmac_f32_e32 v7, v8, v5
	v_fma_f32 v4, -v4, v7, v6
	v_div_fmas_f32 v4, v4, v5, v7
	v_div_fixup_f32 v1, v4, v0, v1
	global_store_dword v[2:3], v1, off
	v_add_co_u32_e32 v2, vcc, 4, v2
	v_addc_co_u32_e32 v3, vcc, 0, v3, vcc
	s_cbranch_scc1 .LBB201_41
.LBB201_42:
	s_endpgm
	.section	.rodata,"a",@progbits
	.p2align	6, 0x0
	.amdhsa_kernel _ZN4vllm3moe10topkGatingILi4ELi64ELi4ELi16ELi32EifLNS0_11ScoringFuncE1EEEvPKT5_PKbPfiPT4_PiiiibPKf
		.amdhsa_group_segment_fixed_size 0
		.amdhsa_private_segment_fixed_size 0
		.amdhsa_kernarg_size 72
		.amdhsa_user_sgpr_count 6
		.amdhsa_user_sgpr_private_segment_buffer 1
		.amdhsa_user_sgpr_dispatch_ptr 0
		.amdhsa_user_sgpr_queue_ptr 0
		.amdhsa_user_sgpr_kernarg_segment_ptr 1
		.amdhsa_user_sgpr_dispatch_id 0
		.amdhsa_user_sgpr_flat_scratch_init 0
		.amdhsa_user_sgpr_kernarg_preload_length 0
		.amdhsa_user_sgpr_kernarg_preload_offset 0
		.amdhsa_user_sgpr_private_segment_size 0
		.amdhsa_uses_dynamic_stack 0
		.amdhsa_system_sgpr_private_segment_wavefront_offset 0
		.amdhsa_system_sgpr_workgroup_id_x 1
		.amdhsa_system_sgpr_workgroup_id_y 0
		.amdhsa_system_sgpr_workgroup_id_z 0
		.amdhsa_system_sgpr_workgroup_info 0
		.amdhsa_system_vgpr_workitem_id 1
		.amdhsa_next_free_vgpr 28
		.amdhsa_next_free_sgpr 26
		.amdhsa_accum_offset 28
		.amdhsa_reserve_vcc 1
		.amdhsa_reserve_flat_scratch 0
		.amdhsa_float_round_mode_32 0
		.amdhsa_float_round_mode_16_64 0
		.amdhsa_float_denorm_mode_32 3
		.amdhsa_float_denorm_mode_16_64 3
		.amdhsa_dx10_clamp 1
		.amdhsa_ieee_mode 1
		.amdhsa_fp16_overflow 0
		.amdhsa_tg_split 0
		.amdhsa_exception_fp_ieee_invalid_op 0
		.amdhsa_exception_fp_denorm_src 0
		.amdhsa_exception_fp_ieee_div_zero 0
		.amdhsa_exception_fp_ieee_overflow 0
		.amdhsa_exception_fp_ieee_underflow 0
		.amdhsa_exception_fp_ieee_inexact 0
		.amdhsa_exception_int_div_zero 0
	.end_amdhsa_kernel
	.section	.text._ZN4vllm3moe10topkGatingILi4ELi64ELi4ELi16ELi32EifLNS0_11ScoringFuncE1EEEvPKT5_PKbPfiPT4_PiiiibPKf,"axG",@progbits,_ZN4vllm3moe10topkGatingILi4ELi64ELi4ELi16ELi32EifLNS0_11ScoringFuncE1EEEvPKT5_PKbPfiPT4_PiiiibPKf,comdat
.Lfunc_end201:
	.size	_ZN4vllm3moe10topkGatingILi4ELi64ELi4ELi16ELi32EifLNS0_11ScoringFuncE1EEEvPKT5_PKbPfiPT4_PiiiibPKf, .Lfunc_end201-_ZN4vllm3moe10topkGatingILi4ELi64ELi4ELi16ELi32EifLNS0_11ScoringFuncE1EEEvPKT5_PKbPfiPT4_PiiiibPKf
                                        ; -- End function
	.section	.AMDGPU.csdata,"",@progbits
; Kernel info:
; codeLenInByte = 2348
; NumSgprs: 30
; NumVgprs: 28
; NumAgprs: 0
; TotalNumVgprs: 28
; ScratchSize: 0
; MemoryBound: 0
; FloatMode: 240
; IeeeMode: 1
; LDSByteSize: 0 bytes/workgroup (compile time only)
; SGPRBlocks: 3
; VGPRBlocks: 3
; NumSGPRsForWavesPerEU: 30
; NumVGPRsForWavesPerEU: 28
; AccumOffset: 28
; Occupancy: 8
; WaveLimiterHint : 0
; COMPUTE_PGM_RSRC2:SCRATCH_EN: 0
; COMPUTE_PGM_RSRC2:USER_SGPR: 6
; COMPUTE_PGM_RSRC2:TRAP_HANDLER: 0
; COMPUTE_PGM_RSRC2:TGID_X_EN: 1
; COMPUTE_PGM_RSRC2:TGID_Y_EN: 0
; COMPUTE_PGM_RSRC2:TGID_Z_EN: 0
; COMPUTE_PGM_RSRC2:TIDIG_COMP_CNT: 1
; COMPUTE_PGM_RSRC3_GFX90A:ACCUM_OFFSET: 6
; COMPUTE_PGM_RSRC3_GFX90A:TG_SPLIT: 0
	.section	.text._ZN4vllm3moe10topkGatingILi4ELi128ELi4ELi16ELi64EifLNS0_11ScoringFuncE1EEEvPKT5_PKbPfiPT4_PiiiibPKf,"axG",@progbits,_ZN4vllm3moe10topkGatingILi4ELi128ELi4ELi16ELi64EifLNS0_11ScoringFuncE1EEEvPKT5_PKbPfiPT4_PiiiibPKf,comdat
	.protected	_ZN4vllm3moe10topkGatingILi4ELi128ELi4ELi16ELi64EifLNS0_11ScoringFuncE1EEEvPKT5_PKbPfiPT4_PiiiibPKf ; -- Begin function _ZN4vllm3moe10topkGatingILi4ELi128ELi4ELi16ELi64EifLNS0_11ScoringFuncE1EEEvPKT5_PKbPfiPT4_PiiiibPKf
	.globl	_ZN4vllm3moe10topkGatingILi4ELi128ELi4ELi16ELi64EifLNS0_11ScoringFuncE1EEEvPKT5_PKbPfiPT4_PiiiibPKf
	.p2align	8
	.type	_ZN4vllm3moe10topkGatingILi4ELi128ELi4ELi16ELi64EifLNS0_11ScoringFuncE1EEEvPKT5_PKbPfiPT4_PiiiibPKf,@function
_ZN4vllm3moe10topkGatingILi4ELi128ELi4ELi16ELi64EifLNS0_11ScoringFuncE1EEEvPKT5_PKbPfiPT4_PiiiibPKf: ; @_ZN4vllm3moe10topkGatingILi4ELi128ELi4ELi16ELi64EifLNS0_11ScoringFuncE1EEEvPKT5_PKbPfiPT4_PiiiibPKf
; %bb.0:
	s_load_dword s24, s[4:5], 0x18
	v_bfe_u32 v1, v0, 10, 10
	v_and_b32_e32 v0, 0x3ff, v0
	s_lshl_b32 s0, s6, 3
	v_lshlrev_b32_e32 v1, 1, v1
	v_lshrrev_b32_e32 v2, 5, v0
	v_add3_u32 v8, s0, v1, v2
	s_waitcnt lgkmcnt(0)
	v_cmp_gt_i32_e32 vcc, s24, v8
	s_and_saveexec_b64 s[0:1], vcc
	s_cbranch_execz .LBB202_46
; %bb.1:
	s_load_dwordx4 s[0:3], s[4:5], 0x0
	s_load_dwordx2 s[16:17], s[4:5], 0x10
	s_mov_b64 s[8:9], -1
	s_mov_b64 s[18:19], -1
	s_waitcnt lgkmcnt(0)
	s_cmp_eq_u64 s[2:3], 0
	s_cbranch_scc1 .LBB202_3
; %bb.2:
	v_ashrrev_i32_e32 v1, 31, v8
	v_mov_b32_e32 v3, s3
	v_add_co_u32_e32 v2, vcc, s2, v8
	v_addc_co_u32_e32 v3, vcc, v3, v1, vcc
	global_load_ubyte v1, v[2:3], off
	s_waitcnt vmcnt(0)
	v_and_b32_e32 v1, 1, v1
	v_cmp_eq_u32_e32 vcc, 1, v1
	s_xor_b64 s[2:3], vcc, -1
	s_orn2_b64 s[18:19], s[2:3], exec
.LBB202_3:
	v_lshlrev_b32_e32 v2, 7, v8
	v_ashrrev_i32_e32 v3, 31, v2
	v_lshlrev_b64 v[2:3], 2, v[2:3]
	v_mov_b32_e32 v1, s1
	v_add_co_u32_e32 v2, vcc, s0, v2
	v_and_b32_e32 v9, 31, v0
	v_addc_co_u32_e32 v1, vcc, v1, v3, vcc
	v_lshlrev_b32_e32 v0, 4, v9
	v_add_co_u32_e32 v0, vcc, v2, v0
	v_addc_co_u32_e32 v1, vcc, 0, v1, vcc
	global_load_dwordx4 v[0:3], v[0:1], off
	v_mov_b32_e32 v4, 0x207
	s_load_dwordx2 s[10:11], s[4:5], 0x40
	v_lshlrev_b32_e32 v10, 2, v9
	s_waitcnt lgkmcnt(0)
	s_cmp_eq_u64 s[10:11], 0
	s_waitcnt vmcnt(0)
	v_mul_f32_e32 v0, 0xbfb8aa3b, v0
	v_mul_f32_e32 v1, 0xbfb8aa3b, v1
	v_exp_f32_e32 v0, v0
	v_exp_f32_e32 v1, v1
	v_mul_f32_e32 v2, 0xbfb8aa3b, v2
	v_mul_f32_e32 v3, 0xbfb8aa3b, v3
	v_exp_f32_e32 v2, v2
	v_exp_f32_e32 v3, v3
	v_pk_add_f32 v[0:1], v[0:1], 1.0 op_sel_hi:[1,0]
	v_div_scale_f32 v5, s[0:1], v1, v1, 1.0
	v_rcp_f32_e32 v16, v5
	v_div_scale_f32 v7, s[0:1], v0, v0, 1.0
	v_pk_add_f32 v[2:3], v[2:3], 1.0 op_sel_hi:[1,0]
	v_rcp_f32_e32 v17, v7
	v_div_scale_f32 v12, s[2:3], v3, v3, 1.0
	v_rcp_f32_e32 v18, v12
	v_fma_f32 v20, -v5, v16, 1.0
	v_div_scale_f32 v6, vcc, 1.0, v1, 1.0
	v_div_scale_f32 v14, s[6:7], v2, v2, 1.0
	v_fmac_f32_e32 v16, v20, v16
	v_rcp_f32_e32 v19, v14
	v_fma_f32 v21, -v7, v17, 1.0
	v_mul_f32_e32 v20, v6, v16
	v_div_scale_f32 v11, s[0:1], 1.0, v0, 1.0
	v_fmac_f32_e32 v17, v21, v17
	v_fma_f32 v24, -v5, v20, v6
	v_fma_f32 v22, -v12, v18, 1.0
	v_mul_f32_e32 v21, v11, v17
	v_fmac_f32_e32 v20, v24, v16
	v_div_scale_f32 v13, s[2:3], 1.0, v3, 1.0
	v_fmac_f32_e32 v18, v22, v18
	v_fma_f32 v25, -v7, v21, v11
	v_fma_f32 v5, -v5, v20, v6
	v_fma_f32 v23, -v14, v19, 1.0
	v_mul_f32_e32 v22, v13, v18
	v_fmac_f32_e32 v21, v25, v17
	v_div_fmas_f32 v5, v5, v16, v20
	v_div_scale_f32 v15, s[6:7], 1.0, v2, 1.0
	v_fmac_f32_e32 v19, v23, v19
	v_fma_f32 v26, -v12, v22, v13
	v_fma_f32 v6, -v7, v21, v11
	v_div_fixup_f32 v1, v5, v1, 1.0
	s_mov_b64 vcc, s[0:1]
	v_mul_f32_e32 v23, v15, v19
	v_fmac_f32_e32 v22, v26, v18
	v_div_fmas_f32 v5, v6, v17, v21
	v_cmp_class_f32_e32 vcc, v1, v4
	v_fma_f32 v27, -v14, v23, v15
	v_fma_f32 v7, -v12, v22, v13
	v_div_fixup_f32 v0, v5, v0, 1.0
	v_cndmask_b32_e64 v1, v1, 0, vcc
	s_mov_b64 vcc, s[2:3]
	v_fmac_f32_e32 v23, v27, v19
	v_div_fmas_f32 v5, v7, v18, v22
	v_cmp_class_f32_e32 vcc, v0, v4
	v_fma_f32 v11, -v14, v23, v15
	v_cndmask_b32_e64 v0, v0, 0, vcc
	s_mov_b64 vcc, s[6:7]
	v_div_fixup_f32 v3, v5, v3, 1.0
	v_div_fmas_f32 v5, v11, v19, v23
	v_div_fixup_f32 v2, v5, v2, 1.0
	v_cmp_class_f32_e32 vcc, v3, v4
	v_cndmask_b32_e64 v3, v3, 0, vcc
	v_cmp_class_f32_e32 vcc, v2, v4
	v_cndmask_b32_e64 v2, v2, 0, vcc
	s_cbranch_scc1 .LBB202_35
; %bb.4:
	v_lshlrev_b32_e32 v4, 2, v10
	global_load_dwordx4 v[4:7], v4, s[10:11]
	s_waitcnt vmcnt(0)
	v_pk_add_f32 v[4:5], v[4:5], v[0:1]
	v_pk_add_f32 v[6:7], v[6:7], v[2:3]
	s_cbranch_execnz .LBB202_6
.LBB202_5:
	v_pk_mov_b32 v[6:7], v[2:3], v[2:3] op_sel:[0,1]
	v_pk_mov_b32 v[4:5], v[0:1], v[0:1] op_sel:[0,1]
.LBB202_6:
	s_load_dwordx4 s[8:11], s[4:5], 0x30
	s_mov_b32 s25, 0
	v_cmp_eq_u32_e64 s[0:1], 0, v9
	s_waitcnt lgkmcnt(0)
	s_bitcmp1_b32 s11, 0
	s_cselect_b64 vcc, -1, 0
	s_cmp_gt_i32 s8, 0
	s_cselect_b64 s[6:7], -1, 0
	s_cmp_lt_i32 s8, 1
	s_cbranch_scc1 .LBB202_36
; %bb.7:
	v_mbcnt_lo_u32_b32 v11, -1, 0
	v_mbcnt_hi_u32_b32 v11, -1, v11
	v_and_b32_e32 v12, 0x60, v11
	v_add_u32_e32 v17, 32, v12
	v_xor_b32_e32 v13, 16, v11
	v_cmp_lt_i32_e64 s[2:3], v13, v17
	v_xor_b32_e32 v14, 8, v11
	v_cndmask_b32_e64 v13, v11, v13, s[2:3]
	v_cmp_lt_i32_e64 s[2:3], v14, v17
	v_xor_b32_e32 v15, 4, v11
	s_load_dwordx4 s[12:15], s[4:5], 0x20
	v_cndmask_b32_e64 v14, v11, v14, s[2:3]
	v_cmp_lt_i32_e64 s[2:3], v15, v17
	v_xor_b32_e32 v16, 2, v11
	v_cndmask_b32_e64 v15, v11, v15, s[2:3]
	v_cmp_lt_i32_e64 s[2:3], v16, v17
	v_xor_b32_e32 v18, 1, v11
	v_cndmask_b32_e64 v16, v11, v16, s[2:3]
	v_cmp_lt_i32_e64 s[2:3], v18, v17
	v_cndmask_b32_e64 v11, v11, v18, s[2:3]
	v_mul_lo_u32 v12, v8, s8
	v_lshlrev_b32_e32 v13, 2, v13
	v_lshlrev_b32_e32 v14, 2, v14
	;; [unrolled: 1-line block ×5, first 2 shown]
	v_mov_b32_e32 v11, 0
	v_mov_b32_e32 v18, 0x80
	;; [unrolled: 1-line block ×4, first 2 shown]
	s_branch .LBB202_10
.LBB202_8:                              ;   in Loop: Header=BB202_10 Depth=1
	s_or_b64 exec, exec, s[4:5]
.LBB202_9:                              ;   in Loop: Header=BB202_10 Depth=1
	s_cmp_eq_u32 s8, s25
	v_add_u32_e32 v20, s24, v20
	s_cbranch_scc1 .LBB202_37
.LBB202_10:                             ; =>This Inner Loop Header: Depth=1
	v_cmp_gt_f32_e64 s[2:3], v5, v4
	v_cndmask_b32_e64 v23, v4, v5, s[2:3]
	v_cndmask_b32_e64 v21, 0, 1, s[2:3]
	;; [unrolled: 1-line block ×3, first 2 shown]
	v_cmp_gt_f32_e64 s[2:3], v6, v23
	v_cndmask_b32_e64 v23, v23, v6, s[2:3]
	v_cndmask_b32_e64 v21, v21, 2, s[2:3]
	;; [unrolled: 1-line block ×3, first 2 shown]
	v_cmp_gt_f32_e64 s[2:3], v7, v23
	v_cndmask_b32_e64 v21, v21, 3, s[2:3]
	v_cndmask_b32_e64 v23, v23, v7, s[2:3]
	v_or_b32_e32 v21, v10, v21
	v_cndmask_b32_e64 v22, v22, v3, s[2:3]
	s_waitcnt lgkmcnt(0)
	ds_bpermute_b32 v24, v13, v23
	ds_bpermute_b32 v26, v13, v22
	;; [unrolled: 1-line block ×3, first 2 shown]
	s_waitcnt lgkmcnt(0)
	v_cmp_lt_f32_e64 s[20:21], v23, v24
	v_cmp_nlt_f32_e64 s[2:3], v23, v24
	s_and_saveexec_b64 s[22:23], s[2:3]
; %bb.11:                               ;   in Loop: Header=BB202_10 Depth=1
	v_cmp_eq_f32_e64 s[2:3], v23, v24
	v_cmp_lt_i32_e64 s[4:5], v25, v21
	s_and_b64 s[2:3], s[2:3], s[4:5]
	s_andn2_b64 s[4:5], s[20:21], exec
	s_and_b64 s[2:3], s[2:3], exec
	s_or_b64 s[20:21], s[4:5], s[2:3]
; %bb.12:                               ;   in Loop: Header=BB202_10 Depth=1
	s_or_b64 exec, exec, s[22:23]
	s_and_saveexec_b64 s[2:3], s[20:21]
; %bb.13:                               ;   in Loop: Header=BB202_10 Depth=1
	v_mov_b32_e32 v22, v26
	v_mov_b32_e32 v23, v24
	;; [unrolled: 1-line block ×3, first 2 shown]
; %bb.14:                               ;   in Loop: Header=BB202_10 Depth=1
	s_or_b64 exec, exec, s[2:3]
	ds_bpermute_b32 v24, v14, v23
	ds_bpermute_b32 v26, v14, v22
	;; [unrolled: 1-line block ×3, first 2 shown]
	s_waitcnt lgkmcnt(2)
	v_cmp_lt_f32_e64 s[20:21], v23, v24
	v_cmp_nlt_f32_e64 s[2:3], v23, v24
	s_and_saveexec_b64 s[22:23], s[2:3]
	s_cbranch_execz .LBB202_16
; %bb.15:                               ;   in Loop: Header=BB202_10 Depth=1
	v_cmp_eq_f32_e64 s[2:3], v23, v24
	s_waitcnt lgkmcnt(0)
	v_cmp_lt_i32_e64 s[4:5], v25, v21
	s_and_b64 s[2:3], s[2:3], s[4:5]
	s_andn2_b64 s[4:5], s[20:21], exec
	s_and_b64 s[2:3], s[2:3], exec
	s_or_b64 s[20:21], s[4:5], s[2:3]
.LBB202_16:                             ;   in Loop: Header=BB202_10 Depth=1
	s_or_b64 exec, exec, s[22:23]
	s_and_saveexec_b64 s[2:3], s[20:21]
	s_cbranch_execz .LBB202_18
; %bb.17:                               ;   in Loop: Header=BB202_10 Depth=1
	s_waitcnt lgkmcnt(1)
	v_mov_b32_e32 v22, v26
	v_mov_b32_e32 v23, v24
	s_waitcnt lgkmcnt(0)
	v_mov_b32_e32 v21, v25
.LBB202_18:                             ;   in Loop: Header=BB202_10 Depth=1
	s_or_b64 exec, exec, s[2:3]
	ds_bpermute_b32 v24, v15, v23
	s_waitcnt lgkmcnt(2)
	ds_bpermute_b32 v26, v15, v22
	s_waitcnt lgkmcnt(2)
	;; [unrolled: 2-line block ×3, first 2 shown]
	v_cmp_lt_f32_e64 s[20:21], v23, v24
	v_cmp_nlt_f32_e64 s[2:3], v23, v24
	s_and_saveexec_b64 s[22:23], s[2:3]
	s_cbranch_execz .LBB202_20
; %bb.19:                               ;   in Loop: Header=BB202_10 Depth=1
	v_cmp_eq_f32_e64 s[2:3], v23, v24
	s_waitcnt lgkmcnt(0)
	v_cmp_lt_i32_e64 s[4:5], v25, v21
	s_and_b64 s[2:3], s[2:3], s[4:5]
	s_andn2_b64 s[4:5], s[20:21], exec
	s_and_b64 s[2:3], s[2:3], exec
	s_or_b64 s[20:21], s[4:5], s[2:3]
.LBB202_20:                             ;   in Loop: Header=BB202_10 Depth=1
	s_or_b64 exec, exec, s[22:23]
	s_and_saveexec_b64 s[2:3], s[20:21]
	s_cbranch_execz .LBB202_22
; %bb.21:                               ;   in Loop: Header=BB202_10 Depth=1
	s_waitcnt lgkmcnt(1)
	v_mov_b32_e32 v22, v26
	v_mov_b32_e32 v23, v24
	s_waitcnt lgkmcnt(0)
	v_mov_b32_e32 v21, v25
.LBB202_22:                             ;   in Loop: Header=BB202_10 Depth=1
	s_or_b64 exec, exec, s[2:3]
	ds_bpermute_b32 v24, v16, v23
	s_waitcnt lgkmcnt(2)
	ds_bpermute_b32 v26, v16, v22
	s_waitcnt lgkmcnt(2)
	;; [unrolled: 2-line block ×3, first 2 shown]
	v_cmp_lt_f32_e64 s[20:21], v23, v24
	v_cmp_nlt_f32_e64 s[2:3], v23, v24
	s_and_saveexec_b64 s[22:23], s[2:3]
	s_cbranch_execz .LBB202_24
; %bb.23:                               ;   in Loop: Header=BB202_10 Depth=1
	v_cmp_eq_f32_e64 s[2:3], v23, v24
	s_waitcnt lgkmcnt(0)
	v_cmp_lt_i32_e64 s[4:5], v25, v21
	s_and_b64 s[2:3], s[2:3], s[4:5]
	s_andn2_b64 s[4:5], s[20:21], exec
	s_and_b64 s[2:3], s[2:3], exec
	s_or_b64 s[20:21], s[4:5], s[2:3]
.LBB202_24:                             ;   in Loop: Header=BB202_10 Depth=1
	s_or_b64 exec, exec, s[22:23]
	s_and_saveexec_b64 s[2:3], s[20:21]
	s_cbranch_execz .LBB202_26
; %bb.25:                               ;   in Loop: Header=BB202_10 Depth=1
	s_waitcnt lgkmcnt(1)
	v_mov_b32_e32 v22, v26
	v_mov_b32_e32 v23, v24
	s_waitcnt lgkmcnt(0)
	v_mov_b32_e32 v21, v25
.LBB202_26:                             ;   in Loop: Header=BB202_10 Depth=1
	s_or_b64 exec, exec, s[2:3]
	s_waitcnt lgkmcnt(1)
	ds_bpermute_b32 v26, v17, v23
	ds_bpermute_b32 v24, v17, v22
	s_waitcnt lgkmcnt(2)
	ds_bpermute_b32 v25, v17, v21
	s_waitcnt lgkmcnt(2)
	v_cmp_lt_f32_e64 s[20:21], v23, v26
	v_cmp_nlt_f32_e64 s[2:3], v23, v26
	s_and_saveexec_b64 s[22:23], s[2:3]
	s_cbranch_execnz .LBB202_30
; %bb.27:                               ;   in Loop: Header=BB202_10 Depth=1
	s_or_b64 exec, exec, s[22:23]
	s_and_saveexec_b64 s[2:3], s[20:21]
	s_cbranch_execnz .LBB202_31
.LBB202_28:                             ;   in Loop: Header=BB202_10 Depth=1
	s_or_b64 exec, exec, s[2:3]
	s_and_saveexec_b64 s[20:21], s[0:1]
	s_cbranch_execnz .LBB202_32
.LBB202_29:                             ;   in Loop: Header=BB202_10 Depth=1
	s_or_b64 exec, exec, s[20:21]
	s_add_i32 s25, s25, 1
	s_cmp_ge_i32 s25, s8
	s_cbranch_scc1 .LBB202_9
	s_branch .LBB202_33
.LBB202_30:                             ;   in Loop: Header=BB202_10 Depth=1
	v_cmp_eq_f32_e64 s[2:3], v23, v26
	s_waitcnt lgkmcnt(0)
	v_cmp_lt_i32_e64 s[4:5], v25, v21
	s_and_b64 s[2:3], s[2:3], s[4:5]
	s_andn2_b64 s[4:5], s[20:21], exec
	s_and_b64 s[2:3], s[2:3], exec
	s_or_b64 s[20:21], s[4:5], s[2:3]
	s_or_b64 exec, exec, s[22:23]
	s_and_saveexec_b64 s[2:3], s[20:21]
	s_cbranch_execz .LBB202_28
.LBB202_31:                             ;   in Loop: Header=BB202_10 Depth=1
	s_waitcnt lgkmcnt(0)
	v_mov_b32_e32 v21, v25
	v_mov_b32_e32 v22, v24
	s_or_b64 exec, exec, s[2:3]
	s_and_saveexec_b64 s[20:21], s[0:1]
	s_cbranch_execz .LBB202_29
.LBB202_32:                             ;   in Loop: Header=BB202_10 Depth=1
	s_waitcnt lgkmcnt(1)
	v_add_u32_e32 v24, s25, v12
	s_waitcnt lgkmcnt(0)
	v_ashrrev_i32_e32 v25, 31, v24
	v_cmp_le_i32_e64 s[2:3], s9, v21
	v_cmp_gt_i32_e64 s[4:5], s10, v21
	v_lshlrev_b64 v[24:25], 2, v[24:25]
	s_and_b64 s[4:5], s[2:3], s[4:5]
	v_mov_b32_e32 v23, s17
	v_add_co_u32_e64 v26, s[2:3], s16, v24
	v_addc_co_u32_e64 v27, s[2:3], v23, v25, s[2:3]
	v_subrev_u32_e32 v23, s9, v21
	s_and_b64 s[2:3], s[18:19], s[4:5]
	global_store_dword v[26:27], v22, off
	v_cndmask_b32_e64 v23, v18, v23, s[2:3]
	v_mov_b32_e32 v27, s13
	v_add_co_u32_e64 v26, s[2:3], s12, v24
	v_addc_co_u32_e64 v27, s[2:3], v27, v25, s[2:3]
	global_store_dword v[26:27], v23, off
	v_mov_b32_e32 v23, s15
	v_add_co_u32_e64 v24, s[2:3], s14, v24
	v_add_f32_e32 v22, v11, v22
	v_addc_co_u32_e64 v25, s[2:3], v23, v25, s[2:3]
	v_cndmask_b32_e32 v11, v11, v22, vcc
	global_store_dword v[24:25], v20, off
	s_or_b64 exec, exec, s[20:21]
	s_add_i32 s25, s25, 1
	s_cmp_ge_i32 s25, s8
	s_cbranch_scc1 .LBB202_9
.LBB202_33:                             ;   in Loop: Header=BB202_10 Depth=1
	v_ashrrev_i32_e32 v23, 31, v21
	v_lshrrev_b32_e32 v22, 30, v23
	s_waitcnt lgkmcnt(1)
	v_add_u32_e32 v24, v21, v22
	v_ashrrev_i32_e32 v22, 2, v24
	v_ashrrev_i32_e32 v24, 31, v24
	v_lshrrev_b32_e32 v24, 27, v24
	v_add_u32_e32 v24, v22, v24
	v_and_b32_e32 v24, 0xffffffe0, v24
	v_sub_u32_e32 v24, v22, v24
	v_cmp_eq_u32_e64 s[2:3], v9, v24
	s_and_saveexec_b64 s[4:5], s[2:3]
	s_cbranch_execz .LBB202_8
; %bb.34:                               ;   in Loop: Header=BB202_10 Depth=1
	v_lshrrev_b32_e32 v23, 25, v23
	v_add_u32_e32 v23, v21, v23
	v_lshlrev_b32_e32 v22, 2, v22
	v_ashrrev_i32_e32 v23, 7, v23
	v_sub_u32_e32 v21, v21, v22
	v_lshl_add_u32 v21, v23, 2, v21
	v_cmp_ne_u32_e64 s[2:3], 3, v21
	v_cndmask_b32_e64 v7, v19, v7, s[2:3]
	v_cmp_ne_u32_e64 s[2:3], 2, v21
	v_cndmask_b32_e64 v6, v19, v6, s[2:3]
	;; [unrolled: 2-line block ×4, first 2 shown]
	s_branch .LBB202_8
.LBB202_35:
                                        ; implicit-def: $vgpr4_vgpr5_vgpr6_vgpr7
	s_andn2_b64 vcc, exec, s[8:9]
	s_cbranch_vccz .LBB202_5
	s_branch .LBB202_6
.LBB202_36:
	v_mov_b32_e32 v11, 0
.LBB202_37:
	v_cmp_eq_u32_e64 s[0:1], 0, v9
	s_and_b64 s[0:1], s[0:1], vcc
	s_and_b64 exec, exec, s[0:1]
	s_cbranch_execz .LBB202_46
; %bb.38:
	s_andn2_b64 vcc, exec, s[6:7]
	s_cbranch_vccnz .LBB202_46
; %bb.39:
	v_cmp_lt_f32_e32 vcc, 0, v11
	s_mov_b32 s2, 0
	v_cndmask_b32_e32 v0, 1.0, v11, vcc
	v_mul_lo_u32 v4, v8, s8
	s_cmp_eq_u32 s8, 1
	s_mov_b64 s[0:1], -1
	s_cbranch_scc1 .LBB202_43
; %bb.40:
	s_and_b32 s2, s8, 0x7ffffffe
	v_mov_b32_e32 v1, v0
	v_mov_b32_e32 v5, s17
	s_mov_b32 s3, s2
	v_mov_b32_e32 v2, v4
.LBB202_41:                             ; =>This Inner Loop Header: Depth=1
	v_ashrrev_i32_e32 v3, 31, v2
	v_lshlrev_b64 v[6:7], 2, v[2:3]
	v_add_co_u32_e32 v6, vcc, s16, v6
	v_addc_co_u32_e32 v7, vcc, v5, v7, vcc
	global_load_dwordx2 v[8:9], v[6:7], off
	s_add_i32 s3, s3, -2
	s_cmp_lg_u32 s3, 0
	v_add_u32_e32 v2, 2, v2
	s_waitcnt vmcnt(0)
	v_div_scale_f32 v3, s[0:1], v1, v1, v9
	v_div_scale_f32 v11, s[0:1], v0, v0, v8
	v_rcp_f32_e32 v12, v3
	v_rcp_f32_e32 v13, v11
	v_div_scale_f32 v10, vcc, v9, v1, v9
	v_fma_f32 v15, -v3, v12, 1.0
	v_fma_f32 v16, -v11, v13, 1.0
	v_fmac_f32_e32 v12, v15, v12
	v_div_scale_f32 v14, s[0:1], v8, v0, v8
	v_fmac_f32_e32 v13, v16, v13
	v_mul_f32_e32 v15, v10, v12
	v_mul_f32_e32 v16, v14, v13
	v_fma_f32 v17, -v3, v15, v10
	v_fma_f32 v18, -v11, v16, v14
	v_fmac_f32_e32 v15, v17, v12
	v_fmac_f32_e32 v16, v18, v13
	v_fma_f32 v3, -v3, v15, v10
	v_fma_f32 v10, -v11, v16, v14
	v_div_fmas_f32 v3, v3, v12, v15
	s_mov_b64 vcc, s[0:1]
	v_div_fixup_f32 v9, v3, v1, v9
	v_div_fmas_f32 v3, v10, v13, v16
	v_div_fixup_f32 v8, v3, v0, v8
	global_store_dwordx2 v[6:7], v[8:9], off
	s_cbranch_scc1 .LBB202_41
; %bb.42:
	s_cmp_lg_u32 s2, s8
	s_cselect_b64 s[0:1], -1, 0
.LBB202_43:
	s_and_b64 vcc, exec, s[0:1]
	s_cbranch_vccz .LBB202_46
; %bb.44:
	v_ashrrev_i32_e32 v1, 31, v4
	v_add_co_u32_e32 v2, vcc, s2, v4
	v_addc_co_u32_e32 v3, vcc, 0, v1, vcc
	v_lshlrev_b64 v[2:3], 2, v[2:3]
	v_mov_b32_e32 v1, s17
	v_add_co_u32_e32 v2, vcc, s16, v2
	s_sub_i32 s0, s8, s2
	v_addc_co_u32_e32 v3, vcc, v1, v3, vcc
.LBB202_45:                             ; =>This Inner Loop Header: Depth=1
	global_load_dword v1, v[2:3], off
	s_add_i32 s0, s0, -1
	s_cmp_lg_u32 s0, 0
	s_waitcnt vmcnt(0)
	v_div_scale_f32 v4, s[2:3], v0, v0, v1
	v_rcp_f32_e32 v5, v4
	v_div_scale_f32 v6, vcc, v1, v0, v1
	v_fma_f32 v7, -v4, v5, 1.0
	v_fmac_f32_e32 v5, v7, v5
	v_mul_f32_e32 v7, v6, v5
	v_fma_f32 v8, -v4, v7, v6
	v_fmac_f32_e32 v7, v8, v5
	v_fma_f32 v4, -v4, v7, v6
	v_div_fmas_f32 v4, v4, v5, v7
	v_div_fixup_f32 v1, v4, v0, v1
	global_store_dword v[2:3], v1, off
	v_add_co_u32_e32 v2, vcc, 4, v2
	v_addc_co_u32_e32 v3, vcc, 0, v3, vcc
	s_cbranch_scc1 .LBB202_45
.LBB202_46:
	s_endpgm
	.section	.rodata,"a",@progbits
	.p2align	6, 0x0
	.amdhsa_kernel _ZN4vllm3moe10topkGatingILi4ELi128ELi4ELi16ELi64EifLNS0_11ScoringFuncE1EEEvPKT5_PKbPfiPT4_PiiiibPKf
		.amdhsa_group_segment_fixed_size 0
		.amdhsa_private_segment_fixed_size 0
		.amdhsa_kernarg_size 72
		.amdhsa_user_sgpr_count 6
		.amdhsa_user_sgpr_private_segment_buffer 1
		.amdhsa_user_sgpr_dispatch_ptr 0
		.amdhsa_user_sgpr_queue_ptr 0
		.amdhsa_user_sgpr_kernarg_segment_ptr 1
		.amdhsa_user_sgpr_dispatch_id 0
		.amdhsa_user_sgpr_flat_scratch_init 0
		.amdhsa_user_sgpr_kernarg_preload_length 0
		.amdhsa_user_sgpr_kernarg_preload_offset 0
		.amdhsa_user_sgpr_private_segment_size 0
		.amdhsa_uses_dynamic_stack 0
		.amdhsa_system_sgpr_private_segment_wavefront_offset 0
		.amdhsa_system_sgpr_workgroup_id_x 1
		.amdhsa_system_sgpr_workgroup_id_y 0
		.amdhsa_system_sgpr_workgroup_id_z 0
		.amdhsa_system_sgpr_workgroup_info 0
		.amdhsa_system_vgpr_workitem_id 1
		.amdhsa_next_free_vgpr 28
		.amdhsa_next_free_sgpr 26
		.amdhsa_accum_offset 28
		.amdhsa_reserve_vcc 1
		.amdhsa_reserve_flat_scratch 0
		.amdhsa_float_round_mode_32 0
		.amdhsa_float_round_mode_16_64 0
		.amdhsa_float_denorm_mode_32 3
		.amdhsa_float_denorm_mode_16_64 3
		.amdhsa_dx10_clamp 1
		.amdhsa_ieee_mode 1
		.amdhsa_fp16_overflow 0
		.amdhsa_tg_split 0
		.amdhsa_exception_fp_ieee_invalid_op 0
		.amdhsa_exception_fp_denorm_src 0
		.amdhsa_exception_fp_ieee_div_zero 0
		.amdhsa_exception_fp_ieee_overflow 0
		.amdhsa_exception_fp_ieee_underflow 0
		.amdhsa_exception_fp_ieee_inexact 0
		.amdhsa_exception_int_div_zero 0
	.end_amdhsa_kernel
	.section	.text._ZN4vllm3moe10topkGatingILi4ELi128ELi4ELi16ELi64EifLNS0_11ScoringFuncE1EEEvPKT5_PKbPfiPT4_PiiiibPKf,"axG",@progbits,_ZN4vllm3moe10topkGatingILi4ELi128ELi4ELi16ELi64EifLNS0_11ScoringFuncE1EEEvPKT5_PKbPfiPT4_PiiiibPKf,comdat
.Lfunc_end202:
	.size	_ZN4vllm3moe10topkGatingILi4ELi128ELi4ELi16ELi64EifLNS0_11ScoringFuncE1EEEvPKT5_PKbPfiPT4_PiiiibPKf, .Lfunc_end202-_ZN4vllm3moe10topkGatingILi4ELi128ELi4ELi16ELi64EifLNS0_11ScoringFuncE1EEEvPKT5_PKbPfiPT4_PiiiibPKf
                                        ; -- End function
	.section	.AMDGPU.csdata,"",@progbits
; Kernel info:
; codeLenInByte = 2516
; NumSgprs: 30
; NumVgprs: 28
; NumAgprs: 0
; TotalNumVgprs: 28
; ScratchSize: 0
; MemoryBound: 0
; FloatMode: 240
; IeeeMode: 1
; LDSByteSize: 0 bytes/workgroup (compile time only)
; SGPRBlocks: 3
; VGPRBlocks: 3
; NumSGPRsForWavesPerEU: 30
; NumVGPRsForWavesPerEU: 28
; AccumOffset: 28
; Occupancy: 8
; WaveLimiterHint : 0
; COMPUTE_PGM_RSRC2:SCRATCH_EN: 0
; COMPUTE_PGM_RSRC2:USER_SGPR: 6
; COMPUTE_PGM_RSRC2:TRAP_HANDLER: 0
; COMPUTE_PGM_RSRC2:TGID_X_EN: 1
; COMPUTE_PGM_RSRC2:TGID_Y_EN: 0
; COMPUTE_PGM_RSRC2:TGID_Z_EN: 0
; COMPUTE_PGM_RSRC2:TIDIG_COMP_CNT: 1
; COMPUTE_PGM_RSRC3_GFX90A:ACCUM_OFFSET: 6
; COMPUTE_PGM_RSRC3_GFX90A:TG_SPLIT: 0
	.section	.text._ZN4vllm3moe10topkGatingILi4ELi128ELi4ELi16ELi32EifLNS0_11ScoringFuncE1EEEvPKT5_PKbPfiPT4_PiiiibPKf,"axG",@progbits,_ZN4vllm3moe10topkGatingILi4ELi128ELi4ELi16ELi32EifLNS0_11ScoringFuncE1EEEvPKT5_PKbPfiPT4_PiiiibPKf,comdat
	.protected	_ZN4vllm3moe10topkGatingILi4ELi128ELi4ELi16ELi32EifLNS0_11ScoringFuncE1EEEvPKT5_PKbPfiPT4_PiiiibPKf ; -- Begin function _ZN4vllm3moe10topkGatingILi4ELi128ELi4ELi16ELi32EifLNS0_11ScoringFuncE1EEEvPKT5_PKbPfiPT4_PiiiibPKf
	.globl	_ZN4vllm3moe10topkGatingILi4ELi128ELi4ELi16ELi32EifLNS0_11ScoringFuncE1EEEvPKT5_PKbPfiPT4_PiiiibPKf
	.p2align	8
	.type	_ZN4vllm3moe10topkGatingILi4ELi128ELi4ELi16ELi32EifLNS0_11ScoringFuncE1EEEvPKT5_PKbPfiPT4_PiiiibPKf,@function
_ZN4vllm3moe10topkGatingILi4ELi128ELi4ELi16ELi32EifLNS0_11ScoringFuncE1EEEvPKT5_PKbPfiPT4_PiiiibPKf: ; @_ZN4vllm3moe10topkGatingILi4ELi128ELi4ELi16ELi32EifLNS0_11ScoringFuncE1EEEvPKT5_PKbPfiPT4_PiiiibPKf
; %bb.0:
	s_load_dword s24, s[4:5], 0x18
	v_and_b32_e32 v1, 0x3ff, v0
	s_lshl_b32 s0, s6, 2
	v_lshrrev_b32_e32 v2, 5, v1
	v_bfe_u32 v0, v0, 10, 10
	v_add3_u32 v8, s0, v0, v2
	s_waitcnt lgkmcnt(0)
	v_cmp_gt_i32_e32 vcc, s24, v8
	s_and_saveexec_b64 s[0:1], vcc
	s_cbranch_execz .LBB203_46
; %bb.1:
	s_load_dwordx4 s[0:3], s[4:5], 0x0
	s_load_dwordx2 s[16:17], s[4:5], 0x10
	s_mov_b64 s[8:9], -1
	s_mov_b64 s[18:19], -1
	s_waitcnt lgkmcnt(0)
	s_cmp_eq_u64 s[2:3], 0
	s_cbranch_scc1 .LBB203_3
; %bb.2:
	v_ashrrev_i32_e32 v0, 31, v8
	v_mov_b32_e32 v3, s3
	v_add_co_u32_e32 v2, vcc, s2, v8
	v_addc_co_u32_e32 v3, vcc, v3, v0, vcc
	global_load_ubyte v0, v[2:3], off
	s_waitcnt vmcnt(0)
	v_and_b32_e32 v0, 1, v0
	v_cmp_eq_u32_e32 vcc, 1, v0
	s_xor_b64 s[2:3], vcc, -1
	s_orn2_b64 s[18:19], s[2:3], exec
.LBB203_3:
	v_lshlrev_b32_e32 v2, 7, v8
	v_ashrrev_i32_e32 v3, 31, v2
	v_lshlrev_b64 v[2:3], 2, v[2:3]
	v_mov_b32_e32 v0, s1
	v_add_co_u32_e32 v2, vcc, s0, v2
	v_and_b32_e32 v9, 31, v1
	v_addc_co_u32_e32 v3, vcc, v0, v3, vcc
	v_lshlrev_b32_e32 v0, 4, v9
	v_add_co_u32_e32 v0, vcc, v2, v0
	v_addc_co_u32_e32 v1, vcc, 0, v3, vcc
	global_load_dwordx4 v[0:3], v[0:1], off
	v_mov_b32_e32 v4, 0x207
	s_load_dwordx2 s[10:11], s[4:5], 0x40
	v_lshlrev_b32_e32 v10, 2, v9
	s_waitcnt lgkmcnt(0)
	s_cmp_eq_u64 s[10:11], 0
	s_waitcnt vmcnt(0)
	v_mul_f32_e32 v0, 0xbfb8aa3b, v0
	v_mul_f32_e32 v1, 0xbfb8aa3b, v1
	v_exp_f32_e32 v0, v0
	v_exp_f32_e32 v1, v1
	v_mul_f32_e32 v2, 0xbfb8aa3b, v2
	v_mul_f32_e32 v3, 0xbfb8aa3b, v3
	v_exp_f32_e32 v2, v2
	v_exp_f32_e32 v3, v3
	v_pk_add_f32 v[0:1], v[0:1], 1.0 op_sel_hi:[1,0]
	v_div_scale_f32 v5, s[0:1], v1, v1, 1.0
	v_rcp_f32_e32 v16, v5
	v_div_scale_f32 v7, s[0:1], v0, v0, 1.0
	v_pk_add_f32 v[2:3], v[2:3], 1.0 op_sel_hi:[1,0]
	v_rcp_f32_e32 v17, v7
	v_div_scale_f32 v12, s[2:3], v3, v3, 1.0
	v_rcp_f32_e32 v18, v12
	v_fma_f32 v20, -v5, v16, 1.0
	v_div_scale_f32 v6, vcc, 1.0, v1, 1.0
	v_div_scale_f32 v14, s[6:7], v2, v2, 1.0
	v_fmac_f32_e32 v16, v20, v16
	v_rcp_f32_e32 v19, v14
	v_fma_f32 v21, -v7, v17, 1.0
	v_mul_f32_e32 v20, v6, v16
	v_div_scale_f32 v11, s[0:1], 1.0, v0, 1.0
	v_fmac_f32_e32 v17, v21, v17
	v_fma_f32 v24, -v5, v20, v6
	v_fma_f32 v22, -v12, v18, 1.0
	v_mul_f32_e32 v21, v11, v17
	v_fmac_f32_e32 v20, v24, v16
	v_div_scale_f32 v13, s[2:3], 1.0, v3, 1.0
	v_fmac_f32_e32 v18, v22, v18
	v_fma_f32 v25, -v7, v21, v11
	v_fma_f32 v5, -v5, v20, v6
	v_fma_f32 v23, -v14, v19, 1.0
	v_mul_f32_e32 v22, v13, v18
	v_fmac_f32_e32 v21, v25, v17
	v_div_fmas_f32 v5, v5, v16, v20
	v_div_scale_f32 v15, s[6:7], 1.0, v2, 1.0
	v_fmac_f32_e32 v19, v23, v19
	v_fma_f32 v26, -v12, v22, v13
	v_fma_f32 v6, -v7, v21, v11
	v_div_fixup_f32 v1, v5, v1, 1.0
	s_mov_b64 vcc, s[0:1]
	v_mul_f32_e32 v23, v15, v19
	v_fmac_f32_e32 v22, v26, v18
	v_div_fmas_f32 v5, v6, v17, v21
	v_cmp_class_f32_e32 vcc, v1, v4
	v_fma_f32 v27, -v14, v23, v15
	v_fma_f32 v7, -v12, v22, v13
	v_div_fixup_f32 v0, v5, v0, 1.0
	v_cndmask_b32_e64 v1, v1, 0, vcc
	s_mov_b64 vcc, s[2:3]
	v_fmac_f32_e32 v23, v27, v19
	v_div_fmas_f32 v5, v7, v18, v22
	v_cmp_class_f32_e32 vcc, v0, v4
	v_fma_f32 v11, -v14, v23, v15
	v_cndmask_b32_e64 v0, v0, 0, vcc
	s_mov_b64 vcc, s[6:7]
	v_div_fixup_f32 v3, v5, v3, 1.0
	v_div_fmas_f32 v5, v11, v19, v23
	v_div_fixup_f32 v2, v5, v2, 1.0
	v_cmp_class_f32_e32 vcc, v3, v4
	v_cndmask_b32_e64 v3, v3, 0, vcc
	v_cmp_class_f32_e32 vcc, v2, v4
	v_cndmask_b32_e64 v2, v2, 0, vcc
	s_cbranch_scc1 .LBB203_35
; %bb.4:
	v_lshlrev_b32_e32 v4, 2, v10
	global_load_dwordx4 v[4:7], v4, s[10:11]
	s_waitcnt vmcnt(0)
	v_pk_add_f32 v[4:5], v[4:5], v[0:1]
	v_pk_add_f32 v[6:7], v[6:7], v[2:3]
	s_cbranch_execnz .LBB203_6
.LBB203_5:
	v_pk_mov_b32 v[6:7], v[2:3], v[2:3] op_sel:[0,1]
	v_pk_mov_b32 v[4:5], v[0:1], v[0:1] op_sel:[0,1]
.LBB203_6:
	s_load_dwordx4 s[8:11], s[4:5], 0x30
	s_mov_b32 s25, 0
	v_cmp_eq_u32_e64 s[0:1], 0, v9
	s_waitcnt lgkmcnt(0)
	s_bitcmp1_b32 s11, 0
	s_cselect_b64 vcc, -1, 0
	s_cmp_gt_i32 s8, 0
	s_cselect_b64 s[6:7], -1, 0
	s_cmp_lt_i32 s8, 1
	s_cbranch_scc1 .LBB203_36
; %bb.7:
	v_mbcnt_lo_u32_b32 v11, -1, 0
	v_mbcnt_hi_u32_b32 v11, -1, v11
	v_and_b32_e32 v12, 0x60, v11
	v_add_u32_e32 v17, 32, v12
	v_xor_b32_e32 v13, 16, v11
	v_cmp_lt_i32_e64 s[2:3], v13, v17
	v_xor_b32_e32 v14, 8, v11
	v_cndmask_b32_e64 v13, v11, v13, s[2:3]
	v_cmp_lt_i32_e64 s[2:3], v14, v17
	v_xor_b32_e32 v15, 4, v11
	s_load_dwordx4 s[12:15], s[4:5], 0x20
	v_cndmask_b32_e64 v14, v11, v14, s[2:3]
	v_cmp_lt_i32_e64 s[2:3], v15, v17
	v_xor_b32_e32 v16, 2, v11
	v_cndmask_b32_e64 v15, v11, v15, s[2:3]
	v_cmp_lt_i32_e64 s[2:3], v16, v17
	v_xor_b32_e32 v18, 1, v11
	v_cndmask_b32_e64 v16, v11, v16, s[2:3]
	v_cmp_lt_i32_e64 s[2:3], v18, v17
	v_cndmask_b32_e64 v11, v11, v18, s[2:3]
	v_mul_lo_u32 v12, v8, s8
	v_lshlrev_b32_e32 v13, 2, v13
	v_lshlrev_b32_e32 v14, 2, v14
	;; [unrolled: 1-line block ×5, first 2 shown]
	v_mov_b32_e32 v11, 0
	v_mov_b32_e32 v18, 0x80
	;; [unrolled: 1-line block ×4, first 2 shown]
	s_branch .LBB203_10
.LBB203_8:                              ;   in Loop: Header=BB203_10 Depth=1
	s_or_b64 exec, exec, s[4:5]
.LBB203_9:                              ;   in Loop: Header=BB203_10 Depth=1
	s_cmp_eq_u32 s8, s25
	v_add_u32_e32 v20, s24, v20
	s_cbranch_scc1 .LBB203_37
.LBB203_10:                             ; =>This Inner Loop Header: Depth=1
	v_cmp_gt_f32_e64 s[2:3], v5, v4
	v_cndmask_b32_e64 v23, v4, v5, s[2:3]
	v_cndmask_b32_e64 v21, 0, 1, s[2:3]
	;; [unrolled: 1-line block ×3, first 2 shown]
	v_cmp_gt_f32_e64 s[2:3], v6, v23
	v_cndmask_b32_e64 v23, v23, v6, s[2:3]
	v_cndmask_b32_e64 v21, v21, 2, s[2:3]
	;; [unrolled: 1-line block ×3, first 2 shown]
	v_cmp_gt_f32_e64 s[2:3], v7, v23
	v_cndmask_b32_e64 v21, v21, 3, s[2:3]
	v_cndmask_b32_e64 v23, v23, v7, s[2:3]
	v_or_b32_e32 v21, v10, v21
	v_cndmask_b32_e64 v22, v22, v3, s[2:3]
	s_waitcnt lgkmcnt(0)
	ds_bpermute_b32 v24, v13, v23
	ds_bpermute_b32 v26, v13, v22
	;; [unrolled: 1-line block ×3, first 2 shown]
	s_waitcnt lgkmcnt(0)
	v_cmp_lt_f32_e64 s[20:21], v23, v24
	v_cmp_nlt_f32_e64 s[2:3], v23, v24
	s_and_saveexec_b64 s[22:23], s[2:3]
; %bb.11:                               ;   in Loop: Header=BB203_10 Depth=1
	v_cmp_eq_f32_e64 s[2:3], v23, v24
	v_cmp_lt_i32_e64 s[4:5], v25, v21
	s_and_b64 s[2:3], s[2:3], s[4:5]
	s_andn2_b64 s[4:5], s[20:21], exec
	s_and_b64 s[2:3], s[2:3], exec
	s_or_b64 s[20:21], s[4:5], s[2:3]
; %bb.12:                               ;   in Loop: Header=BB203_10 Depth=1
	s_or_b64 exec, exec, s[22:23]
	s_and_saveexec_b64 s[2:3], s[20:21]
; %bb.13:                               ;   in Loop: Header=BB203_10 Depth=1
	v_mov_b32_e32 v22, v26
	v_mov_b32_e32 v23, v24
	;; [unrolled: 1-line block ×3, first 2 shown]
; %bb.14:                               ;   in Loop: Header=BB203_10 Depth=1
	s_or_b64 exec, exec, s[2:3]
	ds_bpermute_b32 v24, v14, v23
	ds_bpermute_b32 v26, v14, v22
	;; [unrolled: 1-line block ×3, first 2 shown]
	s_waitcnt lgkmcnt(2)
	v_cmp_lt_f32_e64 s[20:21], v23, v24
	v_cmp_nlt_f32_e64 s[2:3], v23, v24
	s_and_saveexec_b64 s[22:23], s[2:3]
	s_cbranch_execz .LBB203_16
; %bb.15:                               ;   in Loop: Header=BB203_10 Depth=1
	v_cmp_eq_f32_e64 s[2:3], v23, v24
	s_waitcnt lgkmcnt(0)
	v_cmp_lt_i32_e64 s[4:5], v25, v21
	s_and_b64 s[2:3], s[2:3], s[4:5]
	s_andn2_b64 s[4:5], s[20:21], exec
	s_and_b64 s[2:3], s[2:3], exec
	s_or_b64 s[20:21], s[4:5], s[2:3]
.LBB203_16:                             ;   in Loop: Header=BB203_10 Depth=1
	s_or_b64 exec, exec, s[22:23]
	s_and_saveexec_b64 s[2:3], s[20:21]
	s_cbranch_execz .LBB203_18
; %bb.17:                               ;   in Loop: Header=BB203_10 Depth=1
	s_waitcnt lgkmcnt(1)
	v_mov_b32_e32 v22, v26
	v_mov_b32_e32 v23, v24
	s_waitcnt lgkmcnt(0)
	v_mov_b32_e32 v21, v25
.LBB203_18:                             ;   in Loop: Header=BB203_10 Depth=1
	s_or_b64 exec, exec, s[2:3]
	ds_bpermute_b32 v24, v15, v23
	s_waitcnt lgkmcnt(2)
	ds_bpermute_b32 v26, v15, v22
	s_waitcnt lgkmcnt(2)
	;; [unrolled: 2-line block ×3, first 2 shown]
	v_cmp_lt_f32_e64 s[20:21], v23, v24
	v_cmp_nlt_f32_e64 s[2:3], v23, v24
	s_and_saveexec_b64 s[22:23], s[2:3]
	s_cbranch_execz .LBB203_20
; %bb.19:                               ;   in Loop: Header=BB203_10 Depth=1
	v_cmp_eq_f32_e64 s[2:3], v23, v24
	s_waitcnt lgkmcnt(0)
	v_cmp_lt_i32_e64 s[4:5], v25, v21
	s_and_b64 s[2:3], s[2:3], s[4:5]
	s_andn2_b64 s[4:5], s[20:21], exec
	s_and_b64 s[2:3], s[2:3], exec
	s_or_b64 s[20:21], s[4:5], s[2:3]
.LBB203_20:                             ;   in Loop: Header=BB203_10 Depth=1
	s_or_b64 exec, exec, s[22:23]
	s_and_saveexec_b64 s[2:3], s[20:21]
	s_cbranch_execz .LBB203_22
; %bb.21:                               ;   in Loop: Header=BB203_10 Depth=1
	s_waitcnt lgkmcnt(1)
	v_mov_b32_e32 v22, v26
	v_mov_b32_e32 v23, v24
	s_waitcnt lgkmcnt(0)
	v_mov_b32_e32 v21, v25
.LBB203_22:                             ;   in Loop: Header=BB203_10 Depth=1
	s_or_b64 exec, exec, s[2:3]
	ds_bpermute_b32 v24, v16, v23
	s_waitcnt lgkmcnt(2)
	ds_bpermute_b32 v26, v16, v22
	s_waitcnt lgkmcnt(2)
	;; [unrolled: 2-line block ×3, first 2 shown]
	v_cmp_lt_f32_e64 s[20:21], v23, v24
	v_cmp_nlt_f32_e64 s[2:3], v23, v24
	s_and_saveexec_b64 s[22:23], s[2:3]
	s_cbranch_execz .LBB203_24
; %bb.23:                               ;   in Loop: Header=BB203_10 Depth=1
	v_cmp_eq_f32_e64 s[2:3], v23, v24
	s_waitcnt lgkmcnt(0)
	v_cmp_lt_i32_e64 s[4:5], v25, v21
	s_and_b64 s[2:3], s[2:3], s[4:5]
	s_andn2_b64 s[4:5], s[20:21], exec
	s_and_b64 s[2:3], s[2:3], exec
	s_or_b64 s[20:21], s[4:5], s[2:3]
.LBB203_24:                             ;   in Loop: Header=BB203_10 Depth=1
	s_or_b64 exec, exec, s[22:23]
	s_and_saveexec_b64 s[2:3], s[20:21]
	s_cbranch_execz .LBB203_26
; %bb.25:                               ;   in Loop: Header=BB203_10 Depth=1
	s_waitcnt lgkmcnt(1)
	v_mov_b32_e32 v22, v26
	v_mov_b32_e32 v23, v24
	s_waitcnt lgkmcnt(0)
	v_mov_b32_e32 v21, v25
.LBB203_26:                             ;   in Loop: Header=BB203_10 Depth=1
	s_or_b64 exec, exec, s[2:3]
	s_waitcnt lgkmcnt(1)
	ds_bpermute_b32 v26, v17, v23
	ds_bpermute_b32 v24, v17, v22
	s_waitcnt lgkmcnt(2)
	ds_bpermute_b32 v25, v17, v21
	s_waitcnt lgkmcnt(2)
	v_cmp_lt_f32_e64 s[20:21], v23, v26
	v_cmp_nlt_f32_e64 s[2:3], v23, v26
	s_and_saveexec_b64 s[22:23], s[2:3]
	s_cbranch_execnz .LBB203_30
; %bb.27:                               ;   in Loop: Header=BB203_10 Depth=1
	s_or_b64 exec, exec, s[22:23]
	s_and_saveexec_b64 s[2:3], s[20:21]
	s_cbranch_execnz .LBB203_31
.LBB203_28:                             ;   in Loop: Header=BB203_10 Depth=1
	s_or_b64 exec, exec, s[2:3]
	s_and_saveexec_b64 s[20:21], s[0:1]
	s_cbranch_execnz .LBB203_32
.LBB203_29:                             ;   in Loop: Header=BB203_10 Depth=1
	s_or_b64 exec, exec, s[20:21]
	s_add_i32 s25, s25, 1
	s_cmp_ge_i32 s25, s8
	s_cbranch_scc1 .LBB203_9
	s_branch .LBB203_33
.LBB203_30:                             ;   in Loop: Header=BB203_10 Depth=1
	v_cmp_eq_f32_e64 s[2:3], v23, v26
	s_waitcnt lgkmcnt(0)
	v_cmp_lt_i32_e64 s[4:5], v25, v21
	s_and_b64 s[2:3], s[2:3], s[4:5]
	s_andn2_b64 s[4:5], s[20:21], exec
	s_and_b64 s[2:3], s[2:3], exec
	s_or_b64 s[20:21], s[4:5], s[2:3]
	s_or_b64 exec, exec, s[22:23]
	s_and_saveexec_b64 s[2:3], s[20:21]
	s_cbranch_execz .LBB203_28
.LBB203_31:                             ;   in Loop: Header=BB203_10 Depth=1
	s_waitcnt lgkmcnt(0)
	v_mov_b32_e32 v21, v25
	v_mov_b32_e32 v22, v24
	s_or_b64 exec, exec, s[2:3]
	s_and_saveexec_b64 s[20:21], s[0:1]
	s_cbranch_execz .LBB203_29
.LBB203_32:                             ;   in Loop: Header=BB203_10 Depth=1
	s_waitcnt lgkmcnt(1)
	v_add_u32_e32 v24, s25, v12
	s_waitcnt lgkmcnt(0)
	v_ashrrev_i32_e32 v25, 31, v24
	v_cmp_le_i32_e64 s[2:3], s9, v21
	v_cmp_gt_i32_e64 s[4:5], s10, v21
	v_lshlrev_b64 v[24:25], 2, v[24:25]
	s_and_b64 s[4:5], s[2:3], s[4:5]
	v_mov_b32_e32 v23, s17
	v_add_co_u32_e64 v26, s[2:3], s16, v24
	v_addc_co_u32_e64 v27, s[2:3], v23, v25, s[2:3]
	v_subrev_u32_e32 v23, s9, v21
	s_and_b64 s[2:3], s[18:19], s[4:5]
	global_store_dword v[26:27], v22, off
	v_cndmask_b32_e64 v23, v18, v23, s[2:3]
	v_mov_b32_e32 v27, s13
	v_add_co_u32_e64 v26, s[2:3], s12, v24
	v_addc_co_u32_e64 v27, s[2:3], v27, v25, s[2:3]
	global_store_dword v[26:27], v23, off
	v_mov_b32_e32 v23, s15
	v_add_co_u32_e64 v24, s[2:3], s14, v24
	v_add_f32_e32 v22, v11, v22
	v_addc_co_u32_e64 v25, s[2:3], v23, v25, s[2:3]
	v_cndmask_b32_e32 v11, v11, v22, vcc
	global_store_dword v[24:25], v20, off
	s_or_b64 exec, exec, s[20:21]
	s_add_i32 s25, s25, 1
	s_cmp_ge_i32 s25, s8
	s_cbranch_scc1 .LBB203_9
.LBB203_33:                             ;   in Loop: Header=BB203_10 Depth=1
	v_ashrrev_i32_e32 v23, 31, v21
	v_lshrrev_b32_e32 v22, 30, v23
	s_waitcnt lgkmcnt(1)
	v_add_u32_e32 v24, v21, v22
	v_ashrrev_i32_e32 v22, 2, v24
	v_ashrrev_i32_e32 v24, 31, v24
	v_lshrrev_b32_e32 v24, 27, v24
	v_add_u32_e32 v24, v22, v24
	v_and_b32_e32 v24, 0xffffffe0, v24
	v_sub_u32_e32 v24, v22, v24
	v_cmp_eq_u32_e64 s[2:3], v9, v24
	s_and_saveexec_b64 s[4:5], s[2:3]
	s_cbranch_execz .LBB203_8
; %bb.34:                               ;   in Loop: Header=BB203_10 Depth=1
	v_lshrrev_b32_e32 v23, 25, v23
	v_add_u32_e32 v23, v21, v23
	v_lshlrev_b32_e32 v22, 2, v22
	v_ashrrev_i32_e32 v23, 7, v23
	v_sub_u32_e32 v21, v21, v22
	v_lshl_add_u32 v21, v23, 2, v21
	v_cmp_ne_u32_e64 s[2:3], 3, v21
	v_cndmask_b32_e64 v7, v19, v7, s[2:3]
	v_cmp_ne_u32_e64 s[2:3], 2, v21
	v_cndmask_b32_e64 v6, v19, v6, s[2:3]
	;; [unrolled: 2-line block ×4, first 2 shown]
	s_branch .LBB203_8
.LBB203_35:
                                        ; implicit-def: $vgpr4_vgpr5_vgpr6_vgpr7
	s_andn2_b64 vcc, exec, s[8:9]
	s_cbranch_vccz .LBB203_5
	s_branch .LBB203_6
.LBB203_36:
	v_mov_b32_e32 v11, 0
.LBB203_37:
	v_cmp_eq_u32_e64 s[0:1], 0, v9
	s_and_b64 s[0:1], s[0:1], vcc
	s_and_b64 exec, exec, s[0:1]
	s_cbranch_execz .LBB203_46
; %bb.38:
	s_andn2_b64 vcc, exec, s[6:7]
	s_cbranch_vccnz .LBB203_46
; %bb.39:
	v_cmp_lt_f32_e32 vcc, 0, v11
	s_mov_b32 s2, 0
	v_cndmask_b32_e32 v0, 1.0, v11, vcc
	v_mul_lo_u32 v4, v8, s8
	s_cmp_eq_u32 s8, 1
	s_mov_b64 s[0:1], -1
	s_cbranch_scc1 .LBB203_43
; %bb.40:
	s_and_b32 s2, s8, 0x7ffffffe
	v_mov_b32_e32 v1, v0
	v_mov_b32_e32 v5, s17
	s_mov_b32 s3, s2
	v_mov_b32_e32 v2, v4
.LBB203_41:                             ; =>This Inner Loop Header: Depth=1
	v_ashrrev_i32_e32 v3, 31, v2
	v_lshlrev_b64 v[6:7], 2, v[2:3]
	v_add_co_u32_e32 v6, vcc, s16, v6
	v_addc_co_u32_e32 v7, vcc, v5, v7, vcc
	global_load_dwordx2 v[8:9], v[6:7], off
	s_add_i32 s3, s3, -2
	s_cmp_lg_u32 s3, 0
	v_add_u32_e32 v2, 2, v2
	s_waitcnt vmcnt(0)
	v_div_scale_f32 v3, s[0:1], v1, v1, v9
	v_div_scale_f32 v11, s[0:1], v0, v0, v8
	v_rcp_f32_e32 v12, v3
	v_rcp_f32_e32 v13, v11
	v_div_scale_f32 v10, vcc, v9, v1, v9
	v_fma_f32 v15, -v3, v12, 1.0
	v_fma_f32 v16, -v11, v13, 1.0
	v_fmac_f32_e32 v12, v15, v12
	v_div_scale_f32 v14, s[0:1], v8, v0, v8
	v_fmac_f32_e32 v13, v16, v13
	v_mul_f32_e32 v15, v10, v12
	v_mul_f32_e32 v16, v14, v13
	v_fma_f32 v17, -v3, v15, v10
	v_fma_f32 v18, -v11, v16, v14
	v_fmac_f32_e32 v15, v17, v12
	v_fmac_f32_e32 v16, v18, v13
	v_fma_f32 v3, -v3, v15, v10
	v_fma_f32 v10, -v11, v16, v14
	v_div_fmas_f32 v3, v3, v12, v15
	s_mov_b64 vcc, s[0:1]
	v_div_fixup_f32 v9, v3, v1, v9
	v_div_fmas_f32 v3, v10, v13, v16
	v_div_fixup_f32 v8, v3, v0, v8
	global_store_dwordx2 v[6:7], v[8:9], off
	s_cbranch_scc1 .LBB203_41
; %bb.42:
	s_cmp_lg_u32 s2, s8
	s_cselect_b64 s[0:1], -1, 0
.LBB203_43:
	s_and_b64 vcc, exec, s[0:1]
	s_cbranch_vccz .LBB203_46
; %bb.44:
	v_ashrrev_i32_e32 v1, 31, v4
	v_add_co_u32_e32 v2, vcc, s2, v4
	v_addc_co_u32_e32 v3, vcc, 0, v1, vcc
	v_lshlrev_b64 v[2:3], 2, v[2:3]
	v_mov_b32_e32 v1, s17
	v_add_co_u32_e32 v2, vcc, s16, v2
	s_sub_i32 s0, s8, s2
	v_addc_co_u32_e32 v3, vcc, v1, v3, vcc
.LBB203_45:                             ; =>This Inner Loop Header: Depth=1
	global_load_dword v1, v[2:3], off
	s_add_i32 s0, s0, -1
	s_cmp_lg_u32 s0, 0
	s_waitcnt vmcnt(0)
	v_div_scale_f32 v4, s[2:3], v0, v0, v1
	v_rcp_f32_e32 v5, v4
	v_div_scale_f32 v6, vcc, v1, v0, v1
	v_fma_f32 v7, -v4, v5, 1.0
	v_fmac_f32_e32 v5, v7, v5
	v_mul_f32_e32 v7, v6, v5
	v_fma_f32 v8, -v4, v7, v6
	v_fmac_f32_e32 v7, v8, v5
	v_fma_f32 v4, -v4, v7, v6
	v_div_fmas_f32 v4, v4, v5, v7
	v_div_fixup_f32 v1, v4, v0, v1
	global_store_dword v[2:3], v1, off
	v_add_co_u32_e32 v2, vcc, 4, v2
	v_addc_co_u32_e32 v3, vcc, 0, v3, vcc
	s_cbranch_scc1 .LBB203_45
.LBB203_46:
	s_endpgm
	.section	.rodata,"a",@progbits
	.p2align	6, 0x0
	.amdhsa_kernel _ZN4vllm3moe10topkGatingILi4ELi128ELi4ELi16ELi32EifLNS0_11ScoringFuncE1EEEvPKT5_PKbPfiPT4_PiiiibPKf
		.amdhsa_group_segment_fixed_size 0
		.amdhsa_private_segment_fixed_size 0
		.amdhsa_kernarg_size 72
		.amdhsa_user_sgpr_count 6
		.amdhsa_user_sgpr_private_segment_buffer 1
		.amdhsa_user_sgpr_dispatch_ptr 0
		.amdhsa_user_sgpr_queue_ptr 0
		.amdhsa_user_sgpr_kernarg_segment_ptr 1
		.amdhsa_user_sgpr_dispatch_id 0
		.amdhsa_user_sgpr_flat_scratch_init 0
		.amdhsa_user_sgpr_kernarg_preload_length 0
		.amdhsa_user_sgpr_kernarg_preload_offset 0
		.amdhsa_user_sgpr_private_segment_size 0
		.amdhsa_uses_dynamic_stack 0
		.amdhsa_system_sgpr_private_segment_wavefront_offset 0
		.amdhsa_system_sgpr_workgroup_id_x 1
		.amdhsa_system_sgpr_workgroup_id_y 0
		.amdhsa_system_sgpr_workgroup_id_z 0
		.amdhsa_system_sgpr_workgroup_info 0
		.amdhsa_system_vgpr_workitem_id 1
		.amdhsa_next_free_vgpr 28
		.amdhsa_next_free_sgpr 26
		.amdhsa_accum_offset 28
		.amdhsa_reserve_vcc 1
		.amdhsa_reserve_flat_scratch 0
		.amdhsa_float_round_mode_32 0
		.amdhsa_float_round_mode_16_64 0
		.amdhsa_float_denorm_mode_32 3
		.amdhsa_float_denorm_mode_16_64 3
		.amdhsa_dx10_clamp 1
		.amdhsa_ieee_mode 1
		.amdhsa_fp16_overflow 0
		.amdhsa_tg_split 0
		.amdhsa_exception_fp_ieee_invalid_op 0
		.amdhsa_exception_fp_denorm_src 0
		.amdhsa_exception_fp_ieee_div_zero 0
		.amdhsa_exception_fp_ieee_overflow 0
		.amdhsa_exception_fp_ieee_underflow 0
		.amdhsa_exception_fp_ieee_inexact 0
		.amdhsa_exception_int_div_zero 0
	.end_amdhsa_kernel
	.section	.text._ZN4vllm3moe10topkGatingILi4ELi128ELi4ELi16ELi32EifLNS0_11ScoringFuncE1EEEvPKT5_PKbPfiPT4_PiiiibPKf,"axG",@progbits,_ZN4vllm3moe10topkGatingILi4ELi128ELi4ELi16ELi32EifLNS0_11ScoringFuncE1EEEvPKT5_PKbPfiPT4_PiiiibPKf,comdat
.Lfunc_end203:
	.size	_ZN4vllm3moe10topkGatingILi4ELi128ELi4ELi16ELi32EifLNS0_11ScoringFuncE1EEEvPKT5_PKbPfiPT4_PiiiibPKf, .Lfunc_end203-_ZN4vllm3moe10topkGatingILi4ELi128ELi4ELi16ELi32EifLNS0_11ScoringFuncE1EEEvPKT5_PKbPfiPT4_PiiiibPKf
                                        ; -- End function
	.section	.AMDGPU.csdata,"",@progbits
; Kernel info:
; codeLenInByte = 2512
; NumSgprs: 30
; NumVgprs: 28
; NumAgprs: 0
; TotalNumVgprs: 28
; ScratchSize: 0
; MemoryBound: 0
; FloatMode: 240
; IeeeMode: 1
; LDSByteSize: 0 bytes/workgroup (compile time only)
; SGPRBlocks: 3
; VGPRBlocks: 3
; NumSGPRsForWavesPerEU: 30
; NumVGPRsForWavesPerEU: 28
; AccumOffset: 28
; Occupancy: 8
; WaveLimiterHint : 0
; COMPUTE_PGM_RSRC2:SCRATCH_EN: 0
; COMPUTE_PGM_RSRC2:USER_SGPR: 6
; COMPUTE_PGM_RSRC2:TRAP_HANDLER: 0
; COMPUTE_PGM_RSRC2:TGID_X_EN: 1
; COMPUTE_PGM_RSRC2:TGID_Y_EN: 0
; COMPUTE_PGM_RSRC2:TGID_Z_EN: 0
; COMPUTE_PGM_RSRC2:TIDIG_COMP_CNT: 1
; COMPUTE_PGM_RSRC3_GFX90A:ACCUM_OFFSET: 6
; COMPUTE_PGM_RSRC3_GFX90A:TG_SPLIT: 0
	.section	.text._ZN4vllm3moe10topkGatingILi4ELi256ELi4ELi16ELi64EifLNS0_11ScoringFuncE1EEEvPKT5_PKbPfiPT4_PiiiibPKf,"axG",@progbits,_ZN4vllm3moe10topkGatingILi4ELi256ELi4ELi16ELi64EifLNS0_11ScoringFuncE1EEEvPKT5_PKbPfiPT4_PiiiibPKf,comdat
	.protected	_ZN4vllm3moe10topkGatingILi4ELi256ELi4ELi16ELi64EifLNS0_11ScoringFuncE1EEEvPKT5_PKbPfiPT4_PiiiibPKf ; -- Begin function _ZN4vllm3moe10topkGatingILi4ELi256ELi4ELi16ELi64EifLNS0_11ScoringFuncE1EEEvPKT5_PKbPfiPT4_PiiiibPKf
	.globl	_ZN4vllm3moe10topkGatingILi4ELi256ELi4ELi16ELi64EifLNS0_11ScoringFuncE1EEEvPKT5_PKbPfiPT4_PiiiibPKf
	.p2align	8
	.type	_ZN4vllm3moe10topkGatingILi4ELi256ELi4ELi16ELi64EifLNS0_11ScoringFuncE1EEEvPKT5_PKbPfiPT4_PiiiibPKf,@function
_ZN4vllm3moe10topkGatingILi4ELi256ELi4ELi16ELi64EifLNS0_11ScoringFuncE1EEEvPKT5_PKbPfiPT4_PiiiibPKf: ; @_ZN4vllm3moe10topkGatingILi4ELi256ELi4ELi16ELi64EifLNS0_11ScoringFuncE1EEEvPKT5_PKbPfiPT4_PiiiibPKf
; %bb.0:
	s_load_dword s24, s[4:5], 0x18
	v_and_b32_e32 v1, 0x3ff, v0
	s_lshl_b32 s0, s6, 2
	v_lshrrev_b32_e32 v2, 6, v1
	v_bfe_u32 v0, v0, 10, 10
	v_add3_u32 v8, s0, v0, v2
	s_waitcnt lgkmcnt(0)
	v_cmp_gt_i32_e32 vcc, s24, v8
	s_and_saveexec_b64 s[0:1], vcc
	s_cbranch_execz .LBB204_50
; %bb.1:
	s_load_dwordx4 s[0:3], s[4:5], 0x0
	s_load_dwordx2 s[16:17], s[4:5], 0x10
	s_mov_b64 s[8:9], -1
	s_mov_b64 s[18:19], -1
	s_waitcnt lgkmcnt(0)
	s_cmp_eq_u64 s[2:3], 0
	s_cbranch_scc1 .LBB204_3
; %bb.2:
	v_ashrrev_i32_e32 v0, 31, v8
	v_mov_b32_e32 v3, s3
	v_add_co_u32_e32 v2, vcc, s2, v8
	v_addc_co_u32_e32 v3, vcc, v3, v0, vcc
	global_load_ubyte v0, v[2:3], off
	s_waitcnt vmcnt(0)
	v_and_b32_e32 v0, 1, v0
	v_cmp_eq_u32_e32 vcc, 1, v0
	s_xor_b64 s[2:3], vcc, -1
	s_orn2_b64 s[18:19], s[2:3], exec
.LBB204_3:
	v_lshlrev_b32_e32 v2, 8, v8
	v_ashrrev_i32_e32 v3, 31, v2
	v_lshlrev_b64 v[2:3], 2, v[2:3]
	v_mov_b32_e32 v0, s1
	v_add_co_u32_e32 v2, vcc, s0, v2
	v_and_b32_e32 v9, 63, v1
	v_addc_co_u32_e32 v3, vcc, v0, v3, vcc
	v_lshlrev_b32_e32 v0, 4, v9
	v_add_co_u32_e32 v0, vcc, v2, v0
	v_addc_co_u32_e32 v1, vcc, 0, v3, vcc
	global_load_dwordx4 v[0:3], v[0:1], off
	v_mov_b32_e32 v4, 0x207
	s_load_dwordx2 s[10:11], s[4:5], 0x40
	v_lshlrev_b32_e32 v10, 2, v9
	s_waitcnt lgkmcnt(0)
	s_cmp_eq_u64 s[10:11], 0
	s_waitcnt vmcnt(0)
	v_mul_f32_e32 v0, 0xbfb8aa3b, v0
	v_mul_f32_e32 v1, 0xbfb8aa3b, v1
	v_exp_f32_e32 v0, v0
	v_exp_f32_e32 v1, v1
	v_mul_f32_e32 v2, 0xbfb8aa3b, v2
	v_mul_f32_e32 v3, 0xbfb8aa3b, v3
	v_exp_f32_e32 v2, v2
	v_exp_f32_e32 v3, v3
	v_pk_add_f32 v[0:1], v[0:1], 1.0 op_sel_hi:[1,0]
	v_div_scale_f32 v5, s[0:1], v1, v1, 1.0
	v_rcp_f32_e32 v16, v5
	v_div_scale_f32 v7, s[0:1], v0, v0, 1.0
	v_pk_add_f32 v[2:3], v[2:3], 1.0 op_sel_hi:[1,0]
	v_rcp_f32_e32 v17, v7
	v_div_scale_f32 v12, s[2:3], v3, v3, 1.0
	v_rcp_f32_e32 v18, v12
	v_fma_f32 v20, -v5, v16, 1.0
	v_div_scale_f32 v6, vcc, 1.0, v1, 1.0
	v_div_scale_f32 v14, s[6:7], v2, v2, 1.0
	v_fmac_f32_e32 v16, v20, v16
	v_rcp_f32_e32 v19, v14
	v_fma_f32 v21, -v7, v17, 1.0
	v_mul_f32_e32 v20, v6, v16
	v_div_scale_f32 v11, s[0:1], 1.0, v0, 1.0
	v_fmac_f32_e32 v17, v21, v17
	v_fma_f32 v24, -v5, v20, v6
	v_fma_f32 v22, -v12, v18, 1.0
	v_mul_f32_e32 v21, v11, v17
	v_fmac_f32_e32 v20, v24, v16
	v_div_scale_f32 v13, s[2:3], 1.0, v3, 1.0
	v_fmac_f32_e32 v18, v22, v18
	v_fma_f32 v25, -v7, v21, v11
	v_fma_f32 v5, -v5, v20, v6
	v_fma_f32 v23, -v14, v19, 1.0
	v_mul_f32_e32 v22, v13, v18
	v_fmac_f32_e32 v21, v25, v17
	v_div_fmas_f32 v5, v5, v16, v20
	v_div_scale_f32 v15, s[6:7], 1.0, v2, 1.0
	v_fmac_f32_e32 v19, v23, v19
	v_fma_f32 v26, -v12, v22, v13
	v_fma_f32 v6, -v7, v21, v11
	v_div_fixup_f32 v1, v5, v1, 1.0
	s_mov_b64 vcc, s[0:1]
	v_mul_f32_e32 v23, v15, v19
	v_fmac_f32_e32 v22, v26, v18
	v_div_fmas_f32 v5, v6, v17, v21
	v_cmp_class_f32_e32 vcc, v1, v4
	v_fma_f32 v27, -v14, v23, v15
	v_fma_f32 v7, -v12, v22, v13
	v_div_fixup_f32 v0, v5, v0, 1.0
	v_cndmask_b32_e64 v1, v1, 0, vcc
	s_mov_b64 vcc, s[2:3]
	v_fmac_f32_e32 v23, v27, v19
	v_div_fmas_f32 v5, v7, v18, v22
	v_cmp_class_f32_e32 vcc, v0, v4
	v_fma_f32 v11, -v14, v23, v15
	v_cndmask_b32_e64 v0, v0, 0, vcc
	s_mov_b64 vcc, s[6:7]
	v_div_fixup_f32 v3, v5, v3, 1.0
	v_div_fmas_f32 v5, v11, v19, v23
	v_div_fixup_f32 v2, v5, v2, 1.0
	v_cmp_class_f32_e32 vcc, v3, v4
	v_cndmask_b32_e64 v3, v3, 0, vcc
	v_cmp_class_f32_e32 vcc, v2, v4
	v_cndmask_b32_e64 v2, v2, 0, vcc
	s_cbranch_scc1 .LBB204_39
; %bb.4:
	v_lshlrev_b32_e32 v4, 2, v10
	global_load_dwordx4 v[4:7], v4, s[10:11]
	s_waitcnt vmcnt(0)
	v_pk_add_f32 v[4:5], v[4:5], v[0:1]
	v_pk_add_f32 v[6:7], v[6:7], v[2:3]
	s_cbranch_execnz .LBB204_6
.LBB204_5:
	v_pk_mov_b32 v[6:7], v[2:3], v[2:3] op_sel:[0,1]
	v_pk_mov_b32 v[4:5], v[0:1], v[0:1] op_sel:[0,1]
.LBB204_6:
	s_load_dwordx4 s[8:11], s[4:5], 0x30
	s_mov_b32 s25, 0
	v_cmp_eq_u32_e64 s[0:1], 0, v9
	s_waitcnt lgkmcnt(0)
	s_bitcmp1_b32 s11, 0
	s_cselect_b64 vcc, -1, 0
	s_cmp_gt_i32 s8, 0
	s_cselect_b64 s[6:7], -1, 0
	s_cmp_lt_i32 s8, 1
	s_cbranch_scc1 .LBB204_40
; %bb.7:
	v_mbcnt_lo_u32_b32 v11, -1, 0
	v_mbcnt_hi_u32_b32 v11, -1, v11
	v_and_b32_e32 v12, 64, v11
	v_add_u32_e32 v18, 64, v12
	v_xor_b32_e32 v13, 32, v11
	v_cmp_lt_i32_e64 s[2:3], v13, v18
	v_xor_b32_e32 v14, 16, v11
	v_cndmask_b32_e64 v13, v11, v13, s[2:3]
	v_cmp_lt_i32_e64 s[2:3], v14, v18
	v_xor_b32_e32 v15, 8, v11
	v_cndmask_b32_e64 v14, v11, v14, s[2:3]
	v_cmp_lt_i32_e64 s[2:3], v15, v18
	v_xor_b32_e32 v16, 4, v11
	s_load_dwordx4 s[12:15], s[4:5], 0x20
	v_cndmask_b32_e64 v15, v11, v15, s[2:3]
	v_cmp_lt_i32_e64 s[2:3], v16, v18
	v_xor_b32_e32 v17, 2, v11
	v_cndmask_b32_e64 v16, v11, v16, s[2:3]
	v_cmp_lt_i32_e64 s[2:3], v17, v18
	v_xor_b32_e32 v19, 1, v11
	v_cndmask_b32_e64 v17, v11, v17, s[2:3]
	v_cmp_lt_i32_e64 s[2:3], v19, v18
	v_cndmask_b32_e64 v11, v11, v19, s[2:3]
	v_mul_lo_u32 v12, v8, s8
	v_lshlrev_b32_e32 v13, 2, v13
	v_lshlrev_b32_e32 v14, 2, v14
	;; [unrolled: 1-line block ×6, first 2 shown]
	v_mov_b32_e32 v11, 0
	v_mov_b32_e32 v19, 0x100
	;; [unrolled: 1-line block ×4, first 2 shown]
	s_branch .LBB204_10
.LBB204_8:                              ;   in Loop: Header=BB204_10 Depth=1
	s_or_b64 exec, exec, s[4:5]
.LBB204_9:                              ;   in Loop: Header=BB204_10 Depth=1
	s_cmp_eq_u32 s8, s25
	v_add_u32_e32 v21, s24, v21
	s_cbranch_scc1 .LBB204_41
.LBB204_10:                             ; =>This Inner Loop Header: Depth=1
	v_cmp_gt_f32_e64 s[2:3], v5, v4
	v_cndmask_b32_e64 v24, v4, v5, s[2:3]
	v_cndmask_b32_e64 v22, 0, 1, s[2:3]
	;; [unrolled: 1-line block ×3, first 2 shown]
	v_cmp_gt_f32_e64 s[2:3], v6, v24
	v_cndmask_b32_e64 v24, v24, v6, s[2:3]
	v_cndmask_b32_e64 v22, v22, 2, s[2:3]
	;; [unrolled: 1-line block ×3, first 2 shown]
	v_cmp_gt_f32_e64 s[2:3], v7, v24
	v_cndmask_b32_e64 v22, v22, 3, s[2:3]
	v_cndmask_b32_e64 v24, v24, v7, s[2:3]
	v_or_b32_e32 v22, v10, v22
	v_cndmask_b32_e64 v23, v23, v3, s[2:3]
	s_waitcnt lgkmcnt(0)
	ds_bpermute_b32 v25, v13, v24
	ds_bpermute_b32 v27, v13, v23
	ds_bpermute_b32 v26, v13, v22
	s_waitcnt lgkmcnt(0)
	v_cmp_lt_f32_e64 s[20:21], v24, v25
	v_cmp_nlt_f32_e64 s[2:3], v24, v25
	s_and_saveexec_b64 s[22:23], s[2:3]
; %bb.11:                               ;   in Loop: Header=BB204_10 Depth=1
	v_cmp_eq_f32_e64 s[2:3], v24, v25
	v_cmp_lt_i32_e64 s[4:5], v26, v22
	s_and_b64 s[2:3], s[2:3], s[4:5]
	s_andn2_b64 s[4:5], s[20:21], exec
	s_and_b64 s[2:3], s[2:3], exec
	s_or_b64 s[20:21], s[4:5], s[2:3]
; %bb.12:                               ;   in Loop: Header=BB204_10 Depth=1
	s_or_b64 exec, exec, s[22:23]
	s_and_saveexec_b64 s[2:3], s[20:21]
; %bb.13:                               ;   in Loop: Header=BB204_10 Depth=1
	v_mov_b32_e32 v23, v27
	v_mov_b32_e32 v24, v25
	v_mov_b32_e32 v22, v26
; %bb.14:                               ;   in Loop: Header=BB204_10 Depth=1
	s_or_b64 exec, exec, s[2:3]
	ds_bpermute_b32 v25, v14, v24
	ds_bpermute_b32 v27, v14, v23
	;; [unrolled: 1-line block ×3, first 2 shown]
	s_waitcnt lgkmcnt(2)
	v_cmp_lt_f32_e64 s[20:21], v24, v25
	v_cmp_nlt_f32_e64 s[2:3], v24, v25
	s_and_saveexec_b64 s[22:23], s[2:3]
	s_cbranch_execz .LBB204_16
; %bb.15:                               ;   in Loop: Header=BB204_10 Depth=1
	v_cmp_eq_f32_e64 s[2:3], v24, v25
	s_waitcnt lgkmcnt(0)
	v_cmp_lt_i32_e64 s[4:5], v26, v22
	s_and_b64 s[2:3], s[2:3], s[4:5]
	s_andn2_b64 s[4:5], s[20:21], exec
	s_and_b64 s[2:3], s[2:3], exec
	s_or_b64 s[20:21], s[4:5], s[2:3]
.LBB204_16:                             ;   in Loop: Header=BB204_10 Depth=1
	s_or_b64 exec, exec, s[22:23]
	s_and_saveexec_b64 s[2:3], s[20:21]
	s_cbranch_execz .LBB204_18
; %bb.17:                               ;   in Loop: Header=BB204_10 Depth=1
	s_waitcnt lgkmcnt(1)
	v_mov_b32_e32 v23, v27
	v_mov_b32_e32 v24, v25
	s_waitcnt lgkmcnt(0)
	v_mov_b32_e32 v22, v26
.LBB204_18:                             ;   in Loop: Header=BB204_10 Depth=1
	s_or_b64 exec, exec, s[2:3]
	ds_bpermute_b32 v25, v15, v24
	s_waitcnt lgkmcnt(2)
	ds_bpermute_b32 v27, v15, v23
	s_waitcnt lgkmcnt(2)
	ds_bpermute_b32 v26, v15, v22
	s_waitcnt lgkmcnt(2)
	v_cmp_lt_f32_e64 s[20:21], v24, v25
	v_cmp_nlt_f32_e64 s[2:3], v24, v25
	s_and_saveexec_b64 s[22:23], s[2:3]
	s_cbranch_execz .LBB204_20
; %bb.19:                               ;   in Loop: Header=BB204_10 Depth=1
	v_cmp_eq_f32_e64 s[2:3], v24, v25
	s_waitcnt lgkmcnt(0)
	v_cmp_lt_i32_e64 s[4:5], v26, v22
	s_and_b64 s[2:3], s[2:3], s[4:5]
	s_andn2_b64 s[4:5], s[20:21], exec
	s_and_b64 s[2:3], s[2:3], exec
	s_or_b64 s[20:21], s[4:5], s[2:3]
.LBB204_20:                             ;   in Loop: Header=BB204_10 Depth=1
	s_or_b64 exec, exec, s[22:23]
	s_and_saveexec_b64 s[2:3], s[20:21]
	s_cbranch_execz .LBB204_22
; %bb.21:                               ;   in Loop: Header=BB204_10 Depth=1
	s_waitcnt lgkmcnt(1)
	v_mov_b32_e32 v23, v27
	v_mov_b32_e32 v24, v25
	s_waitcnt lgkmcnt(0)
	v_mov_b32_e32 v22, v26
.LBB204_22:                             ;   in Loop: Header=BB204_10 Depth=1
	s_or_b64 exec, exec, s[2:3]
	ds_bpermute_b32 v25, v16, v24
	s_waitcnt lgkmcnt(2)
	ds_bpermute_b32 v27, v16, v23
	s_waitcnt lgkmcnt(2)
	ds_bpermute_b32 v26, v16, v22
	;; [unrolled: 30-line block ×3, first 2 shown]
	s_waitcnt lgkmcnt(2)
	v_cmp_lt_f32_e64 s[20:21], v24, v25
	v_cmp_nlt_f32_e64 s[2:3], v24, v25
	s_and_saveexec_b64 s[22:23], s[2:3]
	s_cbranch_execz .LBB204_28
; %bb.27:                               ;   in Loop: Header=BB204_10 Depth=1
	v_cmp_eq_f32_e64 s[2:3], v24, v25
	s_waitcnt lgkmcnt(0)
	v_cmp_lt_i32_e64 s[4:5], v26, v22
	s_and_b64 s[2:3], s[2:3], s[4:5]
	s_andn2_b64 s[4:5], s[20:21], exec
	s_and_b64 s[2:3], s[2:3], exec
	s_or_b64 s[20:21], s[4:5], s[2:3]
.LBB204_28:                             ;   in Loop: Header=BB204_10 Depth=1
	s_or_b64 exec, exec, s[22:23]
	s_and_saveexec_b64 s[2:3], s[20:21]
	s_cbranch_execz .LBB204_30
; %bb.29:                               ;   in Loop: Header=BB204_10 Depth=1
	s_waitcnt lgkmcnt(1)
	v_mov_b32_e32 v23, v27
	v_mov_b32_e32 v24, v25
	s_waitcnt lgkmcnt(0)
	v_mov_b32_e32 v22, v26
.LBB204_30:                             ;   in Loop: Header=BB204_10 Depth=1
	s_or_b64 exec, exec, s[2:3]
	s_waitcnt lgkmcnt(1)
	ds_bpermute_b32 v27, v18, v24
	ds_bpermute_b32 v25, v18, v23
	s_waitcnt lgkmcnt(2)
	ds_bpermute_b32 v26, v18, v22
	s_waitcnt lgkmcnt(2)
	v_cmp_lt_f32_e64 s[20:21], v24, v27
	v_cmp_nlt_f32_e64 s[2:3], v24, v27
	s_and_saveexec_b64 s[22:23], s[2:3]
	s_cbranch_execnz .LBB204_34
; %bb.31:                               ;   in Loop: Header=BB204_10 Depth=1
	s_or_b64 exec, exec, s[22:23]
	s_and_saveexec_b64 s[2:3], s[20:21]
	s_cbranch_execnz .LBB204_35
.LBB204_32:                             ;   in Loop: Header=BB204_10 Depth=1
	s_or_b64 exec, exec, s[2:3]
	s_and_saveexec_b64 s[20:21], s[0:1]
	s_cbranch_execnz .LBB204_36
.LBB204_33:                             ;   in Loop: Header=BB204_10 Depth=1
	s_or_b64 exec, exec, s[20:21]
	s_add_i32 s25, s25, 1
	s_cmp_ge_i32 s25, s8
	s_cbranch_scc1 .LBB204_9
	s_branch .LBB204_37
.LBB204_34:                             ;   in Loop: Header=BB204_10 Depth=1
	v_cmp_eq_f32_e64 s[2:3], v24, v27
	s_waitcnt lgkmcnt(0)
	v_cmp_lt_i32_e64 s[4:5], v26, v22
	s_and_b64 s[2:3], s[2:3], s[4:5]
	s_andn2_b64 s[4:5], s[20:21], exec
	s_and_b64 s[2:3], s[2:3], exec
	s_or_b64 s[20:21], s[4:5], s[2:3]
	s_or_b64 exec, exec, s[22:23]
	s_and_saveexec_b64 s[2:3], s[20:21]
	s_cbranch_execz .LBB204_32
.LBB204_35:                             ;   in Loop: Header=BB204_10 Depth=1
	s_waitcnt lgkmcnt(0)
	v_mov_b32_e32 v22, v26
	v_mov_b32_e32 v23, v25
	s_or_b64 exec, exec, s[2:3]
	s_and_saveexec_b64 s[20:21], s[0:1]
	s_cbranch_execz .LBB204_33
.LBB204_36:                             ;   in Loop: Header=BB204_10 Depth=1
	v_add_u32_e32 v24, s25, v12
	s_waitcnt lgkmcnt(1)
	v_ashrrev_i32_e32 v25, 31, v24
	v_cmp_le_i32_e64 s[2:3], s9, v22
	v_cmp_gt_i32_e64 s[4:5], s10, v22
	v_lshlrev_b64 v[24:25], 2, v[24:25]
	s_and_b64 s[4:5], s[2:3], s[4:5]
	v_mov_b32_e32 v27, s17
	s_waitcnt lgkmcnt(0)
	v_add_co_u32_e64 v26, s[2:3], s16, v24
	v_addc_co_u32_e64 v27, s[2:3], v27, v25, s[2:3]
	global_store_dword v[26:27], v23, off
	v_subrev_u32_e32 v26, s9, v22
	s_and_b64 s[2:3], s[18:19], s[4:5]
	v_cndmask_b32_e64 v28, v19, v26, s[2:3]
	v_mov_b32_e32 v27, s13
	v_add_co_u32_e64 v26, s[2:3], s12, v24
	v_addc_co_u32_e64 v27, s[2:3], v27, v25, s[2:3]
	global_store_dword v[26:27], v28, off
	v_mov_b32_e32 v26, s15
	v_add_co_u32_e64 v24, s[2:3], s14, v24
	v_add_f32_e32 v23, v11, v23
	v_addc_co_u32_e64 v25, s[2:3], v26, v25, s[2:3]
	v_cndmask_b32_e32 v11, v11, v23, vcc
	global_store_dword v[24:25], v21, off
	s_or_b64 exec, exec, s[20:21]
	s_add_i32 s25, s25, 1
	s_cmp_ge_i32 s25, s8
	s_cbranch_scc1 .LBB204_9
.LBB204_37:                             ;   in Loop: Header=BB204_10 Depth=1
	v_ashrrev_i32_e32 v23, 31, v22
	v_lshrrev_b32_e32 v24, 30, v23
	s_waitcnt lgkmcnt(1)
	v_add_u32_e32 v25, v22, v24
	v_ashrrev_i32_e32 v24, 2, v25
	v_ashrrev_i32_e32 v25, 31, v25
	v_lshrrev_b32_e32 v25, 26, v25
	v_add_u32_e32 v25, v24, v25
	v_and_b32_e32 v25, 0xffffffc0, v25
	v_sub_u32_e32 v25, v24, v25
	v_cmp_eq_u32_e64 s[2:3], v9, v25
	s_and_saveexec_b64 s[4:5], s[2:3]
	s_cbranch_execz .LBB204_8
; %bb.38:                               ;   in Loop: Header=BB204_10 Depth=1
	v_add_u32_sdwa v23, v22, v23 dst_sel:DWORD dst_unused:UNUSED_PAD src0_sel:DWORD src1_sel:BYTE_3
	v_lshlrev_b32_e32 v24, 2, v24
	v_ashrrev_i32_e32 v23, 8, v23
	v_sub_u32_e32 v22, v22, v24
	v_lshl_add_u32 v22, v23, 2, v22
	v_cmp_ne_u32_e64 s[2:3], 3, v22
	v_cndmask_b32_e64 v7, v20, v7, s[2:3]
	v_cmp_ne_u32_e64 s[2:3], 2, v22
	v_cndmask_b32_e64 v6, v20, v6, s[2:3]
	;; [unrolled: 2-line block ×4, first 2 shown]
	s_branch .LBB204_8
.LBB204_39:
                                        ; implicit-def: $vgpr4_vgpr5_vgpr6_vgpr7
	s_andn2_b64 vcc, exec, s[8:9]
	s_cbranch_vccz .LBB204_5
	s_branch .LBB204_6
.LBB204_40:
	v_mov_b32_e32 v11, 0
.LBB204_41:
	v_cmp_eq_u32_e64 s[0:1], 0, v9
	s_and_b64 s[0:1], s[0:1], vcc
	s_and_b64 exec, exec, s[0:1]
	s_cbranch_execz .LBB204_50
; %bb.42:
	s_andn2_b64 vcc, exec, s[6:7]
	s_cbranch_vccnz .LBB204_50
; %bb.43:
	v_cmp_lt_f32_e32 vcc, 0, v11
	s_mov_b32 s2, 0
	v_cndmask_b32_e32 v0, 1.0, v11, vcc
	v_mul_lo_u32 v4, v8, s8
	s_cmp_eq_u32 s8, 1
	s_mov_b64 s[0:1], -1
	s_cbranch_scc1 .LBB204_47
; %bb.44:
	s_and_b32 s2, s8, 0x7ffffffe
	v_mov_b32_e32 v1, v0
	v_mov_b32_e32 v5, s17
	s_mov_b32 s3, s2
	v_mov_b32_e32 v2, v4
.LBB204_45:                             ; =>This Inner Loop Header: Depth=1
	v_ashrrev_i32_e32 v3, 31, v2
	v_lshlrev_b64 v[6:7], 2, v[2:3]
	v_add_co_u32_e32 v6, vcc, s16, v6
	v_addc_co_u32_e32 v7, vcc, v5, v7, vcc
	global_load_dwordx2 v[8:9], v[6:7], off
	s_add_i32 s3, s3, -2
	s_cmp_lg_u32 s3, 0
	v_add_u32_e32 v2, 2, v2
	s_waitcnt vmcnt(0)
	v_div_scale_f32 v3, s[0:1], v1, v1, v9
	v_div_scale_f32 v11, s[0:1], v0, v0, v8
	v_rcp_f32_e32 v12, v3
	v_rcp_f32_e32 v13, v11
	v_div_scale_f32 v10, vcc, v9, v1, v9
	v_fma_f32 v15, -v3, v12, 1.0
	v_fma_f32 v16, -v11, v13, 1.0
	v_fmac_f32_e32 v12, v15, v12
	v_div_scale_f32 v14, s[0:1], v8, v0, v8
	v_fmac_f32_e32 v13, v16, v13
	v_mul_f32_e32 v15, v10, v12
	v_mul_f32_e32 v16, v14, v13
	v_fma_f32 v17, -v3, v15, v10
	v_fma_f32 v18, -v11, v16, v14
	v_fmac_f32_e32 v15, v17, v12
	v_fmac_f32_e32 v16, v18, v13
	v_fma_f32 v3, -v3, v15, v10
	v_fma_f32 v10, -v11, v16, v14
	v_div_fmas_f32 v3, v3, v12, v15
	s_mov_b64 vcc, s[0:1]
	v_div_fixup_f32 v9, v3, v1, v9
	v_div_fmas_f32 v3, v10, v13, v16
	v_div_fixup_f32 v8, v3, v0, v8
	global_store_dwordx2 v[6:7], v[8:9], off
	s_cbranch_scc1 .LBB204_45
; %bb.46:
	s_cmp_lg_u32 s2, s8
	s_cselect_b64 s[0:1], -1, 0
.LBB204_47:
	s_and_b64 vcc, exec, s[0:1]
	s_cbranch_vccz .LBB204_50
; %bb.48:
	v_ashrrev_i32_e32 v1, 31, v4
	v_add_co_u32_e32 v2, vcc, s2, v4
	v_addc_co_u32_e32 v3, vcc, 0, v1, vcc
	v_lshlrev_b64 v[2:3], 2, v[2:3]
	v_mov_b32_e32 v1, s17
	v_add_co_u32_e32 v2, vcc, s16, v2
	s_sub_i32 s0, s8, s2
	v_addc_co_u32_e32 v3, vcc, v1, v3, vcc
.LBB204_49:                             ; =>This Inner Loop Header: Depth=1
	global_load_dword v1, v[2:3], off
	s_add_i32 s0, s0, -1
	s_cmp_lg_u32 s0, 0
	s_waitcnt vmcnt(0)
	v_div_scale_f32 v4, s[2:3], v0, v0, v1
	v_rcp_f32_e32 v5, v4
	v_div_scale_f32 v6, vcc, v1, v0, v1
	v_fma_f32 v7, -v4, v5, 1.0
	v_fmac_f32_e32 v5, v7, v5
	v_mul_f32_e32 v7, v6, v5
	v_fma_f32 v8, -v4, v7, v6
	v_fmac_f32_e32 v7, v8, v5
	v_fma_f32 v4, -v4, v7, v6
	v_div_fmas_f32 v4, v4, v5, v7
	v_div_fixup_f32 v1, v4, v0, v1
	global_store_dword v[2:3], v1, off
	v_add_co_u32_e32 v2, vcc, 4, v2
	v_addc_co_u32_e32 v3, vcc, 0, v3, vcc
	s_cbranch_scc1 .LBB204_49
.LBB204_50:
	s_endpgm
	.section	.rodata,"a",@progbits
	.p2align	6, 0x0
	.amdhsa_kernel _ZN4vllm3moe10topkGatingILi4ELi256ELi4ELi16ELi64EifLNS0_11ScoringFuncE1EEEvPKT5_PKbPfiPT4_PiiiibPKf
		.amdhsa_group_segment_fixed_size 0
		.amdhsa_private_segment_fixed_size 0
		.amdhsa_kernarg_size 72
		.amdhsa_user_sgpr_count 6
		.amdhsa_user_sgpr_private_segment_buffer 1
		.amdhsa_user_sgpr_dispatch_ptr 0
		.amdhsa_user_sgpr_queue_ptr 0
		.amdhsa_user_sgpr_kernarg_segment_ptr 1
		.amdhsa_user_sgpr_dispatch_id 0
		.amdhsa_user_sgpr_flat_scratch_init 0
		.amdhsa_user_sgpr_kernarg_preload_length 0
		.amdhsa_user_sgpr_kernarg_preload_offset 0
		.amdhsa_user_sgpr_private_segment_size 0
		.amdhsa_uses_dynamic_stack 0
		.amdhsa_system_sgpr_private_segment_wavefront_offset 0
		.amdhsa_system_sgpr_workgroup_id_x 1
		.amdhsa_system_sgpr_workgroup_id_y 0
		.amdhsa_system_sgpr_workgroup_id_z 0
		.amdhsa_system_sgpr_workgroup_info 0
		.amdhsa_system_vgpr_workitem_id 1
		.amdhsa_next_free_vgpr 29
		.amdhsa_next_free_sgpr 26
		.amdhsa_accum_offset 32
		.amdhsa_reserve_vcc 1
		.amdhsa_reserve_flat_scratch 0
		.amdhsa_float_round_mode_32 0
		.amdhsa_float_round_mode_16_64 0
		.amdhsa_float_denorm_mode_32 3
		.amdhsa_float_denorm_mode_16_64 3
		.amdhsa_dx10_clamp 1
		.amdhsa_ieee_mode 1
		.amdhsa_fp16_overflow 0
		.amdhsa_tg_split 0
		.amdhsa_exception_fp_ieee_invalid_op 0
		.amdhsa_exception_fp_denorm_src 0
		.amdhsa_exception_fp_ieee_div_zero 0
		.amdhsa_exception_fp_ieee_overflow 0
		.amdhsa_exception_fp_ieee_underflow 0
		.amdhsa_exception_fp_ieee_inexact 0
		.amdhsa_exception_int_div_zero 0
	.end_amdhsa_kernel
	.section	.text._ZN4vllm3moe10topkGatingILi4ELi256ELi4ELi16ELi64EifLNS0_11ScoringFuncE1EEEvPKT5_PKbPfiPT4_PiiiibPKf,"axG",@progbits,_ZN4vllm3moe10topkGatingILi4ELi256ELi4ELi16ELi64EifLNS0_11ScoringFuncE1EEEvPKT5_PKbPfiPT4_PiiiibPKf,comdat
.Lfunc_end204:
	.size	_ZN4vllm3moe10topkGatingILi4ELi256ELi4ELi16ELi64EifLNS0_11ScoringFuncE1EEEvPKT5_PKbPfiPT4_PiiiibPKf, .Lfunc_end204-_ZN4vllm3moe10topkGatingILi4ELi256ELi4ELi16ELi64EifLNS0_11ScoringFuncE1EEEvPKT5_PKbPfiPT4_PiiiibPKf
                                        ; -- End function
	.section	.AMDGPU.csdata,"",@progbits
; Kernel info:
; codeLenInByte = 2664
; NumSgprs: 30
; NumVgprs: 29
; NumAgprs: 0
; TotalNumVgprs: 29
; ScratchSize: 0
; MemoryBound: 0
; FloatMode: 240
; IeeeMode: 1
; LDSByteSize: 0 bytes/workgroup (compile time only)
; SGPRBlocks: 3
; VGPRBlocks: 3
; NumSGPRsForWavesPerEU: 30
; NumVGPRsForWavesPerEU: 29
; AccumOffset: 32
; Occupancy: 8
; WaveLimiterHint : 0
; COMPUTE_PGM_RSRC2:SCRATCH_EN: 0
; COMPUTE_PGM_RSRC2:USER_SGPR: 6
; COMPUTE_PGM_RSRC2:TRAP_HANDLER: 0
; COMPUTE_PGM_RSRC2:TGID_X_EN: 1
; COMPUTE_PGM_RSRC2:TGID_Y_EN: 0
; COMPUTE_PGM_RSRC2:TGID_Z_EN: 0
; COMPUTE_PGM_RSRC2:TIDIG_COMP_CNT: 1
; COMPUTE_PGM_RSRC3_GFX90A:ACCUM_OFFSET: 7
; COMPUTE_PGM_RSRC3_GFX90A:TG_SPLIT: 0
	.section	.text._ZN4vllm3moe10topkGatingILi8ELi256ELi4ELi16ELi32EifLNS0_11ScoringFuncE1EEEvPKT5_PKbPfiPT4_PiiiibPKf,"axG",@progbits,_ZN4vllm3moe10topkGatingILi8ELi256ELi4ELi16ELi32EifLNS0_11ScoringFuncE1EEEvPKT5_PKbPfiPT4_PiiiibPKf,comdat
	.protected	_ZN4vllm3moe10topkGatingILi8ELi256ELi4ELi16ELi32EifLNS0_11ScoringFuncE1EEEvPKT5_PKbPfiPT4_PiiiibPKf ; -- Begin function _ZN4vllm3moe10topkGatingILi8ELi256ELi4ELi16ELi32EifLNS0_11ScoringFuncE1EEEvPKT5_PKbPfiPT4_PiiiibPKf
	.globl	_ZN4vllm3moe10topkGatingILi8ELi256ELi4ELi16ELi32EifLNS0_11ScoringFuncE1EEEvPKT5_PKbPfiPT4_PiiiibPKf
	.p2align	8
	.type	_ZN4vllm3moe10topkGatingILi8ELi256ELi4ELi16ELi32EifLNS0_11ScoringFuncE1EEEvPKT5_PKbPfiPT4_PiiiibPKf,@function
_ZN4vllm3moe10topkGatingILi8ELi256ELi4ELi16ELi32EifLNS0_11ScoringFuncE1EEEvPKT5_PKbPfiPT4_PiiiibPKf: ; @_ZN4vllm3moe10topkGatingILi8ELi256ELi4ELi16ELi32EifLNS0_11ScoringFuncE1EEEvPKT5_PKbPfiPT4_PiiiibPKf
; %bb.0:
	s_load_dword s24, s[4:5], 0x18
	v_and_b32_e32 v1, 0x3ff, v0
	s_lshl_b32 s0, s6, 2
	v_lshrrev_b32_e32 v2, 5, v1
	v_bfe_u32 v0, v0, 10, 10
	v_add3_u32 v17, s0, v0, v2
	s_waitcnt lgkmcnt(0)
	v_cmp_gt_i32_e32 vcc, s24, v17
	s_and_saveexec_b64 s[0:1], vcc
	s_cbranch_execz .LBB205_42
; %bb.1:
	s_load_dwordx4 s[0:3], s[4:5], 0x0
	s_load_dwordx2 s[16:17], s[4:5], 0x10
	s_mov_b64 s[8:9], -1
	s_mov_b64 s[18:19], -1
	s_waitcnt lgkmcnt(0)
	s_cmp_eq_u64 s[2:3], 0
	s_cbranch_scc1 .LBB205_3
; %bb.2:
	v_ashrrev_i32_e32 v0, 31, v17
	v_mov_b32_e32 v3, s3
	v_add_co_u32_e32 v2, vcc, s2, v17
	v_addc_co_u32_e32 v3, vcc, v3, v0, vcc
	global_load_ubyte v0, v[2:3], off
	s_waitcnt vmcnt(0)
	v_and_b32_e32 v0, 1, v0
	v_cmp_eq_u32_e32 vcc, 1, v0
	s_xor_b64 s[2:3], vcc, -1
	s_orn2_b64 s[18:19], s[2:3], exec
.LBB205_3:
	v_lshlrev_b32_e32 v2, 8, v17
	v_ashrrev_i32_e32 v3, 31, v2
	v_lshlrev_b64 v[2:3], 2, v[2:3]
	v_mov_b32_e32 v0, s1
	v_add_co_u32_e32 v2, vcc, s0, v2
	v_and_b32_e32 v21, 31, v1
	v_addc_co_u32_e32 v0, vcc, v0, v3, vcc
	v_lshlrev_b32_e32 v1, 4, v21
	v_add_co_u32_e32 v8, vcc, v2, v1
	v_addc_co_u32_e32 v9, vcc, 0, v0, vcc
	global_load_dwordx4 v[0:3], v[8:9], off
	global_load_dwordx4 v[4:7], v[8:9], off offset:512
	v_mov_b32_e32 v8, 0x207
	s_load_dwordx2 s[10:11], s[4:5], 0x40
	v_lshlrev_b32_e32 v22, 2, v21
	s_waitcnt lgkmcnt(0)
	s_cmp_eq_u64 s[10:11], 0
	s_waitcnt vmcnt(1)
	v_mul_f32_e32 v0, 0xbfb8aa3b, v0
	v_mul_f32_e32 v1, 0xbfb8aa3b, v1
	v_exp_f32_e32 v0, v0
	v_exp_f32_e32 v1, v1
	s_waitcnt vmcnt(0)
	v_mul_f32_e32 v4, 0xbfb8aa3b, v4
	v_mul_f32_e32 v5, 0xbfb8aa3b, v5
	v_exp_f32_e32 v4, v4
	v_exp_f32_e32 v5, v5
	v_mul_f32_e32 v2, 0xbfb8aa3b, v2
	v_mul_f32_e32 v3, 0xbfb8aa3b, v3
	v_exp_f32_e32 v2, v2
	v_exp_f32_e32 v3, v3
	v_pk_add_f32 v[0:1], v[0:1], 1.0 op_sel_hi:[1,0]
	v_div_scale_f32 v9, s[0:1], v1, v1, 1.0
	v_pk_add_f32 v[4:5], v[4:5], 1.0 op_sel_hi:[1,0]
	v_rcp_f32_e32 v19, v9
	v_div_scale_f32 v11, s[0:1], v0, v0, 1.0
	v_div_scale_f32 v18, s[12:13], v5, v5, 1.0
	v_pk_add_f32 v[2:3], v[2:3], 1.0 op_sel_hi:[1,0]
	v_rcp_f32_e32 v20, v11
	v_rcp_f32_e32 v25, v18
	v_div_scale_f32 v13, s[2:3], v3, v3, 1.0
	v_rcp_f32_e32 v23, v13
	v_fma_f32 v26, -v9, v19, 1.0
	v_div_scale_f32 v10, vcc, 1.0, v1, 1.0
	v_div_scale_f32 v15, s[6:7], v2, v2, 1.0
	v_fmac_f32_e32 v19, v26, v19
	v_rcp_f32_e32 v24, v15
	v_fma_f32 v27, -v11, v20, 1.0
	v_fma_f32 v30, -v18, v25, 1.0
	v_mul_f32_e32 v26, v10, v19
	v_div_scale_f32 v12, s[0:1], 1.0, v0, 1.0
	v_fmac_f32_e32 v20, v27, v20
	v_fmac_f32_e32 v25, v30, v25
	v_fma_f32 v30, -v9, v26, v10
	v_fma_f32 v28, -v13, v23, 1.0
	v_mul_f32_e32 v27, v12, v20
	v_fmac_f32_e32 v26, v30, v19
	v_div_scale_f32 v14, s[2:3], 1.0, v3, 1.0
	v_fmac_f32_e32 v23, v28, v23
	v_fma_f32 v31, -v11, v27, v12
	v_fma_f32 v9, -v9, v26, v10
	v_fma_f32 v29, -v15, v24, 1.0
	v_mul_f32_e32 v28, v14, v23
	v_fmac_f32_e32 v27, v31, v20
	v_div_fmas_f32 v9, v9, v19, v26
	v_div_scale_f32 v16, s[6:7], 1.0, v2, 1.0
	v_fmac_f32_e32 v24, v29, v24
	v_fma_f32 v32, -v13, v28, v14
	v_fma_f32 v10, -v11, v27, v12
	v_div_fixup_f32 v1, v9, v1, 1.0
	s_mov_b64 vcc, s[0:1]
	v_mul_f32_e32 v29, v16, v24
	v_fmac_f32_e32 v28, v32, v23
	v_div_fmas_f32 v9, v10, v20, v27
	v_cmp_class_f32_e32 vcc, v1, v8
	v_fma_f32 v33, -v15, v29, v16
	v_fma_f32 v11, -v13, v28, v14
	v_div_fixup_f32 v0, v9, v0, 1.0
	v_cndmask_b32_e64 v1, v1, 0, vcc
	s_mov_b64 vcc, s[2:3]
	v_fmac_f32_e32 v29, v33, v24
	v_div_fmas_f32 v9, v11, v23, v28
	v_cmp_class_f32_e32 vcc, v0, v8
	v_fma_f32 v12, -v15, v29, v16
	v_cndmask_b32_e64 v0, v0, 0, vcc
	s_mov_b64 vcc, s[6:7]
	v_div_fixup_f32 v3, v9, v3, 1.0
	v_div_fmas_f32 v9, v12, v24, v29
	v_div_fixup_f32 v2, v9, v2, 1.0
	v_cmp_class_f32_e32 vcc, v3, v8
	v_cndmask_b32_e64 v3, v3, 0, vcc
	v_cmp_class_f32_e32 vcc, v2, v8
	v_cndmask_b32_e64 v2, v2, 0, vcc
	v_div_scale_f32 v9, vcc, 1.0, v5, 1.0
	v_mul_f32_e32 v10, v9, v25
	v_fma_f32 v11, -v18, v10, v9
	v_fmac_f32_e32 v10, v11, v25
	v_div_scale_f32 v11, s[0:1], v4, v4, 1.0
	v_rcp_f32_e32 v12, v11
	v_fma_f32 v9, -v18, v10, v9
	v_div_fmas_f32 v9, v9, v25, v10
	v_div_fixup_f32 v5, v9, v5, 1.0
	v_fma_f32 v9, -v11, v12, 1.0
	v_mul_f32_e32 v6, 0xbfb8aa3b, v6
	v_mul_f32_e32 v7, 0xbfb8aa3b, v7
	v_fmac_f32_e32 v12, v9, v12
	v_div_scale_f32 v9, vcc, 1.0, v4, 1.0
	v_exp_f32_e32 v6, v6
	v_exp_f32_e32 v7, v7
	v_mul_f32_e32 v10, v9, v12
	v_fma_f32 v13, -v11, v10, v9
	v_fmac_f32_e32 v10, v13, v12
	v_fma_f32 v9, -v11, v10, v9
	v_div_fmas_f32 v9, v9, v12, v10
	v_pk_add_f32 v[6:7], v[6:7], 1.0 op_sel_hi:[1,0]
	v_div_fixup_f32 v4, v9, v4, 1.0
	v_div_scale_f32 v9, s[0:1], v7, v7, 1.0
	v_rcp_f32_e32 v10, v9
	v_cmp_class_f32_e32 vcc, v5, v8
	v_cndmask_b32_e64 v5, v5, 0, vcc
	v_cmp_class_f32_e32 vcc, v4, v8
	v_fma_f32 v11, -v9, v10, 1.0
	v_cndmask_b32_e64 v4, v4, 0, vcc
	v_fmac_f32_e32 v10, v11, v10
	v_div_scale_f32 v11, vcc, 1.0, v7, 1.0
	v_mul_f32_e32 v12, v11, v10
	v_fma_f32 v13, -v9, v12, v11
	v_fmac_f32_e32 v12, v13, v10
	v_fma_f32 v9, -v9, v12, v11
	v_div_scale_f32 v11, s[0:1], v6, v6, 1.0
	v_rcp_f32_e32 v13, v11
	v_div_fmas_f32 v9, v9, v10, v12
	v_div_fixup_f32 v7, v9, v7, 1.0
	v_fma_f32 v9, -v11, v13, 1.0
	v_fmac_f32_e32 v13, v9, v13
	v_div_scale_f32 v9, vcc, 1.0, v6, 1.0
	v_mul_f32_e32 v10, v9, v13
	v_fma_f32 v12, -v11, v10, v9
	v_fmac_f32_e32 v10, v12, v13
	v_fma_f32 v9, -v11, v10, v9
	v_div_fmas_f32 v9, v9, v13, v10
	v_div_fixup_f32 v6, v9, v6, 1.0
	v_cmp_class_f32_e32 vcc, v7, v8
	v_cndmask_b32_e64 v7, v7, 0, vcc
	v_cmp_class_f32_e32 vcc, v6, v8
	v_cndmask_b32_e64 v6, v6, 0, vcc
	s_cbranch_scc1 .LBB205_31
; %bb.4:
	v_lshlrev_b32_e32 v16, 2, v22
	global_load_dwordx4 v[8:11], v16, s[10:11]
	global_load_dwordx4 v[12:15], v16, s[10:11] offset:512
	s_waitcnt vmcnt(1)
	v_pk_add_f32 v[8:9], v[8:9], v[0:1]
	v_pk_add_f32 v[10:11], v[10:11], v[2:3]
	s_waitcnt vmcnt(0)
	v_pk_add_f32 v[12:13], v[12:13], v[4:5]
	v_pk_add_f32 v[14:15], v[14:15], v[6:7]
	s_cbranch_execnz .LBB205_6
.LBB205_5:
	v_pk_mov_b32 v[14:15], v[6:7], v[6:7] op_sel:[0,1]
	v_pk_mov_b32 v[12:13], v[4:5], v[4:5] op_sel:[0,1]
	;; [unrolled: 1-line block ×4, first 2 shown]
.LBB205_6:
	s_load_dwordx4 s[8:11], s[4:5], 0x30
	s_mov_b32 s25, 0
	v_cmp_eq_u32_e64 s[0:1], 0, v21
	s_waitcnt lgkmcnt(0)
	s_bitcmp1_b32 s11, 0
	s_cselect_b64 vcc, -1, 0
	s_cmp_gt_i32 s8, 0
	s_cselect_b64 s[20:21], -1, 0
	s_cmp_lt_i32 s8, 1
	s_cbranch_scc1 .LBB205_32
; %bb.7:
	v_mbcnt_lo_u32_b32 v16, -1, 0
	v_mbcnt_hi_u32_b32 v16, -1, v16
	v_and_b32_e32 v18, 0x60, v16
	v_add_u32_e32 v18, 32, v18
	v_xor_b32_e32 v19, 16, v16
	v_cmp_lt_i32_e64 s[2:3], v19, v18
	v_cndmask_b32_e64 v19, v16, v19, s[2:3]
	v_lshlrev_b32_e32 v25, 2, v19
	v_xor_b32_e32 v19, 8, v16
	v_cmp_lt_i32_e64 s[2:3], v19, v18
	v_cndmask_b32_e64 v19, v16, v19, s[2:3]
	v_lshlrev_b32_e32 v26, 2, v19
	;; [unrolled: 4-line block ×3, first 2 shown]
	v_xor_b32_e32 v19, 2, v16
	v_cmp_lt_i32_e64 s[2:3], v19, v18
	s_load_dwordx4 s[12:15], s[4:5], 0x20
	v_cndmask_b32_e64 v19, v16, v19, s[2:3]
	v_lshlrev_b32_e32 v28, 2, v19
	v_xor_b32_e32 v19, 1, v16
	v_cmp_lt_i32_e64 s[2:3], v19, v18
	v_cndmask_b32_e64 v16, v16, v19, s[2:3]
	v_mul_lo_u32 v24, v17, s8
	v_lshlrev_b32_e32 v29, 2, v16
	v_mov_b32_e32 v23, 0
	v_mov_b32_e32 v30, 0x80
	;; [unrolled: 1-line block ×8, first 2 shown]
	s_branch .LBB205_10
.LBB205_8:                              ;   in Loop: Header=BB205_10 Depth=1
	s_or_b64 exec, exec, s[4:5]
.LBB205_9:                              ;   in Loop: Header=BB205_10 Depth=1
	s_cmp_eq_u32 s8, s25
	v_add_u32_e32 v36, s24, v36
	s_cbranch_scc1 .LBB205_33
.LBB205_10:                             ; =>This Inner Loop Header: Depth=1
	v_cmp_gt_f32_e64 s[2:3], v9, v8
	s_waitcnt lgkmcnt(0)
	v_cndmask_b32_e64 v19, v8, v9, s[2:3]
	v_cndmask_b32_e64 v16, 0, 1, s[2:3]
	v_cndmask_b32_e64 v18, v0, v1, s[2:3]
	v_cmp_gt_f32_e64 s[2:3], v10, v19
	v_cndmask_b32_e64 v19, v19, v10, s[2:3]
	v_cndmask_b32_e64 v16, v16, 2, s[2:3]
	v_cndmask_b32_e64 v18, v18, v2, s[2:3]
	v_cmp_gt_f32_e64 s[2:3], v11, v19
	;; [unrolled: 4-line block ×6, first 2 shown]
	v_cndmask_b32_e64 v16, v16, v33, s[2:3]
	v_cndmask_b32_e64 v37, v19, v15, s[2:3]
	v_or_b32_e32 v38, v22, v16
	v_cndmask_b32_e64 v16, v18, v7, s[2:3]
	ds_bpermute_b32 v40, v25, v37
	ds_bpermute_b32 v20, v25, v16
	;; [unrolled: 1-line block ×3, first 2 shown]
                                        ; implicit-def: $vgpr18_vgpr19
	s_waitcnt lgkmcnt(0)
	v_cmp_lt_f32_e64 s[6:7], v37, v40
	v_cmp_nlt_f32_e64 s[2:3], v37, v40
	s_and_saveexec_b64 s[22:23], s[2:3]
; %bb.11:                               ;   in Loop: Header=BB205_10 Depth=1
	v_cmp_eq_f32_e64 s[2:3], v37, v40
	v_cmp_lt_i32_e64 s[4:5], v39, v38
	s_and_b64 s[2:3], s[2:3], s[4:5]
	s_andn2_b64 s[4:5], s[6:7], exec
	s_and_b64 s[2:3], s[2:3], exec
	s_or_b64 s[6:7], s[4:5], s[2:3]
	v_pk_mov_b32 v[18:19], v[16:17], v[16:17] op_sel:[0,1]
; %bb.12:                               ;   in Loop: Header=BB205_10 Depth=1
	s_or_b64 exec, exec, s[22:23]
	s_and_saveexec_b64 s[2:3], s[6:7]
; %bb.13:                               ;   in Loop: Header=BB205_10 Depth=1
	v_mov_b32_e32 v37, v40
	v_mov_b32_e32 v16, v20
	;; [unrolled: 1-line block ×3, first 2 shown]
	v_pk_mov_b32 v[18:19], v[20:21], v[20:21] op_sel:[0,1]
; %bb.14:                               ;   in Loop: Header=BB205_10 Depth=1
	s_or_b64 exec, exec, s[2:3]
	ds_bpermute_b32 v39, v26, v37
	ds_bpermute_b32 v20, v26, v16
	;; [unrolled: 1-line block ×3, first 2 shown]
	s_waitcnt lgkmcnt(2)
	v_cmp_lt_f32_e64 s[6:7], v37, v39
	v_cmp_nlt_f32_e64 s[2:3], v37, v39
	s_and_saveexec_b64 s[22:23], s[2:3]
	s_cbranch_execz .LBB205_16
; %bb.15:                               ;   in Loop: Header=BB205_10 Depth=1
	v_cmp_eq_f32_e64 s[2:3], v37, v39
	s_waitcnt lgkmcnt(0)
	v_cmp_lt_i32_e64 s[4:5], v19, v38
	s_and_b64 s[2:3], s[2:3], s[4:5]
	s_andn2_b64 s[4:5], s[6:7], exec
	s_and_b64 s[2:3], s[2:3], exec
	s_or_b64 s[6:7], s[4:5], s[2:3]
.LBB205_16:                             ;   in Loop: Header=BB205_10 Depth=1
	s_or_b64 exec, exec, s[22:23]
	s_and_saveexec_b64 s[2:3], s[6:7]
	s_cbranch_execz .LBB205_18
; %bb.17:                               ;   in Loop: Header=BB205_10 Depth=1
	v_mov_b32_e32 v37, v39
	s_waitcnt lgkmcnt(1)
	v_mov_b32_e32 v16, v20
	s_waitcnt lgkmcnt(0)
	v_mov_b32_e32 v38, v19
	v_pk_mov_b32 v[18:19], v[20:21], v[20:21] op_sel:[0,1]
.LBB205_18:                             ;   in Loop: Header=BB205_10 Depth=1
	s_or_b64 exec, exec, s[2:3]
	ds_bpermute_b32 v39, v27, v37
	s_waitcnt lgkmcnt(2)
	ds_bpermute_b32 v20, v27, v16
	s_waitcnt lgkmcnt(2)
	ds_bpermute_b32 v19, v27, v38
	s_waitcnt lgkmcnt(2)
	v_cmp_lt_f32_e64 s[6:7], v37, v39
	v_cmp_nlt_f32_e64 s[2:3], v37, v39
	s_and_saveexec_b64 s[22:23], s[2:3]
	s_cbranch_execz .LBB205_20
; %bb.19:                               ;   in Loop: Header=BB205_10 Depth=1
	v_cmp_eq_f32_e64 s[2:3], v37, v39
	s_waitcnt lgkmcnt(0)
	v_cmp_lt_i32_e64 s[4:5], v19, v38
	s_and_b64 s[2:3], s[2:3], s[4:5]
	s_andn2_b64 s[4:5], s[6:7], exec
	s_and_b64 s[2:3], s[2:3], exec
	s_or_b64 s[6:7], s[4:5], s[2:3]
.LBB205_20:                             ;   in Loop: Header=BB205_10 Depth=1
	s_or_b64 exec, exec, s[22:23]
	s_and_saveexec_b64 s[2:3], s[6:7]
	s_cbranch_execz .LBB205_22
; %bb.21:                               ;   in Loop: Header=BB205_10 Depth=1
	v_mov_b32_e32 v37, v39
	s_waitcnt lgkmcnt(1)
	v_mov_b32_e32 v16, v20
	s_waitcnt lgkmcnt(0)
	v_mov_b32_e32 v38, v19
	v_pk_mov_b32 v[18:19], v[20:21], v[20:21] op_sel:[0,1]
.LBB205_22:                             ;   in Loop: Header=BB205_10 Depth=1
	s_or_b64 exec, exec, s[2:3]
	ds_bpermute_b32 v39, v28, v37
	s_waitcnt lgkmcnt(2)
	ds_bpermute_b32 v20, v28, v16
	s_waitcnt lgkmcnt(2)
	;; [unrolled: 2-line block ×3, first 2 shown]
	v_cmp_lt_f32_e64 s[6:7], v37, v39
	v_cmp_nlt_f32_e64 s[2:3], v37, v39
	s_and_saveexec_b64 s[22:23], s[2:3]
	s_cbranch_execz .LBB205_24
; %bb.23:                               ;   in Loop: Header=BB205_10 Depth=1
	v_cmp_eq_f32_e64 s[2:3], v37, v39
	s_waitcnt lgkmcnt(0)
	v_cmp_lt_i32_e64 s[4:5], v19, v38
	s_and_b64 s[2:3], s[2:3], s[4:5]
	s_andn2_b64 s[4:5], s[6:7], exec
	s_and_b64 s[2:3], s[2:3], exec
	s_or_b64 s[6:7], s[4:5], s[2:3]
.LBB205_24:                             ;   in Loop: Header=BB205_10 Depth=1
	s_or_b64 exec, exec, s[22:23]
	s_and_saveexec_b64 s[2:3], s[6:7]
	s_cbranch_execz .LBB205_26
; %bb.25:                               ;   in Loop: Header=BB205_10 Depth=1
	v_mov_b32_e32 v37, v39
	s_waitcnt lgkmcnt(1)
	v_mov_b32_e32 v16, v20
	s_waitcnt lgkmcnt(0)
	v_mov_b32_e32 v38, v19
	v_pk_mov_b32 v[18:19], v[20:21], v[20:21] op_sel:[0,1]
.LBB205_26:                             ;   in Loop: Header=BB205_10 Depth=1
	s_or_b64 exec, exec, s[2:3]
	s_waitcnt lgkmcnt(1)
	ds_bpermute_b32 v20, v29, v37
	ds_bpermute_b32 v39, v29, v38
	s_waitcnt lgkmcnt(2)
	ds_bpermute_b32 v19, v29, v16
	s_waitcnt lgkmcnt(2)
	v_cmp_eq_f32_e64 s[4:5], v37, v20
	s_waitcnt lgkmcnt(1)
	v_cmp_lt_i32_e64 s[6:7], v39, v38
	v_cmp_lt_f32_e64 s[2:3], v37, v20
	s_and_b64 s[4:5], s[4:5], s[6:7]
	s_or_b64 s[2:3], s[2:3], s[4:5]
	v_cndmask_b32_e64 v16, v38, v39, s[2:3]
	s_and_saveexec_b64 s[6:7], s[0:1]
	s_cbranch_execnz .LBB205_28
; %bb.27:                               ;   in Loop: Header=BB205_10 Depth=1
	s_or_b64 exec, exec, s[6:7]
	s_add_i32 s25, s25, 1
	s_cmp_ge_i32 s25, s8
	s_cbranch_scc1 .LBB205_9
	s_branch .LBB205_29
.LBB205_28:                             ;   in Loop: Header=BB205_10 Depth=1
	s_waitcnt lgkmcnt(0)
	v_cndmask_b32_e64 v20, v18, v19, s[2:3]
	v_add_u32_e32 v18, s25, v24
	v_ashrrev_i32_e32 v19, 31, v18
	v_cmp_le_i32_e64 s[2:3], s9, v16
	v_cmp_gt_i32_e64 s[4:5], s10, v16
	v_lshlrev_b64 v[18:19], 2, v[18:19]
	s_and_b64 s[4:5], s[2:3], s[4:5]
	v_mov_b32_e32 v37, s17
	v_add_co_u32_e64 v38, s[2:3], s16, v18
	v_addc_co_u32_e64 v39, s[2:3], v37, v19, s[2:3]
	v_subrev_u32_e32 v37, s9, v16
	s_and_b64 s[2:3], s[18:19], s[4:5]
	global_store_dword v[38:39], v20, off
	v_cndmask_b32_e64 v37, v34, v37, s[2:3]
	v_mov_b32_e32 v39, s13
	v_add_co_u32_e64 v38, s[2:3], s12, v18
	v_addc_co_u32_e64 v39, s[2:3], v39, v19, s[2:3]
	global_store_dword v[38:39], v37, off
	v_mov_b32_e32 v37, s15
	v_add_co_u32_e64 v18, s[2:3], s14, v18
	v_addc_co_u32_e64 v19, s[2:3], v37, v19, s[2:3]
	global_store_dword v[18:19], v36, off
	v_add_f32_e32 v18, v23, v20
	v_cndmask_b32_e32 v23, v23, v18, vcc
	s_or_b64 exec, exec, s[6:7]
	s_add_i32 s25, s25, 1
	s_cmp_ge_i32 s25, s8
	s_cbranch_scc1 .LBB205_9
.LBB205_29:                             ;   in Loop: Header=BB205_10 Depth=1
	s_waitcnt lgkmcnt(0)
	v_ashrrev_i32_e32 v19, 31, v16
	v_lshrrev_b32_e32 v18, 30, v19
	v_add_u32_e32 v20, v16, v18
	v_ashrrev_i32_e32 v18, 2, v20
	v_ashrrev_i32_e32 v20, 31, v20
	v_lshrrev_b32_e32 v20, 27, v20
	v_add_u32_e32 v20, v18, v20
	v_and_b32_e32 v20, 0xffffffe0, v20
	v_sub_u32_e32 v20, v18, v20
	v_cmp_eq_u32_e64 s[2:3], v21, v20
	s_and_saveexec_b64 s[4:5], s[2:3]
	s_cbranch_execz .LBB205_8
; %bb.30:                               ;   in Loop: Header=BB205_10 Depth=1
	v_lshrrev_b32_e32 v19, 25, v19
	v_add_u32_e32 v19, v16, v19
	v_lshlrev_b32_e32 v18, 2, v18
	v_ashrrev_i32_e32 v19, 7, v19
	v_sub_u32_e32 v16, v16, v18
	v_lshl_add_u32 v16, v19, 2, v16
	v_cmp_ne_u32_e64 s[2:3], 7, v16
	v_cndmask_b32_e64 v15, v35, v15, s[2:3]
	v_cmp_ne_u32_e64 s[2:3], 6, v16
	v_cndmask_b32_e64 v14, v35, v14, s[2:3]
	;; [unrolled: 2-line block ×8, first 2 shown]
	s_branch .LBB205_8
.LBB205_31:
                                        ; implicit-def: $vgpr8_vgpr9_vgpr10_vgpr11_vgpr12_vgpr13_vgpr14_vgpr15
	s_andn2_b64 vcc, exec, s[8:9]
	s_cbranch_vccz .LBB205_5
	s_branch .LBB205_6
.LBB205_32:
	v_mov_b32_e32 v23, 0
.LBB205_33:
	v_cmp_eq_u32_e64 s[0:1], 0, v21
	s_and_b64 s[0:1], s[0:1], vcc
	s_and_b64 exec, exec, s[0:1]
	s_cbranch_execz .LBB205_42
; %bb.34:
	s_andn2_b64 vcc, exec, s[20:21]
	s_cbranch_vccnz .LBB205_42
; %bb.35:
	v_cmp_lt_f32_e32 vcc, 0, v23
	s_mov_b32 s2, 0
	v_cndmask_b32_e32 v0, 1.0, v23, vcc
	v_mul_lo_u32 v4, v17, s8
	s_cmp_eq_u32 s8, 1
	s_mov_b64 s[0:1], -1
	s_cbranch_scc1 .LBB205_39
; %bb.36:
	s_and_b32 s2, s8, 0x7ffffffe
	v_mov_b32_e32 v1, v0
	v_mov_b32_e32 v5, s17
	s_mov_b32 s3, s2
	v_mov_b32_e32 v2, v4
.LBB205_37:                             ; =>This Inner Loop Header: Depth=1
	v_ashrrev_i32_e32 v3, 31, v2
	v_lshlrev_b64 v[6:7], 2, v[2:3]
	v_add_co_u32_e32 v6, vcc, s16, v6
	v_addc_co_u32_e32 v7, vcc, v5, v7, vcc
	global_load_dwordx2 v[8:9], v[6:7], off
	s_add_i32 s3, s3, -2
	s_cmp_lg_u32 s3, 0
	v_add_u32_e32 v2, 2, v2
	s_waitcnt vmcnt(0)
	v_div_scale_f32 v3, s[0:1], v1, v1, v9
	v_div_scale_f32 v11, s[0:1], v0, v0, v8
	v_rcp_f32_e32 v12, v3
	v_rcp_f32_e32 v13, v11
	v_div_scale_f32 v10, vcc, v9, v1, v9
	v_fma_f32 v15, -v3, v12, 1.0
	v_fma_f32 v16, -v11, v13, 1.0
	v_fmac_f32_e32 v12, v15, v12
	v_div_scale_f32 v14, s[0:1], v8, v0, v8
	v_fmac_f32_e32 v13, v16, v13
	v_mul_f32_e32 v15, v10, v12
	v_mul_f32_e32 v16, v14, v13
	v_fma_f32 v17, -v3, v15, v10
	v_fma_f32 v18, -v11, v16, v14
	v_fmac_f32_e32 v15, v17, v12
	v_fmac_f32_e32 v16, v18, v13
	v_fma_f32 v3, -v3, v15, v10
	v_fma_f32 v10, -v11, v16, v14
	v_div_fmas_f32 v3, v3, v12, v15
	s_mov_b64 vcc, s[0:1]
	v_div_fixup_f32 v9, v3, v1, v9
	v_div_fmas_f32 v3, v10, v13, v16
	v_div_fixup_f32 v8, v3, v0, v8
	global_store_dwordx2 v[6:7], v[8:9], off
	s_cbranch_scc1 .LBB205_37
; %bb.38:
	s_cmp_lg_u32 s2, s8
	s_cselect_b64 s[0:1], -1, 0
.LBB205_39:
	s_and_b64 vcc, exec, s[0:1]
	s_cbranch_vccz .LBB205_42
; %bb.40:
	v_ashrrev_i32_e32 v1, 31, v4
	v_add_co_u32_e32 v2, vcc, s2, v4
	v_addc_co_u32_e32 v3, vcc, 0, v1, vcc
	v_lshlrev_b64 v[2:3], 2, v[2:3]
	v_mov_b32_e32 v1, s17
	v_add_co_u32_e32 v2, vcc, s16, v2
	s_sub_i32 s0, s8, s2
	v_addc_co_u32_e32 v3, vcc, v1, v3, vcc
.LBB205_41:                             ; =>This Inner Loop Header: Depth=1
	global_load_dword v1, v[2:3], off
	s_add_i32 s0, s0, -1
	s_cmp_lg_u32 s0, 0
	s_waitcnt vmcnt(0)
	v_div_scale_f32 v4, s[2:3], v0, v0, v1
	v_rcp_f32_e32 v5, v4
	v_div_scale_f32 v6, vcc, v1, v0, v1
	v_fma_f32 v7, -v4, v5, 1.0
	v_fmac_f32_e32 v5, v7, v5
	v_mul_f32_e32 v7, v6, v5
	v_fma_f32 v8, -v4, v7, v6
	v_fmac_f32_e32 v7, v8, v5
	v_fma_f32 v4, -v4, v7, v6
	v_div_fmas_f32 v4, v4, v5, v7
	v_div_fixup_f32 v1, v4, v0, v1
	global_store_dword v[2:3], v1, off
	v_add_co_u32_e32 v2, vcc, 4, v2
	v_addc_co_u32_e32 v3, vcc, 0, v3, vcc
	s_cbranch_scc1 .LBB205_41
.LBB205_42:
	s_endpgm
	.section	.rodata,"a",@progbits
	.p2align	6, 0x0
	.amdhsa_kernel _ZN4vllm3moe10topkGatingILi8ELi256ELi4ELi16ELi32EifLNS0_11ScoringFuncE1EEEvPKT5_PKbPfiPT4_PiiiibPKf
		.amdhsa_group_segment_fixed_size 0
		.amdhsa_private_segment_fixed_size 0
		.amdhsa_kernarg_size 72
		.amdhsa_user_sgpr_count 6
		.amdhsa_user_sgpr_private_segment_buffer 1
		.amdhsa_user_sgpr_dispatch_ptr 0
		.amdhsa_user_sgpr_queue_ptr 0
		.amdhsa_user_sgpr_kernarg_segment_ptr 1
		.amdhsa_user_sgpr_dispatch_id 0
		.amdhsa_user_sgpr_flat_scratch_init 0
		.amdhsa_user_sgpr_kernarg_preload_length 0
		.amdhsa_user_sgpr_kernarg_preload_offset 0
		.amdhsa_user_sgpr_private_segment_size 0
		.amdhsa_uses_dynamic_stack 0
		.amdhsa_system_sgpr_private_segment_wavefront_offset 0
		.amdhsa_system_sgpr_workgroup_id_x 1
		.amdhsa_system_sgpr_workgroup_id_y 0
		.amdhsa_system_sgpr_workgroup_id_z 0
		.amdhsa_system_sgpr_workgroup_info 0
		.amdhsa_system_vgpr_workitem_id 1
		.amdhsa_next_free_vgpr 41
		.amdhsa_next_free_sgpr 26
		.amdhsa_accum_offset 44
		.amdhsa_reserve_vcc 1
		.amdhsa_reserve_flat_scratch 0
		.amdhsa_float_round_mode_32 0
		.amdhsa_float_round_mode_16_64 0
		.amdhsa_float_denorm_mode_32 3
		.amdhsa_float_denorm_mode_16_64 3
		.amdhsa_dx10_clamp 1
		.amdhsa_ieee_mode 1
		.amdhsa_fp16_overflow 0
		.amdhsa_tg_split 0
		.amdhsa_exception_fp_ieee_invalid_op 0
		.amdhsa_exception_fp_denorm_src 0
		.amdhsa_exception_fp_ieee_div_zero 0
		.amdhsa_exception_fp_ieee_overflow 0
		.amdhsa_exception_fp_ieee_underflow 0
		.amdhsa_exception_fp_ieee_inexact 0
		.amdhsa_exception_int_div_zero 0
	.end_amdhsa_kernel
	.section	.text._ZN4vllm3moe10topkGatingILi8ELi256ELi4ELi16ELi32EifLNS0_11ScoringFuncE1EEEvPKT5_PKbPfiPT4_PiiiibPKf,"axG",@progbits,_ZN4vllm3moe10topkGatingILi8ELi256ELi4ELi16ELi32EifLNS0_11ScoringFuncE1EEEvPKT5_PKbPfiPT4_PiiiibPKf,comdat
.Lfunc_end205:
	.size	_ZN4vllm3moe10topkGatingILi8ELi256ELi4ELi16ELi32EifLNS0_11ScoringFuncE1EEEvPKT5_PKbPfiPT4_PiiiibPKf, .Lfunc_end205-_ZN4vllm3moe10topkGatingILi8ELi256ELi4ELi16ELi32EifLNS0_11ScoringFuncE1EEEvPKT5_PKbPfiPT4_PiiiibPKf
                                        ; -- End function
	.section	.AMDGPU.csdata,"",@progbits
; Kernel info:
; codeLenInByte = 3168
; NumSgprs: 30
; NumVgprs: 41
; NumAgprs: 0
; TotalNumVgprs: 41
; ScratchSize: 0
; MemoryBound: 0
; FloatMode: 240
; IeeeMode: 1
; LDSByteSize: 0 bytes/workgroup (compile time only)
; SGPRBlocks: 3
; VGPRBlocks: 5
; NumSGPRsForWavesPerEU: 30
; NumVGPRsForWavesPerEU: 41
; AccumOffset: 44
; Occupancy: 8
; WaveLimiterHint : 1
; COMPUTE_PGM_RSRC2:SCRATCH_EN: 0
; COMPUTE_PGM_RSRC2:USER_SGPR: 6
; COMPUTE_PGM_RSRC2:TRAP_HANDLER: 0
; COMPUTE_PGM_RSRC2:TGID_X_EN: 1
; COMPUTE_PGM_RSRC2:TGID_Y_EN: 0
; COMPUTE_PGM_RSRC2:TGID_Z_EN: 0
; COMPUTE_PGM_RSRC2:TIDIG_COMP_CNT: 1
; COMPUTE_PGM_RSRC3_GFX90A:ACCUM_OFFSET: 10
; COMPUTE_PGM_RSRC3_GFX90A:TG_SPLIT: 0
	.section	.text._ZN4vllm3moe10topkGatingILi8ELi512ELi4ELi16ELi64EifLNS0_11ScoringFuncE1EEEvPKT5_PKbPfiPT4_PiiiibPKf,"axG",@progbits,_ZN4vllm3moe10topkGatingILi8ELi512ELi4ELi16ELi64EifLNS0_11ScoringFuncE1EEEvPKT5_PKbPfiPT4_PiiiibPKf,comdat
	.protected	_ZN4vllm3moe10topkGatingILi8ELi512ELi4ELi16ELi64EifLNS0_11ScoringFuncE1EEEvPKT5_PKbPfiPT4_PiiiibPKf ; -- Begin function _ZN4vllm3moe10topkGatingILi8ELi512ELi4ELi16ELi64EifLNS0_11ScoringFuncE1EEEvPKT5_PKbPfiPT4_PiiiibPKf
	.globl	_ZN4vllm3moe10topkGatingILi8ELi512ELi4ELi16ELi64EifLNS0_11ScoringFuncE1EEEvPKT5_PKbPfiPT4_PiiiibPKf
	.p2align	8
	.type	_ZN4vllm3moe10topkGatingILi8ELi512ELi4ELi16ELi64EifLNS0_11ScoringFuncE1EEEvPKT5_PKbPfiPT4_PiiiibPKf,@function
_ZN4vllm3moe10topkGatingILi8ELi512ELi4ELi16ELi64EifLNS0_11ScoringFuncE1EEEvPKT5_PKbPfiPT4_PiiiibPKf: ; @_ZN4vllm3moe10topkGatingILi8ELi512ELi4ELi16ELi64EifLNS0_11ScoringFuncE1EEEvPKT5_PKbPfiPT4_PiiiibPKf
; %bb.0:
	s_load_dword s24, s[4:5], 0x18
	v_and_b32_e32 v1, 0x3ff, v0
	s_lshl_b32 s0, s6, 2
	v_lshrrev_b32_e32 v2, 6, v1
	v_bfe_u32 v0, v0, 10, 10
	v_add3_u32 v17, s0, v0, v2
	s_waitcnt lgkmcnt(0)
	v_cmp_gt_i32_e32 vcc, s24, v17
	s_and_saveexec_b64 s[0:1], vcc
	s_cbranch_execz .LBB206_46
; %bb.1:
	s_load_dwordx4 s[0:3], s[4:5], 0x0
	s_load_dwordx2 s[16:17], s[4:5], 0x10
	s_mov_b64 s[8:9], -1
	s_mov_b64 s[18:19], -1
	s_waitcnt lgkmcnt(0)
	s_cmp_eq_u64 s[2:3], 0
	s_cbranch_scc1 .LBB206_3
; %bb.2:
	v_ashrrev_i32_e32 v0, 31, v17
	v_mov_b32_e32 v3, s3
	v_add_co_u32_e32 v2, vcc, s2, v17
	v_addc_co_u32_e32 v3, vcc, v3, v0, vcc
	global_load_ubyte v0, v[2:3], off
	s_waitcnt vmcnt(0)
	v_and_b32_e32 v0, 1, v0
	v_cmp_eq_u32_e32 vcc, 1, v0
	s_xor_b64 s[2:3], vcc, -1
	s_orn2_b64 s[18:19], s[2:3], exec
.LBB206_3:
	v_lshlrev_b32_e32 v2, 9, v17
	v_ashrrev_i32_e32 v3, 31, v2
	v_lshlrev_b64 v[2:3], 2, v[2:3]
	v_mov_b32_e32 v0, s1
	v_add_co_u32_e32 v2, vcc, s0, v2
	v_and_b32_e32 v21, 63, v1
	v_addc_co_u32_e32 v0, vcc, v0, v3, vcc
	v_lshlrev_b32_e32 v1, 4, v21
	v_add_co_u32_e32 v8, vcc, v2, v1
	v_addc_co_u32_e32 v9, vcc, 0, v0, vcc
	global_load_dwordx4 v[0:3], v[8:9], off
	global_load_dwordx4 v[4:7], v[8:9], off offset:1024
	v_mov_b32_e32 v8, 0x207
	s_load_dwordx2 s[10:11], s[4:5], 0x40
	v_lshlrev_b32_e32 v22, 2, v21
	s_waitcnt lgkmcnt(0)
	s_cmp_eq_u64 s[10:11], 0
	s_waitcnt vmcnt(1)
	v_mul_f32_e32 v0, 0xbfb8aa3b, v0
	v_mul_f32_e32 v1, 0xbfb8aa3b, v1
	v_exp_f32_e32 v0, v0
	v_exp_f32_e32 v1, v1
	s_waitcnt vmcnt(0)
	v_mul_f32_e32 v4, 0xbfb8aa3b, v4
	v_mul_f32_e32 v5, 0xbfb8aa3b, v5
	v_exp_f32_e32 v4, v4
	v_exp_f32_e32 v5, v5
	v_mul_f32_e32 v2, 0xbfb8aa3b, v2
	v_mul_f32_e32 v3, 0xbfb8aa3b, v3
	v_exp_f32_e32 v2, v2
	v_exp_f32_e32 v3, v3
	v_pk_add_f32 v[0:1], v[0:1], 1.0 op_sel_hi:[1,0]
	v_div_scale_f32 v9, s[0:1], v1, v1, 1.0
	v_pk_add_f32 v[4:5], v[4:5], 1.0 op_sel_hi:[1,0]
	v_rcp_f32_e32 v19, v9
	v_div_scale_f32 v11, s[0:1], v0, v0, 1.0
	v_div_scale_f32 v18, s[12:13], v5, v5, 1.0
	v_pk_add_f32 v[2:3], v[2:3], 1.0 op_sel_hi:[1,0]
	v_rcp_f32_e32 v20, v11
	v_rcp_f32_e32 v25, v18
	v_div_scale_f32 v13, s[2:3], v3, v3, 1.0
	v_rcp_f32_e32 v23, v13
	v_fma_f32 v26, -v9, v19, 1.0
	v_div_scale_f32 v10, vcc, 1.0, v1, 1.0
	v_div_scale_f32 v15, s[6:7], v2, v2, 1.0
	v_fmac_f32_e32 v19, v26, v19
	v_rcp_f32_e32 v24, v15
	v_fma_f32 v27, -v11, v20, 1.0
	v_fma_f32 v30, -v18, v25, 1.0
	v_mul_f32_e32 v26, v10, v19
	v_div_scale_f32 v12, s[0:1], 1.0, v0, 1.0
	v_fmac_f32_e32 v20, v27, v20
	v_fmac_f32_e32 v25, v30, v25
	v_fma_f32 v30, -v9, v26, v10
	v_fma_f32 v28, -v13, v23, 1.0
	v_mul_f32_e32 v27, v12, v20
	v_fmac_f32_e32 v26, v30, v19
	v_div_scale_f32 v14, s[2:3], 1.0, v3, 1.0
	v_fmac_f32_e32 v23, v28, v23
	v_fma_f32 v31, -v11, v27, v12
	v_fma_f32 v9, -v9, v26, v10
	v_fma_f32 v29, -v15, v24, 1.0
	v_mul_f32_e32 v28, v14, v23
	v_fmac_f32_e32 v27, v31, v20
	v_div_fmas_f32 v9, v9, v19, v26
	v_div_scale_f32 v16, s[6:7], 1.0, v2, 1.0
	v_fmac_f32_e32 v24, v29, v24
	v_fma_f32 v32, -v13, v28, v14
	v_fma_f32 v10, -v11, v27, v12
	v_div_fixup_f32 v1, v9, v1, 1.0
	s_mov_b64 vcc, s[0:1]
	v_mul_f32_e32 v29, v16, v24
	v_fmac_f32_e32 v28, v32, v23
	v_div_fmas_f32 v9, v10, v20, v27
	v_cmp_class_f32_e32 vcc, v1, v8
	v_fma_f32 v33, -v15, v29, v16
	v_fma_f32 v11, -v13, v28, v14
	v_div_fixup_f32 v0, v9, v0, 1.0
	v_cndmask_b32_e64 v1, v1, 0, vcc
	s_mov_b64 vcc, s[2:3]
	v_fmac_f32_e32 v29, v33, v24
	v_div_fmas_f32 v9, v11, v23, v28
	v_cmp_class_f32_e32 vcc, v0, v8
	v_fma_f32 v12, -v15, v29, v16
	v_cndmask_b32_e64 v0, v0, 0, vcc
	s_mov_b64 vcc, s[6:7]
	v_div_fixup_f32 v3, v9, v3, 1.0
	v_div_fmas_f32 v9, v12, v24, v29
	v_div_fixup_f32 v2, v9, v2, 1.0
	v_cmp_class_f32_e32 vcc, v3, v8
	v_cndmask_b32_e64 v3, v3, 0, vcc
	v_cmp_class_f32_e32 vcc, v2, v8
	v_cndmask_b32_e64 v2, v2, 0, vcc
	v_div_scale_f32 v9, vcc, 1.0, v5, 1.0
	v_mul_f32_e32 v10, v9, v25
	v_fma_f32 v11, -v18, v10, v9
	v_fmac_f32_e32 v10, v11, v25
	v_div_scale_f32 v11, s[0:1], v4, v4, 1.0
	v_rcp_f32_e32 v12, v11
	v_fma_f32 v9, -v18, v10, v9
	v_div_fmas_f32 v9, v9, v25, v10
	v_div_fixup_f32 v5, v9, v5, 1.0
	v_fma_f32 v9, -v11, v12, 1.0
	v_mul_f32_e32 v6, 0xbfb8aa3b, v6
	v_mul_f32_e32 v7, 0xbfb8aa3b, v7
	v_fmac_f32_e32 v12, v9, v12
	v_div_scale_f32 v9, vcc, 1.0, v4, 1.0
	v_exp_f32_e32 v6, v6
	v_exp_f32_e32 v7, v7
	v_mul_f32_e32 v10, v9, v12
	v_fma_f32 v13, -v11, v10, v9
	v_fmac_f32_e32 v10, v13, v12
	v_fma_f32 v9, -v11, v10, v9
	v_div_fmas_f32 v9, v9, v12, v10
	v_pk_add_f32 v[6:7], v[6:7], 1.0 op_sel_hi:[1,0]
	v_div_fixup_f32 v4, v9, v4, 1.0
	v_div_scale_f32 v9, s[0:1], v7, v7, 1.0
	v_rcp_f32_e32 v10, v9
	v_cmp_class_f32_e32 vcc, v5, v8
	v_cndmask_b32_e64 v5, v5, 0, vcc
	v_cmp_class_f32_e32 vcc, v4, v8
	v_fma_f32 v11, -v9, v10, 1.0
	v_cndmask_b32_e64 v4, v4, 0, vcc
	v_fmac_f32_e32 v10, v11, v10
	v_div_scale_f32 v11, vcc, 1.0, v7, 1.0
	v_mul_f32_e32 v12, v11, v10
	v_fma_f32 v13, -v9, v12, v11
	v_fmac_f32_e32 v12, v13, v10
	v_fma_f32 v9, -v9, v12, v11
	v_div_scale_f32 v11, s[0:1], v6, v6, 1.0
	v_rcp_f32_e32 v13, v11
	v_div_fmas_f32 v9, v9, v10, v12
	v_div_fixup_f32 v7, v9, v7, 1.0
	v_fma_f32 v9, -v11, v13, 1.0
	v_fmac_f32_e32 v13, v9, v13
	v_div_scale_f32 v9, vcc, 1.0, v6, 1.0
	v_mul_f32_e32 v10, v9, v13
	v_fma_f32 v12, -v11, v10, v9
	v_fmac_f32_e32 v10, v12, v13
	v_fma_f32 v9, -v11, v10, v9
	v_div_fmas_f32 v9, v9, v13, v10
	v_div_fixup_f32 v6, v9, v6, 1.0
	v_cmp_class_f32_e32 vcc, v7, v8
	v_cndmask_b32_e64 v7, v7, 0, vcc
	v_cmp_class_f32_e32 vcc, v6, v8
	v_cndmask_b32_e64 v6, v6, 0, vcc
	s_cbranch_scc1 .LBB206_35
; %bb.4:
	v_lshlrev_b32_e32 v16, 2, v22
	global_load_dwordx4 v[8:11], v16, s[10:11]
	global_load_dwordx4 v[12:15], v16, s[10:11] offset:1024
	s_waitcnt vmcnt(1)
	v_pk_add_f32 v[8:9], v[8:9], v[0:1]
	v_pk_add_f32 v[10:11], v[10:11], v[2:3]
	s_waitcnt vmcnt(0)
	v_pk_add_f32 v[12:13], v[12:13], v[4:5]
	v_pk_add_f32 v[14:15], v[14:15], v[6:7]
	s_cbranch_execnz .LBB206_6
.LBB206_5:
	v_pk_mov_b32 v[14:15], v[6:7], v[6:7] op_sel:[0,1]
	v_pk_mov_b32 v[12:13], v[4:5], v[4:5] op_sel:[0,1]
	;; [unrolled: 1-line block ×4, first 2 shown]
.LBB206_6:
	s_load_dwordx4 s[8:11], s[4:5], 0x30
	s_mov_b32 s25, 0
	v_cmp_eq_u32_e64 s[0:1], 0, v21
	s_waitcnt lgkmcnt(0)
	s_bitcmp1_b32 s11, 0
	s_cselect_b64 vcc, -1, 0
	s_cmp_gt_i32 s8, 0
	s_cselect_b64 s[20:21], -1, 0
	s_cmp_lt_i32 s8, 1
	s_cbranch_scc1 .LBB206_36
; %bb.7:
	v_mbcnt_lo_u32_b32 v16, -1, 0
	v_mbcnt_hi_u32_b32 v16, -1, v16
	v_and_b32_e32 v18, 64, v16
	v_add_u32_e32 v18, 64, v18
	v_xor_b32_e32 v19, 32, v16
	v_cmp_lt_i32_e64 s[2:3], v19, v18
	v_cndmask_b32_e64 v19, v16, v19, s[2:3]
	v_lshlrev_b32_e32 v25, 2, v19
	v_xor_b32_e32 v19, 16, v16
	v_cmp_lt_i32_e64 s[2:3], v19, v18
	v_cndmask_b32_e64 v19, v16, v19, s[2:3]
	v_lshlrev_b32_e32 v26, 2, v19
	;; [unrolled: 4-line block ×4, first 2 shown]
	v_xor_b32_e32 v19, 2, v16
	v_cmp_lt_i32_e64 s[2:3], v19, v18
	s_load_dwordx4 s[12:15], s[4:5], 0x20
	v_cndmask_b32_e64 v19, v16, v19, s[2:3]
	v_lshlrev_b32_e32 v29, 2, v19
	v_xor_b32_e32 v19, 1, v16
	v_cmp_lt_i32_e64 s[2:3], v19, v18
	v_cndmask_b32_e64 v16, v16, v19, s[2:3]
	v_mul_lo_u32 v24, v17, s8
	v_lshlrev_b32_e32 v30, 2, v16
	v_mov_b32_e32 v23, 0
	v_mov_b32_e32 v31, 0x100
	;; [unrolled: 1-line block ×3, first 2 shown]
	v_bfrev_b32_e32 v33, 4.0
	v_bfrev_b32_e32 v34, -4.0
	v_mov_b32_e32 v35, 0x200
	v_mov_b32_e32 v36, 0xc61c4000
	;; [unrolled: 1-line block ×3, first 2 shown]
	s_branch .LBB206_10
.LBB206_8:                              ;   in Loop: Header=BB206_10 Depth=1
	s_or_b64 exec, exec, s[4:5]
.LBB206_9:                              ;   in Loop: Header=BB206_10 Depth=1
	s_cmp_eq_u32 s8, s25
	v_add_u32_e32 v37, s24, v37
	s_cbranch_scc1 .LBB206_37
.LBB206_10:                             ; =>This Inner Loop Header: Depth=1
	v_cmp_gt_f32_e64 s[2:3], v9, v8
	s_waitcnt lgkmcnt(0)
	v_cndmask_b32_e64 v19, v8, v9, s[2:3]
	v_cndmask_b32_e64 v16, 0, 1, s[2:3]
	v_cndmask_b32_e64 v18, v0, v1, s[2:3]
	v_cmp_gt_f32_e64 s[2:3], v10, v19
	v_cndmask_b32_e64 v19, v19, v10, s[2:3]
	v_cndmask_b32_e64 v16, v16, 2, s[2:3]
	v_cndmask_b32_e64 v18, v18, v2, s[2:3]
	v_cmp_gt_f32_e64 s[2:3], v11, v19
	;; [unrolled: 4-line block ×6, first 2 shown]
	v_cndmask_b32_e64 v16, v16, v34, s[2:3]
	v_cndmask_b32_e64 v38, v19, v15, s[2:3]
	v_or_b32_e32 v39, v22, v16
	v_cndmask_b32_e64 v16, v18, v7, s[2:3]
	ds_bpermute_b32 v41, v25, v38
	ds_bpermute_b32 v20, v25, v16
	;; [unrolled: 1-line block ×3, first 2 shown]
                                        ; implicit-def: $vgpr18_vgpr19
	s_waitcnt lgkmcnt(0)
	v_cmp_lt_f32_e64 s[6:7], v38, v41
	v_cmp_nlt_f32_e64 s[2:3], v38, v41
	s_and_saveexec_b64 s[22:23], s[2:3]
; %bb.11:                               ;   in Loop: Header=BB206_10 Depth=1
	v_cmp_eq_f32_e64 s[2:3], v38, v41
	v_cmp_lt_i32_e64 s[4:5], v40, v39
	s_and_b64 s[2:3], s[2:3], s[4:5]
	s_andn2_b64 s[4:5], s[6:7], exec
	s_and_b64 s[2:3], s[2:3], exec
	s_or_b64 s[6:7], s[4:5], s[2:3]
	v_pk_mov_b32 v[18:19], v[16:17], v[16:17] op_sel:[0,1]
; %bb.12:                               ;   in Loop: Header=BB206_10 Depth=1
	s_or_b64 exec, exec, s[22:23]
	s_and_saveexec_b64 s[2:3], s[6:7]
; %bb.13:                               ;   in Loop: Header=BB206_10 Depth=1
	v_mov_b32_e32 v38, v41
	v_mov_b32_e32 v16, v20
	;; [unrolled: 1-line block ×3, first 2 shown]
	v_pk_mov_b32 v[18:19], v[20:21], v[20:21] op_sel:[0,1]
; %bb.14:                               ;   in Loop: Header=BB206_10 Depth=1
	s_or_b64 exec, exec, s[2:3]
	ds_bpermute_b32 v40, v26, v38
	ds_bpermute_b32 v20, v26, v16
	ds_bpermute_b32 v19, v26, v39
	s_waitcnt lgkmcnt(2)
	v_cmp_lt_f32_e64 s[6:7], v38, v40
	v_cmp_nlt_f32_e64 s[2:3], v38, v40
	s_and_saveexec_b64 s[22:23], s[2:3]
	s_cbranch_execz .LBB206_16
; %bb.15:                               ;   in Loop: Header=BB206_10 Depth=1
	v_cmp_eq_f32_e64 s[2:3], v38, v40
	s_waitcnt lgkmcnt(0)
	v_cmp_lt_i32_e64 s[4:5], v19, v39
	s_and_b64 s[2:3], s[2:3], s[4:5]
	s_andn2_b64 s[4:5], s[6:7], exec
	s_and_b64 s[2:3], s[2:3], exec
	s_or_b64 s[6:7], s[4:5], s[2:3]
.LBB206_16:                             ;   in Loop: Header=BB206_10 Depth=1
	s_or_b64 exec, exec, s[22:23]
	s_and_saveexec_b64 s[2:3], s[6:7]
	s_cbranch_execz .LBB206_18
; %bb.17:                               ;   in Loop: Header=BB206_10 Depth=1
	v_mov_b32_e32 v38, v40
	s_waitcnt lgkmcnt(1)
	v_mov_b32_e32 v16, v20
	s_waitcnt lgkmcnt(0)
	v_mov_b32_e32 v39, v19
	v_pk_mov_b32 v[18:19], v[20:21], v[20:21] op_sel:[0,1]
.LBB206_18:                             ;   in Loop: Header=BB206_10 Depth=1
	s_or_b64 exec, exec, s[2:3]
	ds_bpermute_b32 v40, v27, v38
	s_waitcnt lgkmcnt(2)
	ds_bpermute_b32 v20, v27, v16
	s_waitcnt lgkmcnt(2)
	ds_bpermute_b32 v19, v27, v39
	s_waitcnt lgkmcnt(2)
	v_cmp_lt_f32_e64 s[6:7], v38, v40
	v_cmp_nlt_f32_e64 s[2:3], v38, v40
	s_and_saveexec_b64 s[22:23], s[2:3]
	s_cbranch_execz .LBB206_20
; %bb.19:                               ;   in Loop: Header=BB206_10 Depth=1
	v_cmp_eq_f32_e64 s[2:3], v38, v40
	s_waitcnt lgkmcnt(0)
	v_cmp_lt_i32_e64 s[4:5], v19, v39
	s_and_b64 s[2:3], s[2:3], s[4:5]
	s_andn2_b64 s[4:5], s[6:7], exec
	s_and_b64 s[2:3], s[2:3], exec
	s_or_b64 s[6:7], s[4:5], s[2:3]
.LBB206_20:                             ;   in Loop: Header=BB206_10 Depth=1
	s_or_b64 exec, exec, s[22:23]
	s_and_saveexec_b64 s[2:3], s[6:7]
	s_cbranch_execz .LBB206_22
; %bb.21:                               ;   in Loop: Header=BB206_10 Depth=1
	v_mov_b32_e32 v38, v40
	s_waitcnt lgkmcnt(1)
	v_mov_b32_e32 v16, v20
	s_waitcnt lgkmcnt(0)
	v_mov_b32_e32 v39, v19
	v_pk_mov_b32 v[18:19], v[20:21], v[20:21] op_sel:[0,1]
.LBB206_22:                             ;   in Loop: Header=BB206_10 Depth=1
	s_or_b64 exec, exec, s[2:3]
	ds_bpermute_b32 v40, v28, v38
	s_waitcnt lgkmcnt(2)
	ds_bpermute_b32 v20, v28, v16
	s_waitcnt lgkmcnt(2)
	ds_bpermute_b32 v19, v28, v39
	s_waitcnt lgkmcnt(2)
	v_cmp_lt_f32_e64 s[6:7], v38, v40
	v_cmp_nlt_f32_e64 s[2:3], v38, v40
	s_and_saveexec_b64 s[22:23], s[2:3]
	s_cbranch_execz .LBB206_24
; %bb.23:                               ;   in Loop: Header=BB206_10 Depth=1
	v_cmp_eq_f32_e64 s[2:3], v38, v40
	s_waitcnt lgkmcnt(0)
	v_cmp_lt_i32_e64 s[4:5], v19, v39
	s_and_b64 s[2:3], s[2:3], s[4:5]
	s_andn2_b64 s[4:5], s[6:7], exec
	s_and_b64 s[2:3], s[2:3], exec
	s_or_b64 s[6:7], s[4:5], s[2:3]
.LBB206_24:                             ;   in Loop: Header=BB206_10 Depth=1
	s_or_b64 exec, exec, s[22:23]
	s_and_saveexec_b64 s[2:3], s[6:7]
	s_cbranch_execz .LBB206_26
; %bb.25:                               ;   in Loop: Header=BB206_10 Depth=1
	v_mov_b32_e32 v38, v40
	s_waitcnt lgkmcnt(1)
	v_mov_b32_e32 v16, v20
	s_waitcnt lgkmcnt(0)
	v_mov_b32_e32 v39, v19
	v_pk_mov_b32 v[18:19], v[20:21], v[20:21] op_sel:[0,1]
.LBB206_26:                             ;   in Loop: Header=BB206_10 Depth=1
	s_or_b64 exec, exec, s[2:3]
	ds_bpermute_b32 v40, v29, v38
	s_waitcnt lgkmcnt(2)
	ds_bpermute_b32 v20, v29, v16
	s_waitcnt lgkmcnt(2)
	ds_bpermute_b32 v19, v29, v39
	s_waitcnt lgkmcnt(2)
	v_cmp_lt_f32_e64 s[6:7], v38, v40
	v_cmp_nlt_f32_e64 s[2:3], v38, v40
	s_and_saveexec_b64 s[22:23], s[2:3]
	s_cbranch_execz .LBB206_28
; %bb.27:                               ;   in Loop: Header=BB206_10 Depth=1
	v_cmp_eq_f32_e64 s[2:3], v38, v40
	s_waitcnt lgkmcnt(0)
	v_cmp_lt_i32_e64 s[4:5], v19, v39
	s_and_b64 s[2:3], s[2:3], s[4:5]
	s_andn2_b64 s[4:5], s[6:7], exec
	s_and_b64 s[2:3], s[2:3], exec
	s_or_b64 s[6:7], s[4:5], s[2:3]
.LBB206_28:                             ;   in Loop: Header=BB206_10 Depth=1
	s_or_b64 exec, exec, s[22:23]
	s_and_saveexec_b64 s[2:3], s[6:7]
	s_cbranch_execz .LBB206_30
; %bb.29:                               ;   in Loop: Header=BB206_10 Depth=1
	v_mov_b32_e32 v38, v40
	s_waitcnt lgkmcnt(1)
	v_mov_b32_e32 v16, v20
	s_waitcnt lgkmcnt(0)
	v_mov_b32_e32 v39, v19
	v_pk_mov_b32 v[18:19], v[20:21], v[20:21] op_sel:[0,1]
.LBB206_30:                             ;   in Loop: Header=BB206_10 Depth=1
	s_or_b64 exec, exec, s[2:3]
	s_waitcnt lgkmcnt(1)
	ds_bpermute_b32 v20, v30, v38
	ds_bpermute_b32 v40, v30, v39
	s_waitcnt lgkmcnt(2)
	ds_bpermute_b32 v19, v30, v16
	s_waitcnt lgkmcnt(2)
	v_cmp_eq_f32_e64 s[4:5], v38, v20
	s_waitcnt lgkmcnt(1)
	v_cmp_lt_i32_e64 s[6:7], v40, v39
	v_cmp_lt_f32_e64 s[2:3], v38, v20
	s_and_b64 s[4:5], s[4:5], s[6:7]
	s_or_b64 s[2:3], s[2:3], s[4:5]
	v_cndmask_b32_e64 v16, v39, v40, s[2:3]
	s_and_saveexec_b64 s[6:7], s[0:1]
	s_cbranch_execnz .LBB206_32
; %bb.31:                               ;   in Loop: Header=BB206_10 Depth=1
	s_or_b64 exec, exec, s[6:7]
	s_add_i32 s25, s25, 1
	s_cmp_ge_i32 s25, s8
	s_cbranch_scc1 .LBB206_9
	s_branch .LBB206_33
.LBB206_32:                             ;   in Loop: Header=BB206_10 Depth=1
	s_waitcnt lgkmcnt(0)
	v_cndmask_b32_e64 v20, v18, v19, s[2:3]
	v_add_u32_e32 v18, s25, v24
	v_ashrrev_i32_e32 v19, 31, v18
	v_cmp_le_i32_e64 s[2:3], s9, v16
	v_cmp_gt_i32_e64 s[4:5], s10, v16
	v_lshlrev_b64 v[18:19], 2, v[18:19]
	s_and_b64 s[4:5], s[2:3], s[4:5]
	v_mov_b32_e32 v39, s17
	v_add_co_u32_e64 v38, s[2:3], s16, v18
	v_addc_co_u32_e64 v39, s[2:3], v39, v19, s[2:3]
	global_store_dword v[38:39], v20, off
	v_subrev_u32_e32 v38, s9, v16
	s_and_b64 s[2:3], s[18:19], s[4:5]
	v_cndmask_b32_e64 v40, v35, v38, s[2:3]
	v_mov_b32_e32 v39, s13
	v_add_co_u32_e64 v38, s[2:3], s12, v18
	v_addc_co_u32_e64 v39, s[2:3], v39, v19, s[2:3]
	global_store_dword v[38:39], v40, off
	v_mov_b32_e32 v38, s15
	v_add_co_u32_e64 v18, s[2:3], s14, v18
	v_addc_co_u32_e64 v19, s[2:3], v38, v19, s[2:3]
	global_store_dword v[18:19], v37, off
	v_add_f32_e32 v18, v23, v20
	v_cndmask_b32_e32 v23, v23, v18, vcc
	s_or_b64 exec, exec, s[6:7]
	s_add_i32 s25, s25, 1
	s_cmp_ge_i32 s25, s8
	s_cbranch_scc1 .LBB206_9
.LBB206_33:                             ;   in Loop: Header=BB206_10 Depth=1
	v_ashrrev_i32_e32 v18, 31, v16
	s_waitcnt lgkmcnt(0)
	v_lshrrev_b32_e32 v19, 30, v18
	v_add_u32_e32 v20, v16, v19
	v_ashrrev_i32_e32 v19, 2, v20
	v_ashrrev_i32_e32 v20, 31, v20
	v_lshrrev_b32_e32 v20, 26, v20
	v_add_u32_e32 v20, v19, v20
	v_and_b32_e32 v20, 0xffffffc0, v20
	v_sub_u32_e32 v20, v19, v20
	v_cmp_eq_u32_e64 s[2:3], v21, v20
	s_and_saveexec_b64 s[4:5], s[2:3]
	s_cbranch_execz .LBB206_8
; %bb.34:                               ;   in Loop: Header=BB206_10 Depth=1
	v_add_u32_sdwa v18, v16, v18 dst_sel:DWORD dst_unused:UNUSED_PAD src0_sel:DWORD src1_sel:BYTE_3
	v_lshlrev_b32_e32 v19, 2, v19
	v_ashrrev_i32_e32 v18, 8, v18
	v_sub_u32_e32 v16, v16, v19
	v_lshl_add_u32 v16, v18, 2, v16
	v_cmp_ne_u32_e64 s[2:3], 7, v16
	v_cndmask_b32_e64 v15, v36, v15, s[2:3]
	v_cmp_ne_u32_e64 s[2:3], 6, v16
	v_cndmask_b32_e64 v14, v36, v14, s[2:3]
	;; [unrolled: 2-line block ×8, first 2 shown]
	s_branch .LBB206_8
.LBB206_35:
                                        ; implicit-def: $vgpr8_vgpr9_vgpr10_vgpr11_vgpr12_vgpr13_vgpr14_vgpr15
	s_andn2_b64 vcc, exec, s[8:9]
	s_cbranch_vccz .LBB206_5
	s_branch .LBB206_6
.LBB206_36:
	v_mov_b32_e32 v23, 0
.LBB206_37:
	v_cmp_eq_u32_e64 s[0:1], 0, v21
	s_and_b64 s[0:1], s[0:1], vcc
	s_and_b64 exec, exec, s[0:1]
	s_cbranch_execz .LBB206_46
; %bb.38:
	s_andn2_b64 vcc, exec, s[20:21]
	s_cbranch_vccnz .LBB206_46
; %bb.39:
	v_cmp_lt_f32_e32 vcc, 0, v23
	s_mov_b32 s2, 0
	v_cndmask_b32_e32 v0, 1.0, v23, vcc
	v_mul_lo_u32 v4, v17, s8
	s_cmp_eq_u32 s8, 1
	s_mov_b64 s[0:1], -1
	s_cbranch_scc1 .LBB206_43
; %bb.40:
	s_and_b32 s2, s8, 0x7ffffffe
	v_mov_b32_e32 v1, v0
	v_mov_b32_e32 v5, s17
	s_mov_b32 s3, s2
	v_mov_b32_e32 v2, v4
.LBB206_41:                             ; =>This Inner Loop Header: Depth=1
	v_ashrrev_i32_e32 v3, 31, v2
	v_lshlrev_b64 v[6:7], 2, v[2:3]
	v_add_co_u32_e32 v6, vcc, s16, v6
	v_addc_co_u32_e32 v7, vcc, v5, v7, vcc
	global_load_dwordx2 v[8:9], v[6:7], off
	s_add_i32 s3, s3, -2
	s_cmp_lg_u32 s3, 0
	v_add_u32_e32 v2, 2, v2
	s_waitcnt vmcnt(0)
	v_div_scale_f32 v3, s[0:1], v1, v1, v9
	v_div_scale_f32 v11, s[0:1], v0, v0, v8
	v_rcp_f32_e32 v12, v3
	v_rcp_f32_e32 v13, v11
	v_div_scale_f32 v10, vcc, v9, v1, v9
	v_fma_f32 v15, -v3, v12, 1.0
	v_fma_f32 v16, -v11, v13, 1.0
	v_fmac_f32_e32 v12, v15, v12
	v_div_scale_f32 v14, s[0:1], v8, v0, v8
	v_fmac_f32_e32 v13, v16, v13
	v_mul_f32_e32 v15, v10, v12
	v_mul_f32_e32 v16, v14, v13
	v_fma_f32 v17, -v3, v15, v10
	v_fma_f32 v18, -v11, v16, v14
	v_fmac_f32_e32 v15, v17, v12
	v_fmac_f32_e32 v16, v18, v13
	v_fma_f32 v3, -v3, v15, v10
	v_fma_f32 v10, -v11, v16, v14
	v_div_fmas_f32 v3, v3, v12, v15
	s_mov_b64 vcc, s[0:1]
	v_div_fixup_f32 v9, v3, v1, v9
	v_div_fmas_f32 v3, v10, v13, v16
	v_div_fixup_f32 v8, v3, v0, v8
	global_store_dwordx2 v[6:7], v[8:9], off
	s_cbranch_scc1 .LBB206_41
; %bb.42:
	s_cmp_lg_u32 s2, s8
	s_cselect_b64 s[0:1], -1, 0
.LBB206_43:
	s_and_b64 vcc, exec, s[0:1]
	s_cbranch_vccz .LBB206_46
; %bb.44:
	v_ashrrev_i32_e32 v1, 31, v4
	v_add_co_u32_e32 v2, vcc, s2, v4
	v_addc_co_u32_e32 v3, vcc, 0, v1, vcc
	v_lshlrev_b64 v[2:3], 2, v[2:3]
	v_mov_b32_e32 v1, s17
	v_add_co_u32_e32 v2, vcc, s16, v2
	s_sub_i32 s0, s8, s2
	v_addc_co_u32_e32 v3, vcc, v1, v3, vcc
.LBB206_45:                             ; =>This Inner Loop Header: Depth=1
	global_load_dword v1, v[2:3], off
	s_add_i32 s0, s0, -1
	s_cmp_lg_u32 s0, 0
	s_waitcnt vmcnt(0)
	v_div_scale_f32 v4, s[2:3], v0, v0, v1
	v_rcp_f32_e32 v5, v4
	v_div_scale_f32 v6, vcc, v1, v0, v1
	v_fma_f32 v7, -v4, v5, 1.0
	v_fmac_f32_e32 v5, v7, v5
	v_mul_f32_e32 v7, v6, v5
	v_fma_f32 v8, -v4, v7, v6
	v_fmac_f32_e32 v7, v8, v5
	v_fma_f32 v4, -v4, v7, v6
	v_div_fmas_f32 v4, v4, v5, v7
	v_div_fixup_f32 v1, v4, v0, v1
	global_store_dword v[2:3], v1, off
	v_add_co_u32_e32 v2, vcc, 4, v2
	v_addc_co_u32_e32 v3, vcc, 0, v3, vcc
	s_cbranch_scc1 .LBB206_45
.LBB206_46:
	s_endpgm
	.section	.rodata,"a",@progbits
	.p2align	6, 0x0
	.amdhsa_kernel _ZN4vllm3moe10topkGatingILi8ELi512ELi4ELi16ELi64EifLNS0_11ScoringFuncE1EEEvPKT5_PKbPfiPT4_PiiiibPKf
		.amdhsa_group_segment_fixed_size 0
		.amdhsa_private_segment_fixed_size 0
		.amdhsa_kernarg_size 72
		.amdhsa_user_sgpr_count 6
		.amdhsa_user_sgpr_private_segment_buffer 1
		.amdhsa_user_sgpr_dispatch_ptr 0
		.amdhsa_user_sgpr_queue_ptr 0
		.amdhsa_user_sgpr_kernarg_segment_ptr 1
		.amdhsa_user_sgpr_dispatch_id 0
		.amdhsa_user_sgpr_flat_scratch_init 0
		.amdhsa_user_sgpr_kernarg_preload_length 0
		.amdhsa_user_sgpr_kernarg_preload_offset 0
		.amdhsa_user_sgpr_private_segment_size 0
		.amdhsa_uses_dynamic_stack 0
		.amdhsa_system_sgpr_private_segment_wavefront_offset 0
		.amdhsa_system_sgpr_workgroup_id_x 1
		.amdhsa_system_sgpr_workgroup_id_y 0
		.amdhsa_system_sgpr_workgroup_id_z 0
		.amdhsa_system_sgpr_workgroup_info 0
		.amdhsa_system_vgpr_workitem_id 1
		.amdhsa_next_free_vgpr 42
		.amdhsa_next_free_sgpr 26
		.amdhsa_accum_offset 44
		.amdhsa_reserve_vcc 1
		.amdhsa_reserve_flat_scratch 0
		.amdhsa_float_round_mode_32 0
		.amdhsa_float_round_mode_16_64 0
		.amdhsa_float_denorm_mode_32 3
		.amdhsa_float_denorm_mode_16_64 3
		.amdhsa_dx10_clamp 1
		.amdhsa_ieee_mode 1
		.amdhsa_fp16_overflow 0
		.amdhsa_tg_split 0
		.amdhsa_exception_fp_ieee_invalid_op 0
		.amdhsa_exception_fp_denorm_src 0
		.amdhsa_exception_fp_ieee_div_zero 0
		.amdhsa_exception_fp_ieee_overflow 0
		.amdhsa_exception_fp_ieee_underflow 0
		.amdhsa_exception_fp_ieee_inexact 0
		.amdhsa_exception_int_div_zero 0
	.end_amdhsa_kernel
	.section	.text._ZN4vllm3moe10topkGatingILi8ELi512ELi4ELi16ELi64EifLNS0_11ScoringFuncE1EEEvPKT5_PKbPfiPT4_PiiiibPKf,"axG",@progbits,_ZN4vllm3moe10topkGatingILi8ELi512ELi4ELi16ELi64EifLNS0_11ScoringFuncE1EEEvPKT5_PKbPfiPT4_PiiiibPKf,comdat
.Lfunc_end206:
	.size	_ZN4vllm3moe10topkGatingILi8ELi512ELi4ELi16ELi64EifLNS0_11ScoringFuncE1EEEvPKT5_PKbPfiPT4_PiiiibPKf, .Lfunc_end206-_ZN4vllm3moe10topkGatingILi8ELi512ELi4ELi16ELi64EifLNS0_11ScoringFuncE1EEEvPKT5_PKbPfiPT4_PiiiibPKf
                                        ; -- End function
	.section	.AMDGPU.csdata,"",@progbits
; Kernel info:
; codeLenInByte = 3320
; NumSgprs: 30
; NumVgprs: 42
; NumAgprs: 0
; TotalNumVgprs: 42
; ScratchSize: 0
; MemoryBound: 0
; FloatMode: 240
; IeeeMode: 1
; LDSByteSize: 0 bytes/workgroup (compile time only)
; SGPRBlocks: 3
; VGPRBlocks: 5
; NumSGPRsForWavesPerEU: 30
; NumVGPRsForWavesPerEU: 42
; AccumOffset: 44
; Occupancy: 8
; WaveLimiterHint : 1
; COMPUTE_PGM_RSRC2:SCRATCH_EN: 0
; COMPUTE_PGM_RSRC2:USER_SGPR: 6
; COMPUTE_PGM_RSRC2:TRAP_HANDLER: 0
; COMPUTE_PGM_RSRC2:TGID_X_EN: 1
; COMPUTE_PGM_RSRC2:TGID_Y_EN: 0
; COMPUTE_PGM_RSRC2:TGID_Z_EN: 0
; COMPUTE_PGM_RSRC2:TIDIG_COMP_CNT: 1
; COMPUTE_PGM_RSRC3_GFX90A:ACCUM_OFFSET: 10
; COMPUTE_PGM_RSRC3_GFX90A:TG_SPLIT: 0
	.section	.text._ZN4vllm3moe10topkGatingILi16ELi512ELi4ELi16ELi32EifLNS0_11ScoringFuncE1EEEvPKT5_PKbPfiPT4_PiiiibPKf,"axG",@progbits,_ZN4vllm3moe10topkGatingILi16ELi512ELi4ELi16ELi32EifLNS0_11ScoringFuncE1EEEvPKT5_PKbPfiPT4_PiiiibPKf,comdat
	.protected	_ZN4vllm3moe10topkGatingILi16ELi512ELi4ELi16ELi32EifLNS0_11ScoringFuncE1EEEvPKT5_PKbPfiPT4_PiiiibPKf ; -- Begin function _ZN4vllm3moe10topkGatingILi16ELi512ELi4ELi16ELi32EifLNS0_11ScoringFuncE1EEEvPKT5_PKbPfiPT4_PiiiibPKf
	.globl	_ZN4vllm3moe10topkGatingILi16ELi512ELi4ELi16ELi32EifLNS0_11ScoringFuncE1EEEvPKT5_PKbPfiPT4_PiiiibPKf
	.p2align	8
	.type	_ZN4vllm3moe10topkGatingILi16ELi512ELi4ELi16ELi32EifLNS0_11ScoringFuncE1EEEvPKT5_PKbPfiPT4_PiiiibPKf,@function
_ZN4vllm3moe10topkGatingILi16ELi512ELi4ELi16ELi32EifLNS0_11ScoringFuncE1EEEvPKT5_PKbPfiPT4_PiiiibPKf: ; @_ZN4vllm3moe10topkGatingILi16ELi512ELi4ELi16ELi32EifLNS0_11ScoringFuncE1EEEvPKT5_PKbPfiPT4_PiiiibPKf
; %bb.0:
	s_load_dword s24, s[4:5], 0x18
	v_and_b32_e32 v1, 0x3ff, v0
	s_lshl_b32 s0, s6, 2
	v_lshrrev_b32_e32 v2, 5, v1
	v_bfe_u32 v0, v0, 10, 10
	v_add3_u32 v33, s0, v0, v2
	s_waitcnt lgkmcnt(0)
	v_cmp_gt_i32_e32 vcc, s24, v33
	s_and_saveexec_b64 s[0:1], vcc
	s_cbranch_execz .LBB207_42
; %bb.1:
	s_load_dwordx4 s[0:3], s[4:5], 0x0
	s_load_dwordx2 s[16:17], s[4:5], 0x10
	s_mov_b64 s[6:7], -1
	s_mov_b64 s[18:19], -1
	s_waitcnt lgkmcnt(0)
	s_cmp_eq_u64 s[2:3], 0
	s_cbranch_scc1 .LBB207_3
; %bb.2:
	v_ashrrev_i32_e32 v0, 31, v33
	v_mov_b32_e32 v3, s3
	v_add_co_u32_e32 v2, vcc, s2, v33
	v_addc_co_u32_e32 v3, vcc, v3, v0, vcc
	global_load_ubyte v0, v[2:3], off
	s_waitcnt vmcnt(0)
	v_and_b32_e32 v0, 1, v0
	v_cmp_eq_u32_e32 vcc, 1, v0
	s_xor_b64 s[2:3], vcc, -1
	s_orn2_b64 s[18:19], s[2:3], exec
.LBB207_3:
	v_lshlrev_b32_e32 v2, 9, v33
	v_ashrrev_i32_e32 v3, 31, v2
	v_lshlrev_b64 v[2:3], 2, v[2:3]
	v_mov_b32_e32 v0, s1
	v_add_co_u32_e32 v2, vcc, s0, v2
	v_and_b32_e32 v37, 31, v1
	v_addc_co_u32_e32 v0, vcc, v0, v3, vcc
	v_lshlrev_b32_e32 v1, 4, v37
	v_add_co_u32_e32 v16, vcc, v2, v1
	v_addc_co_u32_e32 v17, vcc, 0, v0, vcc
	global_load_dwordx4 v[0:3], v[16:17], off
	global_load_dwordx4 v[4:7], v[16:17], off offset:512
	global_load_dwordx4 v[8:11], v[16:17], off offset:1024
	;; [unrolled: 1-line block ×3, first 2 shown]
	v_mov_b32_e32 v16, 0x207
	s_load_dwordx2 s[8:9], s[4:5], 0x40
	v_lshlrev_b32_e32 v38, 2, v37
	s_waitcnt lgkmcnt(0)
	s_cmp_eq_u64 s[8:9], 0
	s_waitcnt vmcnt(3)
	v_mul_f32_e32 v0, 0xbfb8aa3b, v0
	v_mul_f32_e32 v1, 0xbfb8aa3b, v1
	v_exp_f32_e32 v0, v0
	v_exp_f32_e32 v1, v1
	v_mul_f32_e32 v2, 0xbfb8aa3b, v2
	v_mul_f32_e32 v3, 0xbfb8aa3b, v3
	v_exp_f32_e32 v2, v2
	v_exp_f32_e32 v3, v3
	s_waitcnt vmcnt(1)
	v_mul_f32_e32 v10, 0xbfb8aa3b, v10
	s_waitcnt vmcnt(0)
	v_mul_f32_e32 v12, 0xbfb8aa3b, v12
	v_mul_f32_e32 v17, 0xbfb8aa3b, v14
	v_pk_add_f32 v[0:1], v[0:1], 1.0 op_sel_hi:[1,0]
	v_exp_f32_e32 v14, v10
	v_exp_f32_e32 v10, v12
	;; [unrolled: 1-line block ×3, first 2 shown]
	v_div_scale_f32 v17, s[0:1], v1, v1, 1.0
	v_pk_add_f32 v[2:3], v[2:3], 1.0 op_sel_hi:[1,0]
	v_rcp_f32_e32 v24, v17
	v_div_scale_f32 v19, s[0:1], v0, v0, 1.0
	v_div_scale_f32 v23, s[10:11], v2, v2, 1.0
	v_rcp_f32_e32 v25, v19
	v_rcp_f32_e32 v27, v23
	v_div_scale_f32 v21, s[2:3], v3, v3, 1.0
	v_mul_f32_e32 v11, 0xbfb8aa3b, v11
	v_mul_f32_e32 v13, 0xbfb8aa3b, v13
	v_mul_f32_e32 v18, 0xbfb8aa3b, v15
	v_rcp_f32_e32 v26, v21
	v_fma_f32 v28, -v17, v24, 1.0
	v_exp_f32_e32 v15, v11
	v_exp_f32_e32 v11, v13
	;; [unrolled: 1-line block ×3, first 2 shown]
	v_div_scale_f32 v18, vcc, 1.0, v1, 1.0
	v_fmac_f32_e32 v24, v28, v24
	v_fma_f32 v29, -v19, v25, 1.0
	v_fma_f32 v31, -v23, v27, 1.0
	v_mul_f32_e32 v28, v18, v24
	v_div_scale_f32 v20, s[0:1], 1.0, v0, 1.0
	v_fmac_f32_e32 v25, v29, v25
	v_fmac_f32_e32 v27, v31, v27
	v_fma_f32 v31, -v17, v28, v18
	v_fma_f32 v30, -v21, v26, 1.0
	v_mul_f32_e32 v29, v20, v25
	v_fmac_f32_e32 v28, v31, v24
	v_div_scale_f32 v22, s[2:3], 1.0, v3, 1.0
	v_fmac_f32_e32 v26, v30, v26
	v_fma_f32 v32, -v19, v29, v20
	v_fma_f32 v17, -v17, v28, v18
	v_mul_f32_e32 v30, v22, v26
	v_fmac_f32_e32 v29, v32, v25
	v_div_fmas_f32 v17, v17, v24, v28
	v_fma_f32 v34, -v21, v30, v22
	v_fma_f32 v18, -v19, v29, v20
	v_div_fixup_f32 v1, v17, v1, 1.0
	s_mov_b64 vcc, s[0:1]
	v_fmac_f32_e32 v30, v34, v26
	v_div_fmas_f32 v17, v18, v25, v29
	v_cmp_class_f32_e32 vcc, v1, v16
	v_fma_f32 v19, -v21, v30, v22
	v_div_fixup_f32 v0, v17, v0, 1.0
	v_cndmask_b32_e64 v1, v1, 0, vcc
	s_mov_b64 vcc, s[2:3]
	v_div_fmas_f32 v17, v19, v26, v30
	v_cmp_class_f32_e32 vcc, v0, v16
	v_mul_f32_e32 v4, 0xbfb8aa3b, v4
	v_mul_f32_e32 v5, 0xbfb8aa3b, v5
	v_cndmask_b32_e64 v0, v0, 0, vcc
	v_div_fixup_f32 v3, v17, v3, 1.0
	v_div_scale_f32 v17, vcc, 1.0, v2, 1.0
	v_exp_f32_e32 v4, v4
	v_exp_f32_e32 v5, v5
	v_mul_f32_e32 v18, v17, v27
	v_fma_f32 v19, -v23, v18, v17
	v_fmac_f32_e32 v18, v19, v27
	v_fma_f32 v17, -v23, v18, v17
	v_div_fmas_f32 v17, v17, v27, v18
	v_pk_add_f32 v[4:5], v[4:5], 1.0 op_sel_hi:[1,0]
	v_div_fixup_f32 v2, v17, v2, 1.0
	v_div_scale_f32 v17, s[0:1], v5, v5, 1.0
	v_rcp_f32_e32 v18, v17
	v_cmp_class_f32_e32 vcc, v3, v16
	v_cndmask_b32_e64 v3, v3, 0, vcc
	v_cmp_class_f32_e32 vcc, v2, v16
	v_fma_f32 v19, -v17, v18, 1.0
	v_cndmask_b32_e64 v2, v2, 0, vcc
	v_fmac_f32_e32 v18, v19, v18
	v_div_scale_f32 v19, vcc, 1.0, v5, 1.0
	v_mul_f32_e32 v20, v19, v18
	v_fma_f32 v21, -v17, v20, v19
	v_fmac_f32_e32 v20, v21, v18
	v_fma_f32 v17, -v17, v20, v19
	v_div_scale_f32 v19, s[0:1], v4, v4, 1.0
	v_rcp_f32_e32 v21, v19
	v_div_fmas_f32 v17, v17, v18, v20
	v_div_fixup_f32 v5, v17, v5, 1.0
	v_mul_f32_e32 v6, 0xbfb8aa3b, v6
	v_fma_f32 v17, -v19, v21, 1.0
	v_mul_f32_e32 v7, 0xbfb8aa3b, v7
	v_fmac_f32_e32 v21, v17, v21
	v_div_scale_f32 v17, vcc, 1.0, v4, 1.0
	v_exp_f32_e32 v6, v6
	v_exp_f32_e32 v7, v7
	v_mul_f32_e32 v18, v17, v21
	v_fma_f32 v20, -v19, v18, v17
	v_fmac_f32_e32 v18, v20, v21
	v_fma_f32 v17, -v19, v18, v17
	v_div_fmas_f32 v17, v17, v21, v18
	v_pk_add_f32 v[6:7], v[6:7], 1.0 op_sel_hi:[1,0]
	v_div_fixup_f32 v4, v17, v4, 1.0
	v_div_scale_f32 v17, s[0:1], v7, v7, 1.0
	v_rcp_f32_e32 v18, v17
	v_cmp_class_f32_e32 vcc, v5, v16
	v_cndmask_b32_e64 v5, v5, 0, vcc
	v_cmp_class_f32_e32 vcc, v4, v16
	v_fma_f32 v19, -v17, v18, 1.0
	v_cndmask_b32_e64 v4, v4, 0, vcc
	v_fmac_f32_e32 v18, v19, v18
	v_div_scale_f32 v19, vcc, 1.0, v7, 1.0
	v_mul_f32_e32 v20, v19, v18
	v_fma_f32 v21, -v17, v20, v19
	v_fmac_f32_e32 v20, v21, v18
	v_fma_f32 v17, -v17, v20, v19
	v_div_scale_f32 v19, s[0:1], v6, v6, 1.0
	v_rcp_f32_e32 v21, v19
	v_div_fmas_f32 v17, v17, v18, v20
	v_div_fixup_f32 v7, v17, v7, 1.0
	v_mul_f32_e32 v8, 0xbfb8aa3b, v8
	v_fma_f32 v17, -v19, v21, 1.0
	v_mul_f32_e32 v9, 0xbfb8aa3b, v9
	v_fmac_f32_e32 v21, v17, v21
	v_div_scale_f32 v17, vcc, 1.0, v6, 1.0
	v_exp_f32_e32 v8, v8
	v_exp_f32_e32 v9, v9
	v_mul_f32_e32 v18, v17, v21
	v_fma_f32 v20, -v19, v18, v17
	v_fmac_f32_e32 v18, v20, v21
	v_fma_f32 v17, -v19, v18, v17
	v_div_fmas_f32 v17, v17, v21, v18
	v_pk_add_f32 v[8:9], v[8:9], 1.0 op_sel_hi:[1,0]
	v_div_fixup_f32 v6, v17, v6, 1.0
	v_div_scale_f32 v17, s[0:1], v9, v9, 1.0
	v_rcp_f32_e32 v18, v17
	v_cmp_class_f32_e32 vcc, v7, v16
	v_cndmask_b32_e64 v7, v7, 0, vcc
	v_cmp_class_f32_e32 vcc, v6, v16
	v_fma_f32 v19, -v17, v18, 1.0
	v_cndmask_b32_e64 v6, v6, 0, vcc
	v_fmac_f32_e32 v18, v19, v18
	v_div_scale_f32 v19, vcc, 1.0, v9, 1.0
	v_mul_f32_e32 v20, v19, v18
	v_fma_f32 v21, -v17, v20, v19
	v_fmac_f32_e32 v20, v21, v18
	v_fma_f32 v17, -v17, v20, v19
	v_div_scale_f32 v19, s[0:1], v8, v8, 1.0
	v_rcp_f32_e32 v21, v19
	v_div_fmas_f32 v17, v17, v18, v20
	v_div_fixup_f32 v9, v17, v9, 1.0
	v_pk_add_f32 v[14:15], v[14:15], 1.0 op_sel_hi:[1,0]
	v_fma_f32 v17, -v19, v21, 1.0
	v_fmac_f32_e32 v21, v17, v21
	v_div_scale_f32 v17, vcc, 1.0, v8, 1.0
	v_mul_f32_e32 v18, v17, v21
	v_fma_f32 v20, -v19, v18, v17
	v_fmac_f32_e32 v18, v20, v21
	v_fma_f32 v17, -v19, v18, v17
	v_div_fmas_f32 v17, v17, v21, v18
	v_div_fixup_f32 v8, v17, v8, 1.0
	v_div_scale_f32 v17, s[0:1], v15, v15, 1.0
	v_rcp_f32_e32 v18, v17
	v_cmp_class_f32_e32 vcc, v9, v16
	v_cndmask_b32_e64 v9, v9, 0, vcc
	v_cmp_class_f32_e32 vcc, v8, v16
	v_fma_f32 v19, -v17, v18, 1.0
	v_cndmask_b32_e64 v8, v8, 0, vcc
	v_fmac_f32_e32 v18, v19, v18
	v_div_scale_f32 v19, vcc, 1.0, v15, 1.0
	v_mul_f32_e32 v20, v19, v18
	v_fma_f32 v21, -v17, v20, v19
	v_fmac_f32_e32 v20, v21, v18
	v_fma_f32 v17, -v17, v20, v19
	v_div_scale_f32 v19, s[0:1], v14, v14, 1.0
	v_rcp_f32_e32 v21, v19
	v_div_fmas_f32 v17, v17, v18, v20
	v_div_fixup_f32 v17, v17, v15, 1.0
	v_fma_f32 v15, -v19, v21, 1.0
	v_fmac_f32_e32 v21, v15, v21
	v_div_scale_f32 v15, vcc, 1.0, v14, 1.0
	v_mul_f32_e32 v18, v15, v21
	v_fma_f32 v20, -v19, v18, v15
	v_fmac_f32_e32 v18, v20, v21
	v_fma_f32 v15, -v19, v18, v15
	v_div_fmas_f32 v15, v15, v21, v18
	v_div_fixup_f32 v18, v15, v14, 1.0
	v_pk_add_f32 v[14:15], v[10:11], 1.0 op_sel_hi:[1,0]
	v_div_scale_f32 v19, s[0:1], v15, v15, 1.0
	v_rcp_f32_e32 v20, v19
	v_cmp_class_f32_e32 vcc, v17, v16
	v_cndmask_b32_e64 v11, v17, 0, vcc
	v_cmp_class_f32_e32 vcc, v18, v16
	v_fma_f32 v17, -v19, v20, 1.0
	v_cndmask_b32_e64 v10, v18, 0, vcc
	v_fmac_f32_e32 v20, v17, v20
	v_div_scale_f32 v17, vcc, 1.0, v15, 1.0
	v_mul_f32_e32 v18, v17, v20
	v_fma_f32 v21, -v19, v18, v17
	v_fmac_f32_e32 v18, v21, v20
	v_fma_f32 v17, -v19, v18, v17
	v_div_scale_f32 v19, s[0:1], v14, v14, 1.0
	v_rcp_f32_e32 v21, v19
	v_div_fmas_f32 v17, v17, v20, v18
	v_div_fixup_f32 v17, v17, v15, 1.0
	v_fma_f32 v15, -v19, v21, 1.0
	v_fmac_f32_e32 v21, v15, v21
	v_div_scale_f32 v15, vcc, 1.0, v14, 1.0
	v_mul_f32_e32 v18, v15, v21
	v_fma_f32 v20, -v19, v18, v15
	v_fmac_f32_e32 v18, v20, v21
	v_fma_f32 v15, -v19, v18, v15
	v_div_fmas_f32 v15, v15, v21, v18
	v_div_fixup_f32 v18, v15, v14, 1.0
	v_pk_add_f32 v[14:15], v[12:13], 1.0 op_sel_hi:[1,0]
	v_div_scale_f32 v19, s[0:1], v15, v15, 1.0
	v_rcp_f32_e32 v20, v19
	v_cmp_class_f32_e32 vcc, v17, v16
	v_cndmask_b32_e64 v13, v17, 0, vcc
	v_cmp_class_f32_e32 vcc, v18, v16
	v_fma_f32 v17, -v19, v20, 1.0
	v_cndmask_b32_e64 v12, v18, 0, vcc
	v_fmac_f32_e32 v20, v17, v20
	v_div_scale_f32 v17, vcc, 1.0, v15, 1.0
	v_mul_f32_e32 v18, v17, v20
	v_fma_f32 v21, -v19, v18, v17
	v_fmac_f32_e32 v18, v21, v20
	v_fma_f32 v17, -v19, v18, v17
	v_div_scale_f32 v19, s[0:1], v14, v14, 1.0
	v_rcp_f32_e32 v21, v19
	v_div_fmas_f32 v17, v17, v20, v18
	v_div_fixup_f32 v15, v17, v15, 1.0
	v_fma_f32 v17, -v19, v21, 1.0
	v_fmac_f32_e32 v21, v17, v21
	v_div_scale_f32 v17, vcc, 1.0, v14, 1.0
	v_mul_f32_e32 v18, v17, v21
	v_fma_f32 v20, -v19, v18, v17
	v_fmac_f32_e32 v18, v20, v21
	v_fma_f32 v17, -v19, v18, v17
	v_div_fmas_f32 v17, v17, v21, v18
	v_div_fixup_f32 v14, v17, v14, 1.0
	v_cmp_class_f32_e32 vcc, v15, v16
	v_cndmask_b32_e64 v15, v15, 0, vcc
	v_cmp_class_f32_e32 vcc, v14, v16
	v_cndmask_b32_e64 v14, v14, 0, vcc
	s_cbranch_scc1 .LBB207_31
; %bb.4:
	v_lshlrev_b32_e32 v32, 2, v38
	global_load_dwordx4 v[16:19], v32, s[8:9]
	global_load_dwordx4 v[20:23], v32, s[8:9] offset:512
	global_load_dwordx4 v[24:27], v32, s[8:9] offset:1024
	;; [unrolled: 1-line block ×3, first 2 shown]
	s_waitcnt vmcnt(3)
	v_pk_add_f32 v[16:17], v[16:17], v[0:1]
	v_pk_add_f32 v[18:19], v[18:19], v[2:3]
	s_waitcnt vmcnt(2)
	v_pk_add_f32 v[20:21], v[20:21], v[4:5]
	v_pk_add_f32 v[22:23], v[22:23], v[6:7]
	;; [unrolled: 3-line block ×4, first 2 shown]
	s_cbranch_execnz .LBB207_6
.LBB207_5:
	v_pk_mov_b32 v[30:31], v[14:15], v[14:15] op_sel:[0,1]
	v_pk_mov_b32 v[28:29], v[12:13], v[12:13] op_sel:[0,1]
	;; [unrolled: 1-line block ×8, first 2 shown]
.LBB207_6:
	s_load_dwordx4 s[8:11], s[4:5], 0x30
	s_mov_b32 s25, 0
	v_cmp_eq_u32_e64 s[0:1], 0, v37
	s_waitcnt lgkmcnt(0)
	s_bitcmp1_b32 s11, 0
	s_cselect_b64 vcc, -1, 0
	s_cmp_gt_i32 s8, 0
	s_cselect_b64 s[20:21], -1, 0
	s_cmp_lt_i32 s8, 1
	s_cbranch_scc1 .LBB207_32
; %bb.7:
	v_mbcnt_lo_u32_b32 v32, -1, 0
	v_mbcnt_hi_u32_b32 v32, -1, v32
	v_and_b32_e32 v34, 0x60, v32
	v_add_u32_e32 v34, 32, v34
	v_xor_b32_e32 v35, 16, v32
	v_cmp_lt_i32_e64 s[2:3], v35, v34
	v_cndmask_b32_e64 v35, v32, v35, s[2:3]
	v_lshlrev_b32_e32 v41, 2, v35
	v_xor_b32_e32 v35, 8, v32
	v_cmp_lt_i32_e64 s[2:3], v35, v34
	v_cndmask_b32_e64 v35, v32, v35, s[2:3]
	v_lshlrev_b32_e32 v42, 2, v35
	v_xor_b32_e32 v35, 4, v32
	v_cmp_lt_i32_e64 s[2:3], v35, v34
	v_cndmask_b32_e64 v35, v32, v35, s[2:3]
	v_lshlrev_b32_e32 v43, 2, v35
	v_xor_b32_e32 v35, 2, v32
	v_cmp_lt_i32_e64 s[2:3], v35, v34
	s_load_dwordx4 s[12:15], s[4:5], 0x20
	v_cndmask_b32_e64 v35, v32, v35, s[2:3]
	v_lshlrev_b32_e32 v44, 2, v35
	v_xor_b32_e32 v35, 1, v32
	v_cmp_lt_i32_e64 s[2:3], v35, v34
	v_cndmask_b32_e64 v32, v32, v35, s[2:3]
	v_mul_lo_u32 v40, v33, s8
	v_lshlrev_b32_e32 v45, 2, v32
	v_mov_b32_e32 v39, 0
	v_mov_b32_e32 v46, 0x81
	;; [unrolled: 1-line block ×6, first 2 shown]
	v_bfrev_b32_e32 v51, 4.0
	v_bfrev_b32_e32 v52, -4.0
	v_mov_b32_e32 v53, 0x180
	v_mov_b32_e32 v54, 0x181
	;; [unrolled: 1-line block ×7, first 2 shown]
	s_branch .LBB207_10
.LBB207_8:                              ;   in Loop: Header=BB207_10 Depth=1
	s_or_b64 exec, exec, s[4:5]
.LBB207_9:                              ;   in Loop: Header=BB207_10 Depth=1
	s_cmp_eq_u32 s8, s25
	v_add_u32_e32 v59, s24, v59
	s_cbranch_scc1 .LBB207_33
.LBB207_10:                             ; =>This Inner Loop Header: Depth=1
	v_cmp_gt_f32_e64 s[2:3], v17, v16
	s_waitcnt lgkmcnt(0)
	v_cndmask_b32_e64 v35, v16, v17, s[2:3]
	v_cndmask_b32_e64 v32, 0, 1, s[2:3]
	v_cndmask_b32_e64 v34, v0, v1, s[2:3]
	v_cmp_gt_f32_e64 s[2:3], v18, v35
	v_cndmask_b32_e64 v35, v35, v18, s[2:3]
	v_cndmask_b32_e64 v32, v32, 2, s[2:3]
	v_cndmask_b32_e64 v34, v34, v2, s[2:3]
	v_cmp_gt_f32_e64 s[2:3], v19, v35
	;; [unrolled: 4-line block ×3, first 2 shown]
	v_mov_b32_e32 v36, 0x80
	v_cndmask_b32_e64 v35, v35, v20, s[2:3]
	v_cndmask_b32_e64 v32, v32, v36, s[2:3]
	v_cndmask_b32_e64 v34, v34, v4, s[2:3]
	v_cmp_gt_f32_e64 s[2:3], v21, v35
	v_cndmask_b32_e64 v35, v35, v21, s[2:3]
	v_cndmask_b32_e64 v32, v32, v46, s[2:3]
	v_cndmask_b32_e64 v34, v34, v5, s[2:3]
	v_cmp_gt_f32_e64 s[2:3], v22, v35
	;; [unrolled: 4-line block ×11, first 2 shown]
	v_cndmask_b32_e64 v32, v32, v56, s[2:3]
	v_cndmask_b32_e64 v60, v35, v31, s[2:3]
	v_or_b32_e32 v61, v38, v32
	v_cndmask_b32_e64 v32, v34, v15, s[2:3]
	ds_bpermute_b32 v63, v41, v60
	ds_bpermute_b32 v36, v41, v32
	;; [unrolled: 1-line block ×3, first 2 shown]
                                        ; implicit-def: $vgpr34_vgpr35
	s_waitcnt lgkmcnt(0)
	v_cmp_lt_f32_e64 s[6:7], v60, v63
	v_cmp_nlt_f32_e64 s[2:3], v60, v63
	s_and_saveexec_b64 s[22:23], s[2:3]
; %bb.11:                               ;   in Loop: Header=BB207_10 Depth=1
	v_cmp_eq_f32_e64 s[2:3], v60, v63
	v_cmp_lt_i32_e64 s[4:5], v62, v61
	s_and_b64 s[2:3], s[2:3], s[4:5]
	s_andn2_b64 s[4:5], s[6:7], exec
	s_and_b64 s[2:3], s[2:3], exec
	s_or_b64 s[6:7], s[4:5], s[2:3]
	v_pk_mov_b32 v[34:35], v[32:33], v[32:33] op_sel:[0,1]
; %bb.12:                               ;   in Loop: Header=BB207_10 Depth=1
	s_or_b64 exec, exec, s[22:23]
	s_and_saveexec_b64 s[2:3], s[6:7]
; %bb.13:                               ;   in Loop: Header=BB207_10 Depth=1
	v_mov_b32_e32 v60, v63
	v_mov_b32_e32 v32, v36
	;; [unrolled: 1-line block ×3, first 2 shown]
	v_pk_mov_b32 v[34:35], v[36:37], v[36:37] op_sel:[0,1]
; %bb.14:                               ;   in Loop: Header=BB207_10 Depth=1
	s_or_b64 exec, exec, s[2:3]
	ds_bpermute_b32 v62, v42, v60
	ds_bpermute_b32 v36, v42, v32
	;; [unrolled: 1-line block ×3, first 2 shown]
	s_waitcnt lgkmcnt(2)
	v_cmp_lt_f32_e64 s[6:7], v60, v62
	v_cmp_nlt_f32_e64 s[2:3], v60, v62
	s_and_saveexec_b64 s[22:23], s[2:3]
	s_cbranch_execz .LBB207_16
; %bb.15:                               ;   in Loop: Header=BB207_10 Depth=1
	v_cmp_eq_f32_e64 s[2:3], v60, v62
	s_waitcnt lgkmcnt(0)
	v_cmp_lt_i32_e64 s[4:5], v35, v61
	s_and_b64 s[2:3], s[2:3], s[4:5]
	s_andn2_b64 s[4:5], s[6:7], exec
	s_and_b64 s[2:3], s[2:3], exec
	s_or_b64 s[6:7], s[4:5], s[2:3]
.LBB207_16:                             ;   in Loop: Header=BB207_10 Depth=1
	s_or_b64 exec, exec, s[22:23]
	s_and_saveexec_b64 s[2:3], s[6:7]
	s_cbranch_execz .LBB207_18
; %bb.17:                               ;   in Loop: Header=BB207_10 Depth=1
	v_mov_b32_e32 v60, v62
	s_waitcnt lgkmcnt(1)
	v_mov_b32_e32 v32, v36
	s_waitcnt lgkmcnt(0)
	v_mov_b32_e32 v61, v35
	v_pk_mov_b32 v[34:35], v[36:37], v[36:37] op_sel:[0,1]
.LBB207_18:                             ;   in Loop: Header=BB207_10 Depth=1
	s_or_b64 exec, exec, s[2:3]
	ds_bpermute_b32 v62, v43, v60
	s_waitcnt lgkmcnt(2)
	ds_bpermute_b32 v36, v43, v32
	s_waitcnt lgkmcnt(2)
	;; [unrolled: 2-line block ×3, first 2 shown]
	v_cmp_lt_f32_e64 s[6:7], v60, v62
	v_cmp_nlt_f32_e64 s[2:3], v60, v62
	s_and_saveexec_b64 s[22:23], s[2:3]
	s_cbranch_execz .LBB207_20
; %bb.19:                               ;   in Loop: Header=BB207_10 Depth=1
	v_cmp_eq_f32_e64 s[2:3], v60, v62
	s_waitcnt lgkmcnt(0)
	v_cmp_lt_i32_e64 s[4:5], v35, v61
	s_and_b64 s[2:3], s[2:3], s[4:5]
	s_andn2_b64 s[4:5], s[6:7], exec
	s_and_b64 s[2:3], s[2:3], exec
	s_or_b64 s[6:7], s[4:5], s[2:3]
.LBB207_20:                             ;   in Loop: Header=BB207_10 Depth=1
	s_or_b64 exec, exec, s[22:23]
	s_and_saveexec_b64 s[2:3], s[6:7]
	s_cbranch_execz .LBB207_22
; %bb.21:                               ;   in Loop: Header=BB207_10 Depth=1
	v_mov_b32_e32 v60, v62
	s_waitcnt lgkmcnt(1)
	v_mov_b32_e32 v32, v36
	s_waitcnt lgkmcnt(0)
	v_mov_b32_e32 v61, v35
	v_pk_mov_b32 v[34:35], v[36:37], v[36:37] op_sel:[0,1]
.LBB207_22:                             ;   in Loop: Header=BB207_10 Depth=1
	s_or_b64 exec, exec, s[2:3]
	ds_bpermute_b32 v62, v44, v60
	s_waitcnt lgkmcnt(2)
	ds_bpermute_b32 v36, v44, v32
	s_waitcnt lgkmcnt(2)
	;; [unrolled: 2-line block ×3, first 2 shown]
	v_cmp_lt_f32_e64 s[6:7], v60, v62
	v_cmp_nlt_f32_e64 s[2:3], v60, v62
	s_and_saveexec_b64 s[22:23], s[2:3]
	s_cbranch_execz .LBB207_24
; %bb.23:                               ;   in Loop: Header=BB207_10 Depth=1
	v_cmp_eq_f32_e64 s[2:3], v60, v62
	s_waitcnt lgkmcnt(0)
	v_cmp_lt_i32_e64 s[4:5], v35, v61
	s_and_b64 s[2:3], s[2:3], s[4:5]
	s_andn2_b64 s[4:5], s[6:7], exec
	s_and_b64 s[2:3], s[2:3], exec
	s_or_b64 s[6:7], s[4:5], s[2:3]
.LBB207_24:                             ;   in Loop: Header=BB207_10 Depth=1
	s_or_b64 exec, exec, s[22:23]
	s_and_saveexec_b64 s[2:3], s[6:7]
	s_cbranch_execz .LBB207_26
; %bb.25:                               ;   in Loop: Header=BB207_10 Depth=1
	v_mov_b32_e32 v60, v62
	s_waitcnt lgkmcnt(1)
	v_mov_b32_e32 v32, v36
	s_waitcnt lgkmcnt(0)
	v_mov_b32_e32 v61, v35
	v_pk_mov_b32 v[34:35], v[36:37], v[36:37] op_sel:[0,1]
.LBB207_26:                             ;   in Loop: Header=BB207_10 Depth=1
	s_or_b64 exec, exec, s[2:3]
	s_waitcnt lgkmcnt(1)
	ds_bpermute_b32 v36, v45, v60
	ds_bpermute_b32 v62, v45, v61
	s_waitcnt lgkmcnt(2)
	ds_bpermute_b32 v35, v45, v32
	s_waitcnt lgkmcnt(2)
	v_cmp_eq_f32_e64 s[4:5], v60, v36
	s_waitcnt lgkmcnt(1)
	v_cmp_lt_i32_e64 s[6:7], v62, v61
	v_cmp_lt_f32_e64 s[2:3], v60, v36
	s_and_b64 s[4:5], s[4:5], s[6:7]
	s_or_b64 s[2:3], s[2:3], s[4:5]
	v_cndmask_b32_e64 v32, v61, v62, s[2:3]
	s_and_saveexec_b64 s[6:7], s[0:1]
	s_cbranch_execnz .LBB207_28
; %bb.27:                               ;   in Loop: Header=BB207_10 Depth=1
	s_or_b64 exec, exec, s[6:7]
	s_add_i32 s25, s25, 1
	s_cmp_ge_i32 s25, s8
	s_cbranch_scc1 .LBB207_9
	s_branch .LBB207_29
.LBB207_28:                             ;   in Loop: Header=BB207_10 Depth=1
	s_waitcnt lgkmcnt(0)
	v_cndmask_b32_e64 v36, v34, v35, s[2:3]
	v_add_u32_e32 v34, s25, v40
	v_ashrrev_i32_e32 v35, 31, v34
	v_cmp_le_i32_e64 s[2:3], s9, v32
	v_cmp_gt_i32_e64 s[4:5], s10, v32
	v_lshlrev_b64 v[34:35], 2, v[34:35]
	s_and_b64 s[4:5], s[2:3], s[4:5]
	v_mov_b32_e32 v61, s17
	v_add_co_u32_e64 v60, s[2:3], s16, v34
	v_addc_co_u32_e64 v61, s[2:3], v61, v35, s[2:3]
	global_store_dword v[60:61], v36, off
	v_subrev_u32_e32 v60, s9, v32
	s_and_b64 s[2:3], s[18:19], s[4:5]
	v_cndmask_b32_e64 v62, v57, v60, s[2:3]
	v_mov_b32_e32 v61, s13
	v_add_co_u32_e64 v60, s[2:3], s12, v34
	v_addc_co_u32_e64 v61, s[2:3], v61, v35, s[2:3]
	global_store_dword v[60:61], v62, off
	v_mov_b32_e32 v60, s15
	v_add_co_u32_e64 v34, s[2:3], s14, v34
	v_addc_co_u32_e64 v35, s[2:3], v60, v35, s[2:3]
	global_store_dword v[34:35], v59, off
	v_add_f32_e32 v34, v39, v36
	v_cndmask_b32_e32 v39, v39, v34, vcc
	s_or_b64 exec, exec, s[6:7]
	s_add_i32 s25, s25, 1
	s_cmp_ge_i32 s25, s8
	s_cbranch_scc1 .LBB207_9
.LBB207_29:                             ;   in Loop: Header=BB207_10 Depth=1
	s_waitcnt lgkmcnt(0)
	v_ashrrev_i32_e32 v35, 31, v32
	v_lshrrev_b32_e32 v34, 30, v35
	v_add_u32_e32 v36, v32, v34
	v_ashrrev_i32_e32 v34, 2, v36
	v_ashrrev_i32_e32 v36, 31, v36
	v_lshrrev_b32_e32 v36, 27, v36
	v_add_u32_e32 v36, v34, v36
	v_and_b32_e32 v36, 0xffffffe0, v36
	v_sub_u32_e32 v36, v34, v36
	v_cmp_eq_u32_e64 s[2:3], v37, v36
	s_and_saveexec_b64 s[4:5], s[2:3]
	s_cbranch_execz .LBB207_8
; %bb.30:                               ;   in Loop: Header=BB207_10 Depth=1
	v_lshrrev_b32_e32 v35, 25, v35
	v_add_u32_e32 v35, v32, v35
	v_lshlrev_b32_e32 v34, 2, v34
	v_ashrrev_i32_e32 v35, 7, v35
	v_sub_u32_e32 v32, v32, v34
	v_lshl_add_u32 v32, v35, 2, v32
	v_cmp_ne_u32_e64 s[2:3], 15, v32
	v_cndmask_b32_e64 v31, v58, v31, s[2:3]
	v_cmp_ne_u32_e64 s[2:3], 14, v32
	v_cndmask_b32_e64 v30, v58, v30, s[2:3]
	;; [unrolled: 2-line block ×16, first 2 shown]
	s_branch .LBB207_8
.LBB207_31:
                                        ; implicit-def: $vgpr16_vgpr17_vgpr18_vgpr19_vgpr20_vgpr21_vgpr22_vgpr23_vgpr24_vgpr25_vgpr26_vgpr27_vgpr28_vgpr29_vgpr30_vgpr31
	s_andn2_b64 vcc, exec, s[6:7]
	s_cbranch_vccz .LBB207_5
	s_branch .LBB207_6
.LBB207_32:
	v_mov_b32_e32 v39, 0
.LBB207_33:
	v_cmp_eq_u32_e64 s[0:1], 0, v37
	s_and_b64 s[0:1], s[0:1], vcc
	s_and_b64 exec, exec, s[0:1]
	s_cbranch_execz .LBB207_42
; %bb.34:
	s_andn2_b64 vcc, exec, s[20:21]
	s_cbranch_vccnz .LBB207_42
; %bb.35:
	v_cmp_lt_f32_e32 vcc, 0, v39
	s_mov_b32 s2, 0
	v_cndmask_b32_e32 v0, 1.0, v39, vcc
	v_mul_lo_u32 v4, v33, s8
	s_cmp_eq_u32 s8, 1
	s_mov_b64 s[0:1], -1
	s_cbranch_scc1 .LBB207_39
; %bb.36:
	s_and_b32 s2, s8, 0x7ffffffe
	v_mov_b32_e32 v1, v0
	v_mov_b32_e32 v5, s17
	s_mov_b32 s3, s2
	v_mov_b32_e32 v2, v4
.LBB207_37:                             ; =>This Inner Loop Header: Depth=1
	v_ashrrev_i32_e32 v3, 31, v2
	v_lshlrev_b64 v[6:7], 2, v[2:3]
	v_add_co_u32_e32 v6, vcc, s16, v6
	v_addc_co_u32_e32 v7, vcc, v5, v7, vcc
	global_load_dwordx2 v[8:9], v[6:7], off
	s_add_i32 s3, s3, -2
	s_cmp_lg_u32 s3, 0
	v_add_u32_e32 v2, 2, v2
	s_waitcnt vmcnt(0)
	v_div_scale_f32 v3, s[0:1], v1, v1, v9
	v_div_scale_f32 v11, s[0:1], v0, v0, v8
	v_rcp_f32_e32 v12, v3
	v_rcp_f32_e32 v13, v11
	v_div_scale_f32 v10, vcc, v9, v1, v9
	v_fma_f32 v15, -v3, v12, 1.0
	v_fma_f32 v16, -v11, v13, 1.0
	v_fmac_f32_e32 v12, v15, v12
	v_div_scale_f32 v14, s[0:1], v8, v0, v8
	v_fmac_f32_e32 v13, v16, v13
	v_mul_f32_e32 v15, v10, v12
	v_mul_f32_e32 v16, v14, v13
	v_fma_f32 v17, -v3, v15, v10
	v_fma_f32 v18, -v11, v16, v14
	v_fmac_f32_e32 v15, v17, v12
	v_fmac_f32_e32 v16, v18, v13
	v_fma_f32 v3, -v3, v15, v10
	v_fma_f32 v10, -v11, v16, v14
	v_div_fmas_f32 v3, v3, v12, v15
	s_mov_b64 vcc, s[0:1]
	v_div_fixup_f32 v9, v3, v1, v9
	v_div_fmas_f32 v3, v10, v13, v16
	v_div_fixup_f32 v8, v3, v0, v8
	global_store_dwordx2 v[6:7], v[8:9], off
	s_cbranch_scc1 .LBB207_37
; %bb.38:
	s_cmp_lg_u32 s2, s8
	s_cselect_b64 s[0:1], -1, 0
.LBB207_39:
	s_and_b64 vcc, exec, s[0:1]
	s_cbranch_vccz .LBB207_42
; %bb.40:
	v_ashrrev_i32_e32 v1, 31, v4
	v_add_co_u32_e32 v2, vcc, s2, v4
	v_addc_co_u32_e32 v3, vcc, 0, v1, vcc
	v_lshlrev_b64 v[2:3], 2, v[2:3]
	v_mov_b32_e32 v1, s17
	v_add_co_u32_e32 v2, vcc, s16, v2
	s_sub_i32 s0, s8, s2
	v_addc_co_u32_e32 v3, vcc, v1, v3, vcc
.LBB207_41:                             ; =>This Inner Loop Header: Depth=1
	global_load_dword v1, v[2:3], off
	s_add_i32 s0, s0, -1
	s_cmp_lg_u32 s0, 0
	s_waitcnt vmcnt(0)
	v_div_scale_f32 v4, s[2:3], v0, v0, v1
	v_rcp_f32_e32 v5, v4
	v_div_scale_f32 v6, vcc, v1, v0, v1
	v_fma_f32 v7, -v4, v5, 1.0
	v_fmac_f32_e32 v5, v7, v5
	v_mul_f32_e32 v7, v6, v5
	v_fma_f32 v8, -v4, v7, v6
	v_fmac_f32_e32 v7, v8, v5
	v_fma_f32 v4, -v4, v7, v6
	v_div_fmas_f32 v4, v4, v5, v7
	v_div_fixup_f32 v1, v4, v0, v1
	global_store_dword v[2:3], v1, off
	v_add_co_u32_e32 v2, vcc, 4, v2
	v_addc_co_u32_e32 v3, vcc, 0, v3, vcc
	s_cbranch_scc1 .LBB207_41
.LBB207_42:
	s_endpgm
	.section	.rodata,"a",@progbits
	.p2align	6, 0x0
	.amdhsa_kernel _ZN4vllm3moe10topkGatingILi16ELi512ELi4ELi16ELi32EifLNS0_11ScoringFuncE1EEEvPKT5_PKbPfiPT4_PiiiibPKf
		.amdhsa_group_segment_fixed_size 0
		.amdhsa_private_segment_fixed_size 0
		.amdhsa_kernarg_size 72
		.amdhsa_user_sgpr_count 6
		.amdhsa_user_sgpr_private_segment_buffer 1
		.amdhsa_user_sgpr_dispatch_ptr 0
		.amdhsa_user_sgpr_queue_ptr 0
		.amdhsa_user_sgpr_kernarg_segment_ptr 1
		.amdhsa_user_sgpr_dispatch_id 0
		.amdhsa_user_sgpr_flat_scratch_init 0
		.amdhsa_user_sgpr_kernarg_preload_length 0
		.amdhsa_user_sgpr_kernarg_preload_offset 0
		.amdhsa_user_sgpr_private_segment_size 0
		.amdhsa_uses_dynamic_stack 0
		.amdhsa_system_sgpr_private_segment_wavefront_offset 0
		.amdhsa_system_sgpr_workgroup_id_x 1
		.amdhsa_system_sgpr_workgroup_id_y 0
		.amdhsa_system_sgpr_workgroup_id_z 0
		.amdhsa_system_sgpr_workgroup_info 0
		.amdhsa_system_vgpr_workitem_id 1
		.amdhsa_next_free_vgpr 64
		.amdhsa_next_free_sgpr 26
		.amdhsa_accum_offset 64
		.amdhsa_reserve_vcc 1
		.amdhsa_reserve_flat_scratch 0
		.amdhsa_float_round_mode_32 0
		.amdhsa_float_round_mode_16_64 0
		.amdhsa_float_denorm_mode_32 3
		.amdhsa_float_denorm_mode_16_64 3
		.amdhsa_dx10_clamp 1
		.amdhsa_ieee_mode 1
		.amdhsa_fp16_overflow 0
		.amdhsa_tg_split 0
		.amdhsa_exception_fp_ieee_invalid_op 0
		.amdhsa_exception_fp_denorm_src 0
		.amdhsa_exception_fp_ieee_div_zero 0
		.amdhsa_exception_fp_ieee_overflow 0
		.amdhsa_exception_fp_ieee_underflow 0
		.amdhsa_exception_fp_ieee_inexact 0
		.amdhsa_exception_int_div_zero 0
	.end_amdhsa_kernel
	.section	.text._ZN4vllm3moe10topkGatingILi16ELi512ELi4ELi16ELi32EifLNS0_11ScoringFuncE1EEEvPKT5_PKbPfiPT4_PiiiibPKf,"axG",@progbits,_ZN4vllm3moe10topkGatingILi16ELi512ELi4ELi16ELi32EifLNS0_11ScoringFuncE1EEEvPKT5_PKbPfiPT4_PiiiibPKf,comdat
.Lfunc_end207:
	.size	_ZN4vllm3moe10topkGatingILi16ELi512ELi4ELi16ELi32EifLNS0_11ScoringFuncE1EEEvPKT5_PKbPfiPT4_PiiiibPKf, .Lfunc_end207-_ZN4vllm3moe10topkGatingILi16ELi512ELi4ELi16ELi32EifLNS0_11ScoringFuncE1EEEvPKT5_PKbPfiPT4_PiiiibPKf
                                        ; -- End function
	.section	.AMDGPU.csdata,"",@progbits
; Kernel info:
; codeLenInByte = 4512
; NumSgprs: 30
; NumVgprs: 64
; NumAgprs: 0
; TotalNumVgprs: 64
; ScratchSize: 0
; MemoryBound: 0
; FloatMode: 240
; IeeeMode: 1
; LDSByteSize: 0 bytes/workgroup (compile time only)
; SGPRBlocks: 3
; VGPRBlocks: 7
; NumSGPRsForWavesPerEU: 30
; NumVGPRsForWavesPerEU: 64
; AccumOffset: 64
; Occupancy: 8
; WaveLimiterHint : 1
; COMPUTE_PGM_RSRC2:SCRATCH_EN: 0
; COMPUTE_PGM_RSRC2:USER_SGPR: 6
; COMPUTE_PGM_RSRC2:TRAP_HANDLER: 0
; COMPUTE_PGM_RSRC2:TGID_X_EN: 1
; COMPUTE_PGM_RSRC2:TGID_Y_EN: 0
; COMPUTE_PGM_RSRC2:TGID_Z_EN: 0
; COMPUTE_PGM_RSRC2:TIDIG_COMP_CNT: 1
; COMPUTE_PGM_RSRC3_GFX90A:ACCUM_OFFSET: 15
; COMPUTE_PGM_RSRC3_GFX90A:TG_SPLIT: 0
	.section	.text._ZN4vllm3moe10moeSigmoidILi256EfEEvPKT0_PKbPfi,"axG",@progbits,_ZN4vllm3moe10moeSigmoidILi256EfEEvPKT0_PKbPfi,comdat
	.protected	_ZN4vllm3moe10moeSigmoidILi256EfEEvPKT0_PKbPfi ; -- Begin function _ZN4vllm3moe10moeSigmoidILi256EfEEvPKT0_PKbPfi
	.globl	_ZN4vllm3moe10moeSigmoidILi256EfEEvPKT0_PKbPfi
	.p2align	8
	.type	_ZN4vllm3moe10moeSigmoidILi256EfEEvPKT0_PKbPfi,@function
_ZN4vllm3moe10moeSigmoidILi256EfEEvPKT0_PKbPfi: ; @_ZN4vllm3moe10moeSigmoidILi256EfEEvPKT0_PKbPfi
; %bb.0:
	s_load_dwordx4 s[8:11], s[4:5], 0x0
	s_load_dword s7, s[4:5], 0x18
	s_mov_b64 s[12:13], 0
	s_waitcnt lgkmcnt(0)
	s_cmp_eq_u64 s[10:11], 0
	v_cmp_gt_i32_e64 s[0:1], s7, v0
	s_cbranch_scc1 .LBB208_7
; %bb.1:
	v_mov_b32_e32 v1, s6
	global_load_ubyte v1, v1, s[10:11]
	s_waitcnt vmcnt(0)
	v_and_b32_e32 v1, 1, v1
	v_cmp_eq_u32_e32 vcc, 1, v1
	s_xor_b64 s[2:3], vcc, -1
	s_and_b64 s[2:3], s[0:1], s[2:3]
	s_and_b64 s[2:3], s[2:3], exec
	s_andn2_b64 vcc, exec, s[12:13]
	s_cbranch_vccnz .LBB208_3
.LBB208_2:
	s_andn2_b64 s[2:3], s[2:3], exec
	s_and_b64 s[0:1], s[0:1], exec
	s_or_b64 s[2:3], s[2:3], s[0:1]
.LBB208_3:
	s_and_saveexec_b64 s[0:1], s[2:3]
	s_cbranch_execz .LBB208_6
; %bb.4:
	s_mul_i32 s6, s6, s7
	s_ashr_i32 s2, s6, 31
	s_load_dwordx2 s[0:1], s[4:5], 0x10
	v_mov_b32_e32 v1, s2
	v_add_co_u32_e32 v2, vcc, s6, v0
	v_addc_co_u32_e32 v3, vcc, 0, v1, vcc
	v_lshlrev_b64 v[4:5], 2, v[2:3]
	v_mov_b32_e32 v1, s9
	v_add_co_u32_e32 v2, vcc, s8, v4
	v_addc_co_u32_e32 v3, vcc, v1, v5, vcc
	s_waitcnt lgkmcnt(0)
	v_mov_b32_e32 v1, s1
	v_add_co_u32_e32 v4, vcc, s0, v4
	v_addc_co_u32_e32 v5, vcc, v1, v5, vcc
	s_mov_b64 s[0:1], 0
	s_movk_i32 s2, 0x1f8
.LBB208_5:                              ; =>This Inner Loop Header: Depth=1
	global_load_dword v1, v[2:3], off
	v_add_u32_e32 v0, 0x100, v0
	v_cmp_le_i32_e32 vcc, s7, v0
	s_or_b64 s[0:1], vcc, s[0:1]
	s_waitcnt vmcnt(0)
	v_mul_f32_e32 v1, 0xbfb8aa3b, v1
	v_exp_f32_e32 v1, v1
	v_add_f32_e32 v1, 1.0, v1
	v_div_scale_f32 v6, s[4:5], v1, v1, 1.0
	v_rcp_f32_e32 v8, v6
	v_div_scale_f32 v7, vcc, 1.0, v1, 1.0
	v_fma_f32 v9, -v6, v8, 1.0
	v_fmac_f32_e32 v8, v9, v8
	v_mul_f32_e32 v9, v7, v8
	v_fma_f32 v10, -v6, v9, v7
	v_fmac_f32_e32 v9, v10, v8
	v_fma_f32 v6, -v6, v9, v7
	v_div_fmas_f32 v6, v6, v8, v9
	v_add_co_u32_e32 v2, vcc, 0x400, v2
	v_div_fixup_f32 v1, v6, v1, 1.0
	v_addc_co_u32_e32 v3, vcc, 0, v3, vcc
	v_cmp_class_f32_e64 vcc, v1, s2
	v_cndmask_b32_e32 v1, 0, v1, vcc
	global_store_dword v[4:5], v1, off
	v_add_co_u32_e32 v4, vcc, 0x400, v4
	v_addc_co_u32_e32 v5, vcc, 0, v5, vcc
	s_andn2_b64 exec, exec, s[0:1]
	s_cbranch_execnz .LBB208_5
.LBB208_6:
	s_endpgm
.LBB208_7:
	s_mov_b64 s[2:3], 0
	s_branch .LBB208_2
	.section	.rodata,"a",@progbits
	.p2align	6, 0x0
	.amdhsa_kernel _ZN4vllm3moe10moeSigmoidILi256EfEEvPKT0_PKbPfi
		.amdhsa_group_segment_fixed_size 0
		.amdhsa_private_segment_fixed_size 0
		.amdhsa_kernarg_size 28
		.amdhsa_user_sgpr_count 6
		.amdhsa_user_sgpr_private_segment_buffer 1
		.amdhsa_user_sgpr_dispatch_ptr 0
		.amdhsa_user_sgpr_queue_ptr 0
		.amdhsa_user_sgpr_kernarg_segment_ptr 1
		.amdhsa_user_sgpr_dispatch_id 0
		.amdhsa_user_sgpr_flat_scratch_init 0
		.amdhsa_user_sgpr_kernarg_preload_length 0
		.amdhsa_user_sgpr_kernarg_preload_offset 0
		.amdhsa_user_sgpr_private_segment_size 0
		.amdhsa_uses_dynamic_stack 0
		.amdhsa_system_sgpr_private_segment_wavefront_offset 0
		.amdhsa_system_sgpr_workgroup_id_x 1
		.amdhsa_system_sgpr_workgroup_id_y 0
		.amdhsa_system_sgpr_workgroup_id_z 0
		.amdhsa_system_sgpr_workgroup_info 0
		.amdhsa_system_vgpr_workitem_id 0
		.amdhsa_next_free_vgpr 11
		.amdhsa_next_free_sgpr 14
		.amdhsa_accum_offset 12
		.amdhsa_reserve_vcc 1
		.amdhsa_reserve_flat_scratch 0
		.amdhsa_float_round_mode_32 0
		.amdhsa_float_round_mode_16_64 0
		.amdhsa_float_denorm_mode_32 3
		.amdhsa_float_denorm_mode_16_64 3
		.amdhsa_dx10_clamp 1
		.amdhsa_ieee_mode 1
		.amdhsa_fp16_overflow 0
		.amdhsa_tg_split 0
		.amdhsa_exception_fp_ieee_invalid_op 0
		.amdhsa_exception_fp_denorm_src 0
		.amdhsa_exception_fp_ieee_div_zero 0
		.amdhsa_exception_fp_ieee_overflow 0
		.amdhsa_exception_fp_ieee_underflow 0
		.amdhsa_exception_fp_ieee_inexact 0
		.amdhsa_exception_int_div_zero 0
	.end_amdhsa_kernel
	.section	.text._ZN4vllm3moe10moeSigmoidILi256EfEEvPKT0_PKbPfi,"axG",@progbits,_ZN4vllm3moe10moeSigmoidILi256EfEEvPKT0_PKbPfi,comdat
.Lfunc_end208:
	.size	_ZN4vllm3moe10moeSigmoidILi256EfEEvPKT0_PKbPfi, .Lfunc_end208-_ZN4vllm3moe10moeSigmoidILi256EfEEvPKT0_PKbPfi
                                        ; -- End function
	.section	.AMDGPU.csdata,"",@progbits
; Kernel info:
; codeLenInByte = 356
; NumSgprs: 18
; NumVgprs: 11
; NumAgprs: 0
; TotalNumVgprs: 11
; ScratchSize: 0
; MemoryBound: 0
; FloatMode: 240
; IeeeMode: 1
; LDSByteSize: 0 bytes/workgroup (compile time only)
; SGPRBlocks: 2
; VGPRBlocks: 1
; NumSGPRsForWavesPerEU: 18
; NumVGPRsForWavesPerEU: 11
; AccumOffset: 12
; Occupancy: 8
; WaveLimiterHint : 0
; COMPUTE_PGM_RSRC2:SCRATCH_EN: 0
; COMPUTE_PGM_RSRC2:USER_SGPR: 6
; COMPUTE_PGM_RSRC2:TRAP_HANDLER: 0
; COMPUTE_PGM_RSRC2:TGID_X_EN: 1
; COMPUTE_PGM_RSRC2:TGID_Y_EN: 0
; COMPUTE_PGM_RSRC2:TGID_Z_EN: 0
; COMPUTE_PGM_RSRC2:TIDIG_COMP_CNT: 0
; COMPUTE_PGM_RSRC3_GFX90A:ACCUM_OFFSET: 2
; COMPUTE_PGM_RSRC3_GFX90A:TG_SPLIT: 0
	.section	.text._ZN4vllm3moe10topkGatingILi1ELi1ELi4ELi4ELi64EjfLNS0_11ScoringFuncE1EEEvPKT5_PKbPfiPT4_PiiiibPKf,"axG",@progbits,_ZN4vllm3moe10topkGatingILi1ELi1ELi4ELi4ELi64EjfLNS0_11ScoringFuncE1EEEvPKT5_PKbPfiPT4_PiiiibPKf,comdat
	.protected	_ZN4vllm3moe10topkGatingILi1ELi1ELi4ELi4ELi64EjfLNS0_11ScoringFuncE1EEEvPKT5_PKbPfiPT4_PiiiibPKf ; -- Begin function _ZN4vllm3moe10topkGatingILi1ELi1ELi4ELi4ELi64EjfLNS0_11ScoringFuncE1EEEvPKT5_PKbPfiPT4_PiiiibPKf
	.globl	_ZN4vllm3moe10topkGatingILi1ELi1ELi4ELi4ELi64EjfLNS0_11ScoringFuncE1EEEvPKT5_PKbPfiPT4_PiiiibPKf
	.p2align	8
	.type	_ZN4vllm3moe10topkGatingILi1ELi1ELi4ELi4ELi64EjfLNS0_11ScoringFuncE1EEEvPKT5_PKbPfiPT4_PiiiibPKf,@function
_ZN4vllm3moe10topkGatingILi1ELi1ELi4ELi4ELi64EjfLNS0_11ScoringFuncE1EEEvPKT5_PKbPfiPT4_PiiiibPKf: ; @_ZN4vllm3moe10topkGatingILi1ELi1ELi4ELi4ELi64EjfLNS0_11ScoringFuncE1EEEvPKT5_PKbPfiPT4_PiiiibPKf
; %bb.0:
	s_load_dword s18, s[4:5], 0x18
	v_bfe_u32 v1, v0, 10, 10
	s_lshl_b32 s0, s6, 8
	v_lshlrev_b32_e32 v1, 6, v1
	v_and_b32_e32 v0, 0x3ff, v0
	v_add3_u32 v0, v1, v0, s0
	s_waitcnt lgkmcnt(0)
	v_cmp_gt_i32_e32 vcc, s18, v0
	s_and_saveexec_b64 s[0:1], vcc
	s_cbranch_execz .LBB209_17
; %bb.1:
	s_load_dwordx4 s[12:15], s[4:5], 0x0
	s_load_dwordx2 s[2:3], s[4:5], 0x10
	v_ashrrev_i32_e32 v1, 31, v0
	s_waitcnt lgkmcnt(0)
	s_cmp_eq_u64 s[14:15], 0
	s_cbranch_scc1 .LBB209_3
; %bb.2:
	v_mov_b32_e32 v3, s15
	v_add_co_u32_e32 v2, vcc, s14, v0
	v_addc_co_u32_e32 v3, vcc, v3, v1, vcc
	global_load_ubyte v2, v[2:3], off
	s_waitcnt vmcnt(0)
	v_and_b32_e32 v2, 1, v2
	v_cmp_eq_u32_e32 vcc, 1, v2
	s_xor_b64 s[0:1], vcc, -1
	s_orn2_b64 s[16:17], s[0:1], exec
	s_branch .LBB209_4
.LBB209_3:
	s_mov_b64 s[16:17], -1
.LBB209_4:
	s_load_dwordx4 s[8:11], s[4:5], 0x30
	s_waitcnt lgkmcnt(0)
	s_bitcmp1_b32 s11, 0
	s_cselect_b64 s[0:1], -1, 0
	s_cmp_gt_i32 s8, 0
	s_cselect_b64 s[14:15], -1, 0
	s_cmp_lt_i32 s8, 1
	s_cbranch_scc1 .LBB209_8
; %bb.5:
	v_lshlrev_b64 v[2:3], 2, v[0:1]
	v_mov_b32_e32 v1, s13
	v_add_co_u32_e32 v2, vcc, s12, v2
	v_addc_co_u32_e32 v3, vcc, v1, v3, vcc
	global_load_dword v4, v[2:3], off
	v_mul_lo_u32 v2, v0, s8
	s_load_dwordx4 s[4:7], s[4:5], 0x20
	s_cmp_lt_i32 s9, 1
	v_ashrrev_i32_e32 v3, 31, v2
	s_cselect_b64 s[12:13], -1, 0
	s_cmp_gt_i32 s10, 0
	v_lshlrev_b64 v[6:7], 2, v[2:3]
	v_mov_b32_e32 v5, s3
	s_cselect_b64 s[10:11], -1, 0
	v_add_co_u32_e32 v2, vcc, s2, v6
	s_sub_i32 s9, 0, s9
	s_and_b64 s[10:11], s[12:13], s[10:11]
	v_addc_co_u32_e32 v3, vcc, v5, v7, vcc
	v_mov_b32_e32 v9, s9
	s_and_b64 vcc, s[16:17], s[10:11]
	v_cndmask_b32_e32 v9, 1, v9, vcc
	s_waitcnt lgkmcnt(0)
	v_mov_b32_e32 v5, s5
	v_mov_b32_e32 v10, s7
	s_movk_i32 s19, 0x1f8
	v_mov_b32_e32 v1, 0
	v_mov_b32_e32 v8, v0
	s_waitcnt vmcnt(0)
	v_mul_f32_e32 v4, 0xbfb8aa3b, v4
	v_exp_f32_e32 v11, v4
	v_add_co_u32_e32 v4, vcc, s4, v6
	v_addc_co_u32_e32 v5, vcc, v5, v7, vcc
	v_add_f32_e32 v11, 1.0, v11
	v_div_scale_f32 v12, s[4:5], v11, v11, 1.0
	v_rcp_f32_e32 v13, v12
	v_add_co_u32_e32 v6, vcc, s6, v6
	v_addc_co_u32_e32 v7, vcc, v10, v7, vcc
	v_fma_f32 v14, -v12, v13, 1.0
	v_div_scale_f32 v10, vcc, 1.0, v11, 1.0
	v_fmac_f32_e32 v13, v14, v13
	v_mul_f32_e32 v14, v10, v13
	v_fma_f32 v15, -v12, v14, v10
	v_fmac_f32_e32 v14, v15, v13
	v_fma_f32 v10, -v12, v14, v10
	v_div_fmas_f32 v10, v10, v13, v14
	v_div_fixup_f32 v10, v10, v11, 1.0
	v_cmp_class_f32_e64 vcc, v10, s19
	v_cndmask_b32_e32 v10, 0, v10, vcc
	s_mov_b32 s4, s8
.LBB209_6:                              ; =>This Inner Loop Header: Depth=1
	global_store_dword v[2:3], v10, off
	global_store_dword v[4:5], v9, off
	;; [unrolled: 1-line block ×3, first 2 shown]
	v_add_co_u32_e32 v2, vcc, 4, v2
	v_addc_co_u32_e32 v3, vcc, 0, v3, vcc
	v_add_co_u32_e32 v4, vcc, 4, v4
	v_addc_co_u32_e32 v5, vcc, 0, v5, vcc
	v_add_f32_e32 v11, v1, v10
	s_add_i32 s4, s4, -1
	v_add_co_u32_e32 v6, vcc, 4, v6
	v_cndmask_b32_e64 v1, v1, v11, s[0:1]
	v_add_u32_e32 v8, s18, v8
	s_cmp_lg_u32 s4, 0
	v_addc_co_u32_e32 v7, vcc, 0, v7, vcc
	s_cbranch_scc1 .LBB209_6
; %bb.7:
	s_andn2_b64 vcc, exec, s[0:1]
	s_cbranch_vccz .LBB209_9
	s_branch .LBB209_17
.LBB209_8:
	v_mov_b32_e32 v1, 0
	s_andn2_b64 vcc, exec, s[0:1]
	s_cbranch_vccnz .LBB209_17
.LBB209_9:
	s_andn2_b64 vcc, exec, s[14:15]
	s_cbranch_vccnz .LBB209_17
; %bb.10:
	v_cmp_lt_f32_e32 vcc, 0, v1
	s_mov_b32 s4, 0
	v_cndmask_b32_e32 v2, 1.0, v1, vcc
	v_mul_lo_u32 v0, v0, s8
	s_cmp_eq_u32 s8, 1
	s_mov_b64 s[0:1], -1
	s_cbranch_scc1 .LBB209_14
; %bb.11:
	s_and_b32 s4, s8, 0x7ffffffe
	v_mov_b32_e32 v1, v2
	v_mov_b32_e32 v3, s3
	s_mov_b32 s5, s4
	v_mov_b32_e32 v4, v0
.LBB209_12:                             ; =>This Inner Loop Header: Depth=1
	v_ashrrev_i32_e32 v5, 31, v4
	v_lshlrev_b64 v[6:7], 2, v[4:5]
	v_add_co_u32_e32 v6, vcc, s2, v6
	v_addc_co_u32_e32 v7, vcc, v3, v7, vcc
	global_load_dwordx2 v[8:9], v[6:7], off
	s_add_i32 s5, s5, -2
	s_cmp_lg_u32 s5, 0
	v_add_u32_e32 v4, 2, v4
	s_waitcnt vmcnt(0)
	v_div_scale_f32 v5, s[0:1], v1, v1, v9
	v_div_scale_f32 v11, s[0:1], v2, v2, v8
	v_rcp_f32_e32 v12, v5
	v_rcp_f32_e32 v13, v11
	v_div_scale_f32 v10, vcc, v9, v1, v9
	v_fma_f32 v15, -v5, v12, 1.0
	v_fma_f32 v16, -v11, v13, 1.0
	v_fmac_f32_e32 v12, v15, v12
	v_div_scale_f32 v14, s[0:1], v8, v2, v8
	v_fmac_f32_e32 v13, v16, v13
	v_mul_f32_e32 v15, v10, v12
	v_mul_f32_e32 v16, v14, v13
	v_fma_f32 v17, -v5, v15, v10
	v_fma_f32 v18, -v11, v16, v14
	v_fmac_f32_e32 v15, v17, v12
	v_fmac_f32_e32 v16, v18, v13
	v_fma_f32 v5, -v5, v15, v10
	v_fma_f32 v10, -v11, v16, v14
	v_div_fmas_f32 v5, v5, v12, v15
	s_mov_b64 vcc, s[0:1]
	v_div_fixup_f32 v9, v5, v1, v9
	v_div_fmas_f32 v5, v10, v13, v16
	v_div_fixup_f32 v8, v5, v2, v8
	global_store_dwordx2 v[6:7], v[8:9], off
	s_cbranch_scc1 .LBB209_12
; %bb.13:
	s_cmp_lg_u32 s4, s8
	s_cselect_b64 s[0:1], -1, 0
.LBB209_14:
	s_and_b64 vcc, exec, s[0:1]
	s_cbranch_vccz .LBB209_17
; %bb.15:
	v_ashrrev_i32_e32 v1, 31, v0
	v_add_co_u32_e32 v0, vcc, s4, v0
	v_addc_co_u32_e32 v1, vcc, 0, v1, vcc
	v_lshlrev_b64 v[0:1], 2, v[0:1]
	v_mov_b32_e32 v3, s3
	v_add_co_u32_e32 v0, vcc, s2, v0
	s_sub_i32 s0, s8, s4
	v_addc_co_u32_e32 v1, vcc, v3, v1, vcc
.LBB209_16:                             ; =>This Inner Loop Header: Depth=1
	global_load_dword v3, v[0:1], off
	s_add_i32 s0, s0, -1
	s_cmp_lg_u32 s0, 0
	s_waitcnt vmcnt(0)
	v_div_scale_f32 v4, s[2:3], v2, v2, v3
	v_rcp_f32_e32 v5, v4
	v_div_scale_f32 v6, vcc, v3, v2, v3
	v_fma_f32 v7, -v4, v5, 1.0
	v_fmac_f32_e32 v5, v7, v5
	v_mul_f32_e32 v7, v6, v5
	v_fma_f32 v8, -v4, v7, v6
	v_fmac_f32_e32 v7, v8, v5
	v_fma_f32 v4, -v4, v7, v6
	v_div_fmas_f32 v4, v4, v5, v7
	v_div_fixup_f32 v3, v4, v2, v3
	global_store_dword v[0:1], v3, off
	v_add_co_u32_e32 v0, vcc, 4, v0
	v_addc_co_u32_e32 v1, vcc, 0, v1, vcc
	s_cbranch_scc1 .LBB209_16
.LBB209_17:
	s_endpgm
	.section	.rodata,"a",@progbits
	.p2align	6, 0x0
	.amdhsa_kernel _ZN4vllm3moe10topkGatingILi1ELi1ELi4ELi4ELi64EjfLNS0_11ScoringFuncE1EEEvPKT5_PKbPfiPT4_PiiiibPKf
		.amdhsa_group_segment_fixed_size 0
		.amdhsa_private_segment_fixed_size 0
		.amdhsa_kernarg_size 72
		.amdhsa_user_sgpr_count 6
		.amdhsa_user_sgpr_private_segment_buffer 1
		.amdhsa_user_sgpr_dispatch_ptr 0
		.amdhsa_user_sgpr_queue_ptr 0
		.amdhsa_user_sgpr_kernarg_segment_ptr 1
		.amdhsa_user_sgpr_dispatch_id 0
		.amdhsa_user_sgpr_flat_scratch_init 0
		.amdhsa_user_sgpr_kernarg_preload_length 0
		.amdhsa_user_sgpr_kernarg_preload_offset 0
		.amdhsa_user_sgpr_private_segment_size 0
		.amdhsa_uses_dynamic_stack 0
		.amdhsa_system_sgpr_private_segment_wavefront_offset 0
		.amdhsa_system_sgpr_workgroup_id_x 1
		.amdhsa_system_sgpr_workgroup_id_y 0
		.amdhsa_system_sgpr_workgroup_id_z 0
		.amdhsa_system_sgpr_workgroup_info 0
		.amdhsa_system_vgpr_workitem_id 1
		.amdhsa_next_free_vgpr 19
		.amdhsa_next_free_sgpr 20
		.amdhsa_accum_offset 20
		.amdhsa_reserve_vcc 1
		.amdhsa_reserve_flat_scratch 0
		.amdhsa_float_round_mode_32 0
		.amdhsa_float_round_mode_16_64 0
		.amdhsa_float_denorm_mode_32 3
		.amdhsa_float_denorm_mode_16_64 3
		.amdhsa_dx10_clamp 1
		.amdhsa_ieee_mode 1
		.amdhsa_fp16_overflow 0
		.amdhsa_tg_split 0
		.amdhsa_exception_fp_ieee_invalid_op 0
		.amdhsa_exception_fp_denorm_src 0
		.amdhsa_exception_fp_ieee_div_zero 0
		.amdhsa_exception_fp_ieee_overflow 0
		.amdhsa_exception_fp_ieee_underflow 0
		.amdhsa_exception_fp_ieee_inexact 0
		.amdhsa_exception_int_div_zero 0
	.end_amdhsa_kernel
	.section	.text._ZN4vllm3moe10topkGatingILi1ELi1ELi4ELi4ELi64EjfLNS0_11ScoringFuncE1EEEvPKT5_PKbPfiPT4_PiiiibPKf,"axG",@progbits,_ZN4vllm3moe10topkGatingILi1ELi1ELi4ELi4ELi64EjfLNS0_11ScoringFuncE1EEEvPKT5_PKbPfiPT4_PiiiibPKf,comdat
.Lfunc_end209:
	.size	_ZN4vllm3moe10topkGatingILi1ELi1ELi4ELi4ELi64EjfLNS0_11ScoringFuncE1EEEvPKT5_PKbPfiPT4_PiiiibPKf, .Lfunc_end209-_ZN4vllm3moe10topkGatingILi1ELi1ELi4ELi4ELi64EjfLNS0_11ScoringFuncE1EEEvPKT5_PKbPfiPT4_PiiiibPKf
                                        ; -- End function
	.section	.AMDGPU.csdata,"",@progbits
; Kernel info:
; codeLenInByte = 960
; NumSgprs: 24
; NumVgprs: 19
; NumAgprs: 0
; TotalNumVgprs: 19
; ScratchSize: 0
; MemoryBound: 0
; FloatMode: 240
; IeeeMode: 1
; LDSByteSize: 0 bytes/workgroup (compile time only)
; SGPRBlocks: 2
; VGPRBlocks: 2
; NumSGPRsForWavesPerEU: 24
; NumVGPRsForWavesPerEU: 19
; AccumOffset: 20
; Occupancy: 8
; WaveLimiterHint : 0
; COMPUTE_PGM_RSRC2:SCRATCH_EN: 0
; COMPUTE_PGM_RSRC2:USER_SGPR: 6
; COMPUTE_PGM_RSRC2:TRAP_HANDLER: 0
; COMPUTE_PGM_RSRC2:TGID_X_EN: 1
; COMPUTE_PGM_RSRC2:TGID_Y_EN: 0
; COMPUTE_PGM_RSRC2:TGID_Z_EN: 0
; COMPUTE_PGM_RSRC2:TIDIG_COMP_CNT: 1
; COMPUTE_PGM_RSRC3_GFX90A:ACCUM_OFFSET: 4
; COMPUTE_PGM_RSRC3_GFX90A:TG_SPLIT: 0
	.section	.text._ZN4vllm3moe10topkGatingILi1ELi1ELi4ELi4ELi32EjfLNS0_11ScoringFuncE1EEEvPKT5_PKbPfiPT4_PiiiibPKf,"axG",@progbits,_ZN4vllm3moe10topkGatingILi1ELi1ELi4ELi4ELi32EjfLNS0_11ScoringFuncE1EEEvPKT5_PKbPfiPT4_PiiiibPKf,comdat
	.protected	_ZN4vllm3moe10topkGatingILi1ELi1ELi4ELi4ELi32EjfLNS0_11ScoringFuncE1EEEvPKT5_PKbPfiPT4_PiiiibPKf ; -- Begin function _ZN4vllm3moe10topkGatingILi1ELi1ELi4ELi4ELi32EjfLNS0_11ScoringFuncE1EEEvPKT5_PKbPfiPT4_PiiiibPKf
	.globl	_ZN4vllm3moe10topkGatingILi1ELi1ELi4ELi4ELi32EjfLNS0_11ScoringFuncE1EEEvPKT5_PKbPfiPT4_PiiiibPKf
	.p2align	8
	.type	_ZN4vllm3moe10topkGatingILi1ELi1ELi4ELi4ELi32EjfLNS0_11ScoringFuncE1EEEvPKT5_PKbPfiPT4_PiiiibPKf,@function
_ZN4vllm3moe10topkGatingILi1ELi1ELi4ELi4ELi32EjfLNS0_11ScoringFuncE1EEEvPKT5_PKbPfiPT4_PiiiibPKf: ; @_ZN4vllm3moe10topkGatingILi1ELi1ELi4ELi4ELi32EjfLNS0_11ScoringFuncE1EEEvPKT5_PKbPfiPT4_PiiiibPKf
; %bb.0:
	s_load_dword s18, s[4:5], 0x18
	v_bfe_u32 v1, v0, 10, 10
	s_lshl_b32 s0, s6, 7
	v_lshlrev_b32_e32 v1, 5, v1
	v_and_b32_e32 v0, 0x3ff, v0
	v_add3_u32 v0, v1, v0, s0
	s_waitcnt lgkmcnt(0)
	v_cmp_gt_i32_e32 vcc, s18, v0
	s_and_saveexec_b64 s[0:1], vcc
	s_cbranch_execz .LBB210_17
; %bb.1:
	s_load_dwordx4 s[12:15], s[4:5], 0x0
	s_load_dwordx2 s[2:3], s[4:5], 0x10
	v_ashrrev_i32_e32 v1, 31, v0
	s_waitcnt lgkmcnt(0)
	s_cmp_eq_u64 s[14:15], 0
	s_cbranch_scc1 .LBB210_3
; %bb.2:
	v_mov_b32_e32 v3, s15
	v_add_co_u32_e32 v2, vcc, s14, v0
	v_addc_co_u32_e32 v3, vcc, v3, v1, vcc
	global_load_ubyte v2, v[2:3], off
	s_waitcnt vmcnt(0)
	v_and_b32_e32 v2, 1, v2
	v_cmp_eq_u32_e32 vcc, 1, v2
	s_xor_b64 s[0:1], vcc, -1
	s_orn2_b64 s[16:17], s[0:1], exec
	s_branch .LBB210_4
.LBB210_3:
	s_mov_b64 s[16:17], -1
.LBB210_4:
	s_load_dwordx4 s[8:11], s[4:5], 0x30
	s_waitcnt lgkmcnt(0)
	s_bitcmp1_b32 s11, 0
	s_cselect_b64 s[0:1], -1, 0
	s_cmp_gt_i32 s8, 0
	s_cselect_b64 s[14:15], -1, 0
	s_cmp_lt_i32 s8, 1
	s_cbranch_scc1 .LBB210_8
; %bb.5:
	v_lshlrev_b64 v[2:3], 2, v[0:1]
	v_mov_b32_e32 v1, s13
	v_add_co_u32_e32 v2, vcc, s12, v2
	v_addc_co_u32_e32 v3, vcc, v1, v3, vcc
	global_load_dword v4, v[2:3], off
	v_mul_lo_u32 v2, v0, s8
	s_load_dwordx4 s[4:7], s[4:5], 0x20
	s_cmp_lt_i32 s9, 1
	v_ashrrev_i32_e32 v3, 31, v2
	s_cselect_b64 s[12:13], -1, 0
	s_cmp_gt_i32 s10, 0
	v_lshlrev_b64 v[6:7], 2, v[2:3]
	v_mov_b32_e32 v5, s3
	s_cselect_b64 s[10:11], -1, 0
	v_add_co_u32_e32 v2, vcc, s2, v6
	s_sub_i32 s9, 0, s9
	s_and_b64 s[10:11], s[12:13], s[10:11]
	v_addc_co_u32_e32 v3, vcc, v5, v7, vcc
	v_mov_b32_e32 v9, s9
	s_and_b64 vcc, s[16:17], s[10:11]
	v_cndmask_b32_e32 v9, 1, v9, vcc
	s_waitcnt lgkmcnt(0)
	v_mov_b32_e32 v5, s5
	v_mov_b32_e32 v10, s7
	s_movk_i32 s19, 0x1f8
	v_mov_b32_e32 v1, 0
	v_mov_b32_e32 v8, v0
	s_waitcnt vmcnt(0)
	v_mul_f32_e32 v4, 0xbfb8aa3b, v4
	v_exp_f32_e32 v11, v4
	v_add_co_u32_e32 v4, vcc, s4, v6
	v_addc_co_u32_e32 v5, vcc, v5, v7, vcc
	v_add_f32_e32 v11, 1.0, v11
	v_div_scale_f32 v12, s[4:5], v11, v11, 1.0
	v_rcp_f32_e32 v13, v12
	v_add_co_u32_e32 v6, vcc, s6, v6
	v_addc_co_u32_e32 v7, vcc, v10, v7, vcc
	v_fma_f32 v14, -v12, v13, 1.0
	v_div_scale_f32 v10, vcc, 1.0, v11, 1.0
	v_fmac_f32_e32 v13, v14, v13
	v_mul_f32_e32 v14, v10, v13
	v_fma_f32 v15, -v12, v14, v10
	v_fmac_f32_e32 v14, v15, v13
	v_fma_f32 v10, -v12, v14, v10
	v_div_fmas_f32 v10, v10, v13, v14
	v_div_fixup_f32 v10, v10, v11, 1.0
	v_cmp_class_f32_e64 vcc, v10, s19
	v_cndmask_b32_e32 v10, 0, v10, vcc
	s_mov_b32 s4, s8
.LBB210_6:                              ; =>This Inner Loop Header: Depth=1
	global_store_dword v[2:3], v10, off
	global_store_dword v[4:5], v9, off
	global_store_dword v[6:7], v8, off
	v_add_co_u32_e32 v2, vcc, 4, v2
	v_addc_co_u32_e32 v3, vcc, 0, v3, vcc
	v_add_co_u32_e32 v4, vcc, 4, v4
	v_addc_co_u32_e32 v5, vcc, 0, v5, vcc
	v_add_f32_e32 v11, v1, v10
	s_add_i32 s4, s4, -1
	v_add_co_u32_e32 v6, vcc, 4, v6
	v_cndmask_b32_e64 v1, v1, v11, s[0:1]
	v_add_u32_e32 v8, s18, v8
	s_cmp_lg_u32 s4, 0
	v_addc_co_u32_e32 v7, vcc, 0, v7, vcc
	s_cbranch_scc1 .LBB210_6
; %bb.7:
	s_andn2_b64 vcc, exec, s[0:1]
	s_cbranch_vccz .LBB210_9
	s_branch .LBB210_17
.LBB210_8:
	v_mov_b32_e32 v1, 0
	s_andn2_b64 vcc, exec, s[0:1]
	s_cbranch_vccnz .LBB210_17
.LBB210_9:
	s_andn2_b64 vcc, exec, s[14:15]
	s_cbranch_vccnz .LBB210_17
; %bb.10:
	v_cmp_lt_f32_e32 vcc, 0, v1
	s_mov_b32 s4, 0
	v_cndmask_b32_e32 v2, 1.0, v1, vcc
	v_mul_lo_u32 v0, v0, s8
	s_cmp_eq_u32 s8, 1
	s_mov_b64 s[0:1], -1
	s_cbranch_scc1 .LBB210_14
; %bb.11:
	s_and_b32 s4, s8, 0x7ffffffe
	v_mov_b32_e32 v1, v2
	v_mov_b32_e32 v3, s3
	s_mov_b32 s5, s4
	v_mov_b32_e32 v4, v0
.LBB210_12:                             ; =>This Inner Loop Header: Depth=1
	v_ashrrev_i32_e32 v5, 31, v4
	v_lshlrev_b64 v[6:7], 2, v[4:5]
	v_add_co_u32_e32 v6, vcc, s2, v6
	v_addc_co_u32_e32 v7, vcc, v3, v7, vcc
	global_load_dwordx2 v[8:9], v[6:7], off
	s_add_i32 s5, s5, -2
	s_cmp_lg_u32 s5, 0
	v_add_u32_e32 v4, 2, v4
	s_waitcnt vmcnt(0)
	v_div_scale_f32 v5, s[0:1], v1, v1, v9
	v_div_scale_f32 v11, s[0:1], v2, v2, v8
	v_rcp_f32_e32 v12, v5
	v_rcp_f32_e32 v13, v11
	v_div_scale_f32 v10, vcc, v9, v1, v9
	v_fma_f32 v15, -v5, v12, 1.0
	v_fma_f32 v16, -v11, v13, 1.0
	v_fmac_f32_e32 v12, v15, v12
	v_div_scale_f32 v14, s[0:1], v8, v2, v8
	v_fmac_f32_e32 v13, v16, v13
	v_mul_f32_e32 v15, v10, v12
	v_mul_f32_e32 v16, v14, v13
	v_fma_f32 v17, -v5, v15, v10
	v_fma_f32 v18, -v11, v16, v14
	v_fmac_f32_e32 v15, v17, v12
	v_fmac_f32_e32 v16, v18, v13
	v_fma_f32 v5, -v5, v15, v10
	v_fma_f32 v10, -v11, v16, v14
	v_div_fmas_f32 v5, v5, v12, v15
	s_mov_b64 vcc, s[0:1]
	v_div_fixup_f32 v9, v5, v1, v9
	v_div_fmas_f32 v5, v10, v13, v16
	v_div_fixup_f32 v8, v5, v2, v8
	global_store_dwordx2 v[6:7], v[8:9], off
	s_cbranch_scc1 .LBB210_12
; %bb.13:
	s_cmp_lg_u32 s4, s8
	s_cselect_b64 s[0:1], -1, 0
.LBB210_14:
	s_and_b64 vcc, exec, s[0:1]
	s_cbranch_vccz .LBB210_17
; %bb.15:
	v_ashrrev_i32_e32 v1, 31, v0
	v_add_co_u32_e32 v0, vcc, s4, v0
	v_addc_co_u32_e32 v1, vcc, 0, v1, vcc
	v_lshlrev_b64 v[0:1], 2, v[0:1]
	v_mov_b32_e32 v3, s3
	v_add_co_u32_e32 v0, vcc, s2, v0
	s_sub_i32 s0, s8, s4
	v_addc_co_u32_e32 v1, vcc, v3, v1, vcc
.LBB210_16:                             ; =>This Inner Loop Header: Depth=1
	global_load_dword v3, v[0:1], off
	s_add_i32 s0, s0, -1
	s_cmp_lg_u32 s0, 0
	s_waitcnt vmcnt(0)
	v_div_scale_f32 v4, s[2:3], v2, v2, v3
	v_rcp_f32_e32 v5, v4
	v_div_scale_f32 v6, vcc, v3, v2, v3
	v_fma_f32 v7, -v4, v5, 1.0
	v_fmac_f32_e32 v5, v7, v5
	v_mul_f32_e32 v7, v6, v5
	v_fma_f32 v8, -v4, v7, v6
	v_fmac_f32_e32 v7, v8, v5
	v_fma_f32 v4, -v4, v7, v6
	v_div_fmas_f32 v4, v4, v5, v7
	v_div_fixup_f32 v3, v4, v2, v3
	global_store_dword v[0:1], v3, off
	v_add_co_u32_e32 v0, vcc, 4, v0
	v_addc_co_u32_e32 v1, vcc, 0, v1, vcc
	s_cbranch_scc1 .LBB210_16
.LBB210_17:
	s_endpgm
	.section	.rodata,"a",@progbits
	.p2align	6, 0x0
	.amdhsa_kernel _ZN4vllm3moe10topkGatingILi1ELi1ELi4ELi4ELi32EjfLNS0_11ScoringFuncE1EEEvPKT5_PKbPfiPT4_PiiiibPKf
		.amdhsa_group_segment_fixed_size 0
		.amdhsa_private_segment_fixed_size 0
		.amdhsa_kernarg_size 72
		.amdhsa_user_sgpr_count 6
		.amdhsa_user_sgpr_private_segment_buffer 1
		.amdhsa_user_sgpr_dispatch_ptr 0
		.amdhsa_user_sgpr_queue_ptr 0
		.amdhsa_user_sgpr_kernarg_segment_ptr 1
		.amdhsa_user_sgpr_dispatch_id 0
		.amdhsa_user_sgpr_flat_scratch_init 0
		.amdhsa_user_sgpr_kernarg_preload_length 0
		.amdhsa_user_sgpr_kernarg_preload_offset 0
		.amdhsa_user_sgpr_private_segment_size 0
		.amdhsa_uses_dynamic_stack 0
		.amdhsa_system_sgpr_private_segment_wavefront_offset 0
		.amdhsa_system_sgpr_workgroup_id_x 1
		.amdhsa_system_sgpr_workgroup_id_y 0
		.amdhsa_system_sgpr_workgroup_id_z 0
		.amdhsa_system_sgpr_workgroup_info 0
		.amdhsa_system_vgpr_workitem_id 1
		.amdhsa_next_free_vgpr 19
		.amdhsa_next_free_sgpr 20
		.amdhsa_accum_offset 20
		.amdhsa_reserve_vcc 1
		.amdhsa_reserve_flat_scratch 0
		.amdhsa_float_round_mode_32 0
		.amdhsa_float_round_mode_16_64 0
		.amdhsa_float_denorm_mode_32 3
		.amdhsa_float_denorm_mode_16_64 3
		.amdhsa_dx10_clamp 1
		.amdhsa_ieee_mode 1
		.amdhsa_fp16_overflow 0
		.amdhsa_tg_split 0
		.amdhsa_exception_fp_ieee_invalid_op 0
		.amdhsa_exception_fp_denorm_src 0
		.amdhsa_exception_fp_ieee_div_zero 0
		.amdhsa_exception_fp_ieee_overflow 0
		.amdhsa_exception_fp_ieee_underflow 0
		.amdhsa_exception_fp_ieee_inexact 0
		.amdhsa_exception_int_div_zero 0
	.end_amdhsa_kernel
	.section	.text._ZN4vllm3moe10topkGatingILi1ELi1ELi4ELi4ELi32EjfLNS0_11ScoringFuncE1EEEvPKT5_PKbPfiPT4_PiiiibPKf,"axG",@progbits,_ZN4vllm3moe10topkGatingILi1ELi1ELi4ELi4ELi32EjfLNS0_11ScoringFuncE1EEEvPKT5_PKbPfiPT4_PiiiibPKf,comdat
.Lfunc_end210:
	.size	_ZN4vllm3moe10topkGatingILi1ELi1ELi4ELi4ELi32EjfLNS0_11ScoringFuncE1EEEvPKT5_PKbPfiPT4_PiiiibPKf, .Lfunc_end210-_ZN4vllm3moe10topkGatingILi1ELi1ELi4ELi4ELi32EjfLNS0_11ScoringFuncE1EEEvPKT5_PKbPfiPT4_PiiiibPKf
                                        ; -- End function
	.section	.AMDGPU.csdata,"",@progbits
; Kernel info:
; codeLenInByte = 960
; NumSgprs: 24
; NumVgprs: 19
; NumAgprs: 0
; TotalNumVgprs: 19
; ScratchSize: 0
; MemoryBound: 0
; FloatMode: 240
; IeeeMode: 1
; LDSByteSize: 0 bytes/workgroup (compile time only)
; SGPRBlocks: 2
; VGPRBlocks: 2
; NumSGPRsForWavesPerEU: 24
; NumVGPRsForWavesPerEU: 19
; AccumOffset: 20
; Occupancy: 8
; WaveLimiterHint : 0
; COMPUTE_PGM_RSRC2:SCRATCH_EN: 0
; COMPUTE_PGM_RSRC2:USER_SGPR: 6
; COMPUTE_PGM_RSRC2:TRAP_HANDLER: 0
; COMPUTE_PGM_RSRC2:TGID_X_EN: 1
; COMPUTE_PGM_RSRC2:TGID_Y_EN: 0
; COMPUTE_PGM_RSRC2:TGID_Z_EN: 0
; COMPUTE_PGM_RSRC2:TIDIG_COMP_CNT: 1
; COMPUTE_PGM_RSRC3_GFX90A:ACCUM_OFFSET: 4
; COMPUTE_PGM_RSRC3_GFX90A:TG_SPLIT: 0
	.section	.text._ZN4vllm3moe10topkGatingILi2ELi2ELi4ELi8ELi64EjfLNS0_11ScoringFuncE1EEEvPKT5_PKbPfiPT4_PiiiibPKf,"axG",@progbits,_ZN4vllm3moe10topkGatingILi2ELi2ELi4ELi8ELi64EjfLNS0_11ScoringFuncE1EEEvPKT5_PKbPfiPT4_PiiiibPKf,comdat
	.protected	_ZN4vllm3moe10topkGatingILi2ELi2ELi4ELi8ELi64EjfLNS0_11ScoringFuncE1EEEvPKT5_PKbPfiPT4_PiiiibPKf ; -- Begin function _ZN4vllm3moe10topkGatingILi2ELi2ELi4ELi8ELi64EjfLNS0_11ScoringFuncE1EEEvPKT5_PKbPfiPT4_PiiiibPKf
	.globl	_ZN4vllm3moe10topkGatingILi2ELi2ELi4ELi8ELi64EjfLNS0_11ScoringFuncE1EEEvPKT5_PKbPfiPT4_PiiiibPKf
	.p2align	8
	.type	_ZN4vllm3moe10topkGatingILi2ELi2ELi4ELi8ELi64EjfLNS0_11ScoringFuncE1EEEvPKT5_PKbPfiPT4_PiiiibPKf,@function
_ZN4vllm3moe10topkGatingILi2ELi2ELi4ELi8ELi64EjfLNS0_11ScoringFuncE1EEEvPKT5_PKbPfiPT4_PiiiibPKf: ; @_ZN4vllm3moe10topkGatingILi2ELi2ELi4ELi8ELi64EjfLNS0_11ScoringFuncE1EEEvPKT5_PKbPfiPT4_PiiiibPKf
; %bb.0:
	s_load_dword s16, s[4:5], 0x18
	v_bfe_u32 v1, v0, 10, 10
	s_lshl_b32 s0, s6, 8
	v_lshlrev_b32_e32 v1, 6, v1
	v_and_b32_e32 v0, 0x3ff, v0
	v_add3_u32 v10, v1, v0, s0
	s_waitcnt lgkmcnt(0)
	v_cmp_gt_i32_e32 vcc, s16, v10
	s_and_saveexec_b64 s[0:1], vcc
	s_cbranch_execz .LBB211_19
; %bb.1:
	s_load_dwordx4 s[0:3], s[4:5], 0x0
	s_load_dwordx2 s[6:7], s[4:5], 0x10
	s_waitcnt lgkmcnt(0)
	s_cmp_eq_u64 s[2:3], 0
	s_cbranch_scc1 .LBB211_3
; %bb.2:
	v_ashrrev_i32_e32 v1, 31, v10
	v_mov_b32_e32 v2, s3
	v_add_co_u32_e32 v0, vcc, s2, v10
	v_addc_co_u32_e32 v1, vcc, v2, v1, vcc
	global_load_ubyte v0, v[0:1], off
	s_waitcnt vmcnt(0)
	v_and_b32_e32 v0, 1, v0
	v_cmp_eq_u32_e32 vcc, 1, v0
	s_xor_b64 s[2:3], vcc, -1
	s_orn2_b64 s[12:13], s[2:3], exec
	s_branch .LBB211_4
.LBB211_3:
	s_mov_b64 s[12:13], -1
.LBB211_4:
	v_lshlrev_b32_e32 v0, 1, v10
	v_ashrrev_i32_e32 v1, 31, v0
	v_lshlrev_b64 v[0:1], 2, v[0:1]
	v_mov_b32_e32 v2, s1
	v_add_co_u32_e32 v0, vcc, s0, v0
	v_addc_co_u32_e32 v1, vcc, v2, v1, vcc
	global_load_dwordx2 v[0:1], v[0:1], off
	s_load_dwordx2 s[2:3], s[4:5], 0x40
	s_movk_i32 s8, 0x1f8
	s_waitcnt lgkmcnt(0)
	s_cmp_eq_u64 s[2:3], 0
	s_waitcnt vmcnt(0)
	v_mul_f32_e32 v0, 0xbfb8aa3b, v0
	v_mul_f32_e32 v1, 0xbfb8aa3b, v1
	v_exp_f32_e32 v0, v0
	v_exp_f32_e32 v1, v1
	v_pk_add_f32 v[0:1], v[0:1], 1.0 op_sel_hi:[1,0]
	v_div_scale_f32 v2, s[0:1], v1, v1, 1.0
	v_div_scale_f32 v4, s[0:1], v0, v0, 1.0
	v_rcp_f32_e32 v5, v2
	v_rcp_f32_e32 v6, v4
	v_div_scale_f32 v3, vcc, 1.0, v1, 1.0
	v_fma_f32 v8, -v2, v5, 1.0
	v_fma_f32 v9, -v4, v6, 1.0
	v_fmac_f32_e32 v5, v8, v5
	v_div_scale_f32 v7, s[0:1], 1.0, v0, 1.0
	v_fmac_f32_e32 v6, v9, v6
	v_mul_f32_e32 v8, v3, v5
	v_mul_f32_e32 v9, v7, v6
	v_fma_f32 v11, -v2, v8, v3
	v_fma_f32 v12, -v4, v9, v7
	v_fmac_f32_e32 v8, v11, v5
	v_fmac_f32_e32 v9, v12, v6
	v_fma_f32 v2, -v2, v8, v3
	v_fma_f32 v3, -v4, v9, v7
	v_div_fmas_f32 v2, v2, v5, v8
	s_mov_b64 vcc, s[0:1]
	v_div_fixup_f32 v1, v2, v1, 1.0
	v_div_fmas_f32 v2, v3, v6, v9
	v_div_fixup_f32 v0, v2, v0, 1.0
	v_cmp_class_f32_e64 vcc, v1, s8
	v_cndmask_b32_e32 v1, 0, v1, vcc
	v_cmp_class_f32_e64 vcc, v0, s8
	v_cndmask_b32_e32 v0, 0, v0, vcc
	v_pk_mov_b32 v[2:3], v[0:1], v[0:1] op_sel:[0,1]
	s_cbranch_scc1 .LBB211_6
; %bb.5:
	s_load_dwordx2 s[0:1], s[2:3], 0x0
	s_waitcnt lgkmcnt(0)
	v_pk_add_f32 v[2:3], v[0:1], s[0:1]
.LBB211_6:
	s_load_dwordx4 s[8:11], s[4:5], 0x30
	s_waitcnt lgkmcnt(0)
	s_bitcmp1_b32 s11, 0
	s_cselect_b64 vcc, -1, 0
	s_cmp_gt_i32 s8, 0
	s_cselect_b64 s[14:15], -1, 0
	s_cmp_lt_i32 s8, 1
	s_cbranch_scc1 .LBB211_10
; %bb.7:
	s_load_dwordx4 s[20:23], s[4:5], 0x20
	v_mul_lo_u32 v4, v10, s8
	v_ashrrev_i32_e32 v5, 31, v4
	v_lshlrev_b64 v[8:9], 2, v[4:5]
	v_mov_b32_e32 v5, s7
	v_add_co_u32_e64 v4, s[0:1], s6, v8
	v_addc_co_u32_e64 v5, s[0:1], v5, v9, s[0:1]
	s_waitcnt lgkmcnt(0)
	v_mov_b32_e32 v7, s21
	v_add_co_u32_e64 v6, s[0:1], s20, v8
	v_addc_co_u32_e64 v7, s[0:1], v7, v9, s[0:1]
	v_mov_b32_e32 v11, s23
	v_add_co_u32_e64 v8, s[0:1], s22, v8
	v_addc_co_u32_e64 v9, s[0:1], v11, v9, s[0:1]
	s_mov_b32 s11, 0
	v_mov_b32_e32 v11, 0
	v_mov_b32_e32 v12, 0xc61c4000
	;; [unrolled: 1-line block ×3, first 2 shown]
.LBB211_8:                              ; =>This Inner Loop Header: Depth=1
	v_cmp_gt_f32_e64 s[0:1], v3, v2
	v_cndmask_b32_e64 v14, 0, 1, s[0:1]
	v_cmp_le_i32_e64 s[2:3], s9, v14
	v_cmp_gt_i32_e64 s[4:5], s10, v14
	s_and_b64 s[2:3], s[2:3], s[4:5]
	v_subrev_u32_e32 v14, s9, v14
	s_and_b64 s[2:3], s[12:13], s[2:3]
	v_cndmask_b32_e64 v15, v0, v1, s[0:1]
	v_cndmask_b32_e64 v14, 2, v14, s[2:3]
	s_add_i32 s11, s11, 1
	global_store_dword v[4:5], v15, off
	global_store_dword v[6:7], v14, off
	;; [unrolled: 1-line block ×3, first 2 shown]
	v_add_f32_e32 v14, v11, v15
	s_cmp_lt_i32 s11, s8
	v_cndmask_b32_e32 v11, v11, v14, vcc
	v_cndmask_b32_e64 v14, v12, v2, s[0:1]
	v_cndmask_b32_e64 v15, v3, v12, s[0:1]
	s_cselect_b64 s[0:1], -1, 0
	v_cndmask_b32_e64 v3, v3, v15, s[0:1]
	v_cndmask_b32_e64 v2, v2, v14, s[0:1]
	v_add_co_u32_e64 v4, s[0:1], 4, v4
	v_addc_co_u32_e64 v5, s[0:1], 0, v5, s[0:1]
	v_add_co_u32_e64 v6, s[0:1], 4, v6
	v_addc_co_u32_e64 v7, s[0:1], 0, v7, s[0:1]
	v_add_co_u32_e64 v8, s[0:1], 4, v8
	v_add_u32_e32 v13, s16, v13
	s_cmp_eq_u32 s8, s11
	v_addc_co_u32_e64 v9, s[0:1], 0, v9, s[0:1]
	s_cbranch_scc0 .LBB211_8
; %bb.9:
	s_and_b64 vcc, exec, vcc
	s_cbranch_vccnz .LBB211_11
	s_branch .LBB211_19
.LBB211_10:
	v_mov_b32_e32 v11, 0
	s_and_b64 vcc, exec, vcc
	s_cbranch_vccz .LBB211_19
.LBB211_11:
	s_andn2_b64 vcc, exec, s[14:15]
	s_cbranch_vccnz .LBB211_19
; %bb.12:
	v_cmp_lt_f32_e32 vcc, 0, v11
	s_mov_b32 s2, 0
	v_cndmask_b32_e32 v0, 1.0, v11, vcc
	v_mul_lo_u32 v4, v10, s8
	s_cmp_eq_u32 s8, 1
	s_mov_b64 s[0:1], -1
	s_cbranch_scc1 .LBB211_16
; %bb.13:
	s_and_b32 s2, s8, 0x7ffffffe
	v_mov_b32_e32 v1, v0
	v_mov_b32_e32 v5, s7
	s_mov_b32 s3, s2
	v_mov_b32_e32 v2, v4
.LBB211_14:                             ; =>This Inner Loop Header: Depth=1
	v_ashrrev_i32_e32 v3, 31, v2
	v_lshlrev_b64 v[6:7], 2, v[2:3]
	v_add_co_u32_e32 v6, vcc, s6, v6
	v_addc_co_u32_e32 v7, vcc, v5, v7, vcc
	global_load_dwordx2 v[8:9], v[6:7], off
	s_add_i32 s3, s3, -2
	s_cmp_lg_u32 s3, 0
	v_add_u32_e32 v2, 2, v2
	s_waitcnt vmcnt(0)
	v_div_scale_f32 v3, s[0:1], v1, v1, v9
	v_div_scale_f32 v11, s[0:1], v0, v0, v8
	v_rcp_f32_e32 v12, v3
	v_rcp_f32_e32 v13, v11
	v_div_scale_f32 v10, vcc, v9, v1, v9
	v_fma_f32 v15, -v3, v12, 1.0
	v_fma_f32 v16, -v11, v13, 1.0
	v_fmac_f32_e32 v12, v15, v12
	v_div_scale_f32 v14, s[0:1], v8, v0, v8
	v_fmac_f32_e32 v13, v16, v13
	v_mul_f32_e32 v15, v10, v12
	v_mul_f32_e32 v16, v14, v13
	v_fma_f32 v17, -v3, v15, v10
	v_fma_f32 v18, -v11, v16, v14
	v_fmac_f32_e32 v15, v17, v12
	v_fmac_f32_e32 v16, v18, v13
	v_fma_f32 v3, -v3, v15, v10
	v_fma_f32 v10, -v11, v16, v14
	v_div_fmas_f32 v3, v3, v12, v15
	s_mov_b64 vcc, s[0:1]
	v_div_fixup_f32 v9, v3, v1, v9
	v_div_fmas_f32 v3, v10, v13, v16
	v_div_fixup_f32 v8, v3, v0, v8
	global_store_dwordx2 v[6:7], v[8:9], off
	s_cbranch_scc1 .LBB211_14
; %bb.15:
	s_cmp_lg_u32 s2, s8
	s_cselect_b64 s[0:1], -1, 0
.LBB211_16:
	s_and_b64 vcc, exec, s[0:1]
	s_cbranch_vccz .LBB211_19
; %bb.17:
	v_ashrrev_i32_e32 v1, 31, v4
	v_add_co_u32_e32 v2, vcc, s2, v4
	v_addc_co_u32_e32 v3, vcc, 0, v1, vcc
	v_lshlrev_b64 v[2:3], 2, v[2:3]
	v_mov_b32_e32 v1, s7
	v_add_co_u32_e32 v2, vcc, s6, v2
	s_sub_i32 s0, s8, s2
	v_addc_co_u32_e32 v3, vcc, v1, v3, vcc
.LBB211_18:                             ; =>This Inner Loop Header: Depth=1
	global_load_dword v1, v[2:3], off
	s_add_i32 s0, s0, -1
	s_cmp_lg_u32 s0, 0
	s_waitcnt vmcnt(0)
	v_div_scale_f32 v4, s[2:3], v0, v0, v1
	v_rcp_f32_e32 v5, v4
	v_div_scale_f32 v6, vcc, v1, v0, v1
	v_fma_f32 v7, -v4, v5, 1.0
	v_fmac_f32_e32 v5, v7, v5
	v_mul_f32_e32 v7, v6, v5
	v_fma_f32 v8, -v4, v7, v6
	v_fmac_f32_e32 v7, v8, v5
	v_fma_f32 v4, -v4, v7, v6
	v_div_fmas_f32 v4, v4, v5, v7
	v_div_fixup_f32 v1, v4, v0, v1
	global_store_dword v[2:3], v1, off
	v_add_co_u32_e32 v2, vcc, 4, v2
	v_addc_co_u32_e32 v3, vcc, 0, v3, vcc
	s_cbranch_scc1 .LBB211_18
.LBB211_19:
	s_endpgm
	.section	.rodata,"a",@progbits
	.p2align	6, 0x0
	.amdhsa_kernel _ZN4vllm3moe10topkGatingILi2ELi2ELi4ELi8ELi64EjfLNS0_11ScoringFuncE1EEEvPKT5_PKbPfiPT4_PiiiibPKf
		.amdhsa_group_segment_fixed_size 0
		.amdhsa_private_segment_fixed_size 0
		.amdhsa_kernarg_size 72
		.amdhsa_user_sgpr_count 6
		.amdhsa_user_sgpr_private_segment_buffer 1
		.amdhsa_user_sgpr_dispatch_ptr 0
		.amdhsa_user_sgpr_queue_ptr 0
		.amdhsa_user_sgpr_kernarg_segment_ptr 1
		.amdhsa_user_sgpr_dispatch_id 0
		.amdhsa_user_sgpr_flat_scratch_init 0
		.amdhsa_user_sgpr_kernarg_preload_length 0
		.amdhsa_user_sgpr_kernarg_preload_offset 0
		.amdhsa_user_sgpr_private_segment_size 0
		.amdhsa_uses_dynamic_stack 0
		.amdhsa_system_sgpr_private_segment_wavefront_offset 0
		.amdhsa_system_sgpr_workgroup_id_x 1
		.amdhsa_system_sgpr_workgroup_id_y 0
		.amdhsa_system_sgpr_workgroup_id_z 0
		.amdhsa_system_sgpr_workgroup_info 0
		.amdhsa_system_vgpr_workitem_id 1
		.amdhsa_next_free_vgpr 19
		.amdhsa_next_free_sgpr 24
		.amdhsa_accum_offset 20
		.amdhsa_reserve_vcc 1
		.amdhsa_reserve_flat_scratch 0
		.amdhsa_float_round_mode_32 0
		.amdhsa_float_round_mode_16_64 0
		.amdhsa_float_denorm_mode_32 3
		.amdhsa_float_denorm_mode_16_64 3
		.amdhsa_dx10_clamp 1
		.amdhsa_ieee_mode 1
		.amdhsa_fp16_overflow 0
		.amdhsa_tg_split 0
		.amdhsa_exception_fp_ieee_invalid_op 0
		.amdhsa_exception_fp_denorm_src 0
		.amdhsa_exception_fp_ieee_div_zero 0
		.amdhsa_exception_fp_ieee_overflow 0
		.amdhsa_exception_fp_ieee_underflow 0
		.amdhsa_exception_fp_ieee_inexact 0
		.amdhsa_exception_int_div_zero 0
	.end_amdhsa_kernel
	.section	.text._ZN4vllm3moe10topkGatingILi2ELi2ELi4ELi8ELi64EjfLNS0_11ScoringFuncE1EEEvPKT5_PKbPfiPT4_PiiiibPKf,"axG",@progbits,_ZN4vllm3moe10topkGatingILi2ELi2ELi4ELi8ELi64EjfLNS0_11ScoringFuncE1EEEvPKT5_PKbPfiPT4_PiiiibPKf,comdat
.Lfunc_end211:
	.size	_ZN4vllm3moe10topkGatingILi2ELi2ELi4ELi8ELi64EjfLNS0_11ScoringFuncE1EEEvPKT5_PKbPfiPT4_PiiiibPKf, .Lfunc_end211-_ZN4vllm3moe10topkGatingILi2ELi2ELi4ELi8ELi64EjfLNS0_11ScoringFuncE1EEEvPKT5_PKbPfiPT4_PiiiibPKf
                                        ; -- End function
	.section	.AMDGPU.csdata,"",@progbits
; Kernel info:
; codeLenInByte = 1236
; NumSgprs: 28
; NumVgprs: 19
; NumAgprs: 0
; TotalNumVgprs: 19
; ScratchSize: 0
; MemoryBound: 1
; FloatMode: 240
; IeeeMode: 1
; LDSByteSize: 0 bytes/workgroup (compile time only)
; SGPRBlocks: 3
; VGPRBlocks: 2
; NumSGPRsForWavesPerEU: 28
; NumVGPRsForWavesPerEU: 19
; AccumOffset: 20
; Occupancy: 8
; WaveLimiterHint : 0
; COMPUTE_PGM_RSRC2:SCRATCH_EN: 0
; COMPUTE_PGM_RSRC2:USER_SGPR: 6
; COMPUTE_PGM_RSRC2:TRAP_HANDLER: 0
; COMPUTE_PGM_RSRC2:TGID_X_EN: 1
; COMPUTE_PGM_RSRC2:TGID_Y_EN: 0
; COMPUTE_PGM_RSRC2:TGID_Z_EN: 0
; COMPUTE_PGM_RSRC2:TIDIG_COMP_CNT: 1
; COMPUTE_PGM_RSRC3_GFX90A:ACCUM_OFFSET: 4
; COMPUTE_PGM_RSRC3_GFX90A:TG_SPLIT: 0
	.section	.text._ZN4vllm3moe10topkGatingILi2ELi2ELi4ELi8ELi32EjfLNS0_11ScoringFuncE1EEEvPKT5_PKbPfiPT4_PiiiibPKf,"axG",@progbits,_ZN4vllm3moe10topkGatingILi2ELi2ELi4ELi8ELi32EjfLNS0_11ScoringFuncE1EEEvPKT5_PKbPfiPT4_PiiiibPKf,comdat
	.protected	_ZN4vllm3moe10topkGatingILi2ELi2ELi4ELi8ELi32EjfLNS0_11ScoringFuncE1EEEvPKT5_PKbPfiPT4_PiiiibPKf ; -- Begin function _ZN4vllm3moe10topkGatingILi2ELi2ELi4ELi8ELi32EjfLNS0_11ScoringFuncE1EEEvPKT5_PKbPfiPT4_PiiiibPKf
	.globl	_ZN4vllm3moe10topkGatingILi2ELi2ELi4ELi8ELi32EjfLNS0_11ScoringFuncE1EEEvPKT5_PKbPfiPT4_PiiiibPKf
	.p2align	8
	.type	_ZN4vllm3moe10topkGatingILi2ELi2ELi4ELi8ELi32EjfLNS0_11ScoringFuncE1EEEvPKT5_PKbPfiPT4_PiiiibPKf,@function
_ZN4vllm3moe10topkGatingILi2ELi2ELi4ELi8ELi32EjfLNS0_11ScoringFuncE1EEEvPKT5_PKbPfiPT4_PiiiibPKf: ; @_ZN4vllm3moe10topkGatingILi2ELi2ELi4ELi8ELi32EjfLNS0_11ScoringFuncE1EEEvPKT5_PKbPfiPT4_PiiiibPKf
; %bb.0:
	s_load_dword s16, s[4:5], 0x18
	v_bfe_u32 v1, v0, 10, 10
	s_lshl_b32 s0, s6, 7
	v_lshlrev_b32_e32 v1, 5, v1
	v_and_b32_e32 v0, 0x3ff, v0
	v_add3_u32 v10, v1, v0, s0
	s_waitcnt lgkmcnt(0)
	v_cmp_gt_i32_e32 vcc, s16, v10
	s_and_saveexec_b64 s[0:1], vcc
	s_cbranch_execz .LBB212_19
; %bb.1:
	s_load_dwordx4 s[0:3], s[4:5], 0x0
	s_load_dwordx2 s[6:7], s[4:5], 0x10
	s_waitcnt lgkmcnt(0)
	s_cmp_eq_u64 s[2:3], 0
	s_cbranch_scc1 .LBB212_3
; %bb.2:
	v_ashrrev_i32_e32 v1, 31, v10
	v_mov_b32_e32 v2, s3
	v_add_co_u32_e32 v0, vcc, s2, v10
	v_addc_co_u32_e32 v1, vcc, v2, v1, vcc
	global_load_ubyte v0, v[0:1], off
	s_waitcnt vmcnt(0)
	v_and_b32_e32 v0, 1, v0
	v_cmp_eq_u32_e32 vcc, 1, v0
	s_xor_b64 s[2:3], vcc, -1
	s_orn2_b64 s[12:13], s[2:3], exec
	s_branch .LBB212_4
.LBB212_3:
	s_mov_b64 s[12:13], -1
.LBB212_4:
	v_lshlrev_b32_e32 v0, 1, v10
	v_ashrrev_i32_e32 v1, 31, v0
	v_lshlrev_b64 v[0:1], 2, v[0:1]
	v_mov_b32_e32 v2, s1
	v_add_co_u32_e32 v0, vcc, s0, v0
	v_addc_co_u32_e32 v1, vcc, v2, v1, vcc
	global_load_dwordx2 v[0:1], v[0:1], off
	s_load_dwordx2 s[2:3], s[4:5], 0x40
	s_movk_i32 s8, 0x1f8
	s_waitcnt lgkmcnt(0)
	s_cmp_eq_u64 s[2:3], 0
	s_waitcnt vmcnt(0)
	v_mul_f32_e32 v0, 0xbfb8aa3b, v0
	v_mul_f32_e32 v1, 0xbfb8aa3b, v1
	v_exp_f32_e32 v0, v0
	v_exp_f32_e32 v1, v1
	v_pk_add_f32 v[0:1], v[0:1], 1.0 op_sel_hi:[1,0]
	v_div_scale_f32 v2, s[0:1], v1, v1, 1.0
	v_div_scale_f32 v4, s[0:1], v0, v0, 1.0
	v_rcp_f32_e32 v5, v2
	v_rcp_f32_e32 v6, v4
	v_div_scale_f32 v3, vcc, 1.0, v1, 1.0
	v_fma_f32 v8, -v2, v5, 1.0
	v_fma_f32 v9, -v4, v6, 1.0
	v_fmac_f32_e32 v5, v8, v5
	v_div_scale_f32 v7, s[0:1], 1.0, v0, 1.0
	v_fmac_f32_e32 v6, v9, v6
	v_mul_f32_e32 v8, v3, v5
	v_mul_f32_e32 v9, v7, v6
	v_fma_f32 v11, -v2, v8, v3
	v_fma_f32 v12, -v4, v9, v7
	v_fmac_f32_e32 v8, v11, v5
	v_fmac_f32_e32 v9, v12, v6
	v_fma_f32 v2, -v2, v8, v3
	v_fma_f32 v3, -v4, v9, v7
	v_div_fmas_f32 v2, v2, v5, v8
	s_mov_b64 vcc, s[0:1]
	v_div_fixup_f32 v1, v2, v1, 1.0
	v_div_fmas_f32 v2, v3, v6, v9
	v_div_fixup_f32 v0, v2, v0, 1.0
	v_cmp_class_f32_e64 vcc, v1, s8
	v_cndmask_b32_e32 v1, 0, v1, vcc
	v_cmp_class_f32_e64 vcc, v0, s8
	v_cndmask_b32_e32 v0, 0, v0, vcc
	v_pk_mov_b32 v[2:3], v[0:1], v[0:1] op_sel:[0,1]
	s_cbranch_scc1 .LBB212_6
; %bb.5:
	s_load_dwordx2 s[0:1], s[2:3], 0x0
	s_waitcnt lgkmcnt(0)
	v_pk_add_f32 v[2:3], v[0:1], s[0:1]
.LBB212_6:
	s_load_dwordx4 s[8:11], s[4:5], 0x30
	s_waitcnt lgkmcnt(0)
	s_bitcmp1_b32 s11, 0
	s_cselect_b64 vcc, -1, 0
	s_cmp_gt_i32 s8, 0
	s_cselect_b64 s[14:15], -1, 0
	s_cmp_lt_i32 s8, 1
	s_cbranch_scc1 .LBB212_10
; %bb.7:
	s_load_dwordx4 s[20:23], s[4:5], 0x20
	v_mul_lo_u32 v4, v10, s8
	v_ashrrev_i32_e32 v5, 31, v4
	v_lshlrev_b64 v[8:9], 2, v[4:5]
	v_mov_b32_e32 v5, s7
	v_add_co_u32_e64 v4, s[0:1], s6, v8
	v_addc_co_u32_e64 v5, s[0:1], v5, v9, s[0:1]
	s_waitcnt lgkmcnt(0)
	v_mov_b32_e32 v7, s21
	v_add_co_u32_e64 v6, s[0:1], s20, v8
	v_addc_co_u32_e64 v7, s[0:1], v7, v9, s[0:1]
	v_mov_b32_e32 v11, s23
	v_add_co_u32_e64 v8, s[0:1], s22, v8
	v_addc_co_u32_e64 v9, s[0:1], v11, v9, s[0:1]
	s_mov_b32 s11, 0
	v_mov_b32_e32 v11, 0
	v_mov_b32_e32 v12, 0xc61c4000
	;; [unrolled: 1-line block ×3, first 2 shown]
.LBB212_8:                              ; =>This Inner Loop Header: Depth=1
	v_cmp_gt_f32_e64 s[0:1], v3, v2
	v_cndmask_b32_e64 v14, 0, 1, s[0:1]
	v_cmp_le_i32_e64 s[2:3], s9, v14
	v_cmp_gt_i32_e64 s[4:5], s10, v14
	s_and_b64 s[2:3], s[2:3], s[4:5]
	v_subrev_u32_e32 v14, s9, v14
	s_and_b64 s[2:3], s[12:13], s[2:3]
	v_cndmask_b32_e64 v15, v0, v1, s[0:1]
	v_cndmask_b32_e64 v14, 2, v14, s[2:3]
	s_add_i32 s11, s11, 1
	global_store_dword v[4:5], v15, off
	global_store_dword v[6:7], v14, off
	;; [unrolled: 1-line block ×3, first 2 shown]
	v_add_f32_e32 v14, v11, v15
	s_cmp_lt_i32 s11, s8
	v_cndmask_b32_e32 v11, v11, v14, vcc
	v_cndmask_b32_e64 v14, v12, v2, s[0:1]
	v_cndmask_b32_e64 v15, v3, v12, s[0:1]
	s_cselect_b64 s[0:1], -1, 0
	v_cndmask_b32_e64 v3, v3, v15, s[0:1]
	v_cndmask_b32_e64 v2, v2, v14, s[0:1]
	v_add_co_u32_e64 v4, s[0:1], 4, v4
	v_addc_co_u32_e64 v5, s[0:1], 0, v5, s[0:1]
	v_add_co_u32_e64 v6, s[0:1], 4, v6
	v_addc_co_u32_e64 v7, s[0:1], 0, v7, s[0:1]
	v_add_co_u32_e64 v8, s[0:1], 4, v8
	v_add_u32_e32 v13, s16, v13
	s_cmp_eq_u32 s8, s11
	v_addc_co_u32_e64 v9, s[0:1], 0, v9, s[0:1]
	s_cbranch_scc0 .LBB212_8
; %bb.9:
	s_and_b64 vcc, exec, vcc
	s_cbranch_vccnz .LBB212_11
	s_branch .LBB212_19
.LBB212_10:
	v_mov_b32_e32 v11, 0
	s_and_b64 vcc, exec, vcc
	s_cbranch_vccz .LBB212_19
.LBB212_11:
	s_andn2_b64 vcc, exec, s[14:15]
	s_cbranch_vccnz .LBB212_19
; %bb.12:
	v_cmp_lt_f32_e32 vcc, 0, v11
	s_mov_b32 s2, 0
	v_cndmask_b32_e32 v0, 1.0, v11, vcc
	v_mul_lo_u32 v4, v10, s8
	s_cmp_eq_u32 s8, 1
	s_mov_b64 s[0:1], -1
	s_cbranch_scc1 .LBB212_16
; %bb.13:
	s_and_b32 s2, s8, 0x7ffffffe
	v_mov_b32_e32 v1, v0
	v_mov_b32_e32 v5, s7
	s_mov_b32 s3, s2
	v_mov_b32_e32 v2, v4
.LBB212_14:                             ; =>This Inner Loop Header: Depth=1
	v_ashrrev_i32_e32 v3, 31, v2
	v_lshlrev_b64 v[6:7], 2, v[2:3]
	v_add_co_u32_e32 v6, vcc, s6, v6
	v_addc_co_u32_e32 v7, vcc, v5, v7, vcc
	global_load_dwordx2 v[8:9], v[6:7], off
	s_add_i32 s3, s3, -2
	s_cmp_lg_u32 s3, 0
	v_add_u32_e32 v2, 2, v2
	s_waitcnt vmcnt(0)
	v_div_scale_f32 v3, s[0:1], v1, v1, v9
	v_div_scale_f32 v11, s[0:1], v0, v0, v8
	v_rcp_f32_e32 v12, v3
	v_rcp_f32_e32 v13, v11
	v_div_scale_f32 v10, vcc, v9, v1, v9
	v_fma_f32 v15, -v3, v12, 1.0
	v_fma_f32 v16, -v11, v13, 1.0
	v_fmac_f32_e32 v12, v15, v12
	v_div_scale_f32 v14, s[0:1], v8, v0, v8
	v_fmac_f32_e32 v13, v16, v13
	v_mul_f32_e32 v15, v10, v12
	v_mul_f32_e32 v16, v14, v13
	v_fma_f32 v17, -v3, v15, v10
	v_fma_f32 v18, -v11, v16, v14
	v_fmac_f32_e32 v15, v17, v12
	v_fmac_f32_e32 v16, v18, v13
	v_fma_f32 v3, -v3, v15, v10
	v_fma_f32 v10, -v11, v16, v14
	v_div_fmas_f32 v3, v3, v12, v15
	s_mov_b64 vcc, s[0:1]
	v_div_fixup_f32 v9, v3, v1, v9
	v_div_fmas_f32 v3, v10, v13, v16
	v_div_fixup_f32 v8, v3, v0, v8
	global_store_dwordx2 v[6:7], v[8:9], off
	s_cbranch_scc1 .LBB212_14
; %bb.15:
	s_cmp_lg_u32 s2, s8
	s_cselect_b64 s[0:1], -1, 0
.LBB212_16:
	s_and_b64 vcc, exec, s[0:1]
	s_cbranch_vccz .LBB212_19
; %bb.17:
	v_ashrrev_i32_e32 v1, 31, v4
	v_add_co_u32_e32 v2, vcc, s2, v4
	v_addc_co_u32_e32 v3, vcc, 0, v1, vcc
	v_lshlrev_b64 v[2:3], 2, v[2:3]
	v_mov_b32_e32 v1, s7
	v_add_co_u32_e32 v2, vcc, s6, v2
	s_sub_i32 s0, s8, s2
	v_addc_co_u32_e32 v3, vcc, v1, v3, vcc
.LBB212_18:                             ; =>This Inner Loop Header: Depth=1
	global_load_dword v1, v[2:3], off
	s_add_i32 s0, s0, -1
	s_cmp_lg_u32 s0, 0
	s_waitcnt vmcnt(0)
	v_div_scale_f32 v4, s[2:3], v0, v0, v1
	v_rcp_f32_e32 v5, v4
	v_div_scale_f32 v6, vcc, v1, v0, v1
	v_fma_f32 v7, -v4, v5, 1.0
	v_fmac_f32_e32 v5, v7, v5
	v_mul_f32_e32 v7, v6, v5
	v_fma_f32 v8, -v4, v7, v6
	v_fmac_f32_e32 v7, v8, v5
	v_fma_f32 v4, -v4, v7, v6
	v_div_fmas_f32 v4, v4, v5, v7
	v_div_fixup_f32 v1, v4, v0, v1
	global_store_dword v[2:3], v1, off
	v_add_co_u32_e32 v2, vcc, 4, v2
	v_addc_co_u32_e32 v3, vcc, 0, v3, vcc
	s_cbranch_scc1 .LBB212_18
.LBB212_19:
	s_endpgm
	.section	.rodata,"a",@progbits
	.p2align	6, 0x0
	.amdhsa_kernel _ZN4vllm3moe10topkGatingILi2ELi2ELi4ELi8ELi32EjfLNS0_11ScoringFuncE1EEEvPKT5_PKbPfiPT4_PiiiibPKf
		.amdhsa_group_segment_fixed_size 0
		.amdhsa_private_segment_fixed_size 0
		.amdhsa_kernarg_size 72
		.amdhsa_user_sgpr_count 6
		.amdhsa_user_sgpr_private_segment_buffer 1
		.amdhsa_user_sgpr_dispatch_ptr 0
		.amdhsa_user_sgpr_queue_ptr 0
		.amdhsa_user_sgpr_kernarg_segment_ptr 1
		.amdhsa_user_sgpr_dispatch_id 0
		.amdhsa_user_sgpr_flat_scratch_init 0
		.amdhsa_user_sgpr_kernarg_preload_length 0
		.amdhsa_user_sgpr_kernarg_preload_offset 0
		.amdhsa_user_sgpr_private_segment_size 0
		.amdhsa_uses_dynamic_stack 0
		.amdhsa_system_sgpr_private_segment_wavefront_offset 0
		.amdhsa_system_sgpr_workgroup_id_x 1
		.amdhsa_system_sgpr_workgroup_id_y 0
		.amdhsa_system_sgpr_workgroup_id_z 0
		.amdhsa_system_sgpr_workgroup_info 0
		.amdhsa_system_vgpr_workitem_id 1
		.amdhsa_next_free_vgpr 19
		.amdhsa_next_free_sgpr 24
		.amdhsa_accum_offset 20
		.amdhsa_reserve_vcc 1
		.amdhsa_reserve_flat_scratch 0
		.amdhsa_float_round_mode_32 0
		.amdhsa_float_round_mode_16_64 0
		.amdhsa_float_denorm_mode_32 3
		.amdhsa_float_denorm_mode_16_64 3
		.amdhsa_dx10_clamp 1
		.amdhsa_ieee_mode 1
		.amdhsa_fp16_overflow 0
		.amdhsa_tg_split 0
		.amdhsa_exception_fp_ieee_invalid_op 0
		.amdhsa_exception_fp_denorm_src 0
		.amdhsa_exception_fp_ieee_div_zero 0
		.amdhsa_exception_fp_ieee_overflow 0
		.amdhsa_exception_fp_ieee_underflow 0
		.amdhsa_exception_fp_ieee_inexact 0
		.amdhsa_exception_int_div_zero 0
	.end_amdhsa_kernel
	.section	.text._ZN4vllm3moe10topkGatingILi2ELi2ELi4ELi8ELi32EjfLNS0_11ScoringFuncE1EEEvPKT5_PKbPfiPT4_PiiiibPKf,"axG",@progbits,_ZN4vllm3moe10topkGatingILi2ELi2ELi4ELi8ELi32EjfLNS0_11ScoringFuncE1EEEvPKT5_PKbPfiPT4_PiiiibPKf,comdat
.Lfunc_end212:
	.size	_ZN4vllm3moe10topkGatingILi2ELi2ELi4ELi8ELi32EjfLNS0_11ScoringFuncE1EEEvPKT5_PKbPfiPT4_PiiiibPKf, .Lfunc_end212-_ZN4vllm3moe10topkGatingILi2ELi2ELi4ELi8ELi32EjfLNS0_11ScoringFuncE1EEEvPKT5_PKbPfiPT4_PiiiibPKf
                                        ; -- End function
	.section	.AMDGPU.csdata,"",@progbits
; Kernel info:
; codeLenInByte = 1236
; NumSgprs: 28
; NumVgprs: 19
; NumAgprs: 0
; TotalNumVgprs: 19
; ScratchSize: 0
; MemoryBound: 1
; FloatMode: 240
; IeeeMode: 1
; LDSByteSize: 0 bytes/workgroup (compile time only)
; SGPRBlocks: 3
; VGPRBlocks: 2
; NumSGPRsForWavesPerEU: 28
; NumVGPRsForWavesPerEU: 19
; AccumOffset: 20
; Occupancy: 8
; WaveLimiterHint : 0
; COMPUTE_PGM_RSRC2:SCRATCH_EN: 0
; COMPUTE_PGM_RSRC2:USER_SGPR: 6
; COMPUTE_PGM_RSRC2:TRAP_HANDLER: 0
; COMPUTE_PGM_RSRC2:TGID_X_EN: 1
; COMPUTE_PGM_RSRC2:TGID_Y_EN: 0
; COMPUTE_PGM_RSRC2:TGID_Z_EN: 0
; COMPUTE_PGM_RSRC2:TIDIG_COMP_CNT: 1
; COMPUTE_PGM_RSRC3_GFX90A:ACCUM_OFFSET: 4
; COMPUTE_PGM_RSRC3_GFX90A:TG_SPLIT: 0
	.section	.text._ZN4vllm3moe10topkGatingILi4ELi4ELi4ELi16ELi64EjfLNS0_11ScoringFuncE1EEEvPKT5_PKbPfiPT4_PiiiibPKf,"axG",@progbits,_ZN4vllm3moe10topkGatingILi4ELi4ELi4ELi16ELi64EjfLNS0_11ScoringFuncE1EEEvPKT5_PKbPfiPT4_PiiiibPKf,comdat
	.protected	_ZN4vllm3moe10topkGatingILi4ELi4ELi4ELi16ELi64EjfLNS0_11ScoringFuncE1EEEvPKT5_PKbPfiPT4_PiiiibPKf ; -- Begin function _ZN4vllm3moe10topkGatingILi4ELi4ELi4ELi16ELi64EjfLNS0_11ScoringFuncE1EEEvPKT5_PKbPfiPT4_PiiiibPKf
	.globl	_ZN4vllm3moe10topkGatingILi4ELi4ELi4ELi16ELi64EjfLNS0_11ScoringFuncE1EEEvPKT5_PKbPfiPT4_PiiiibPKf
	.p2align	8
	.type	_ZN4vllm3moe10topkGatingILi4ELi4ELi4ELi16ELi64EjfLNS0_11ScoringFuncE1EEEvPKT5_PKbPfiPT4_PiiiibPKf,@function
_ZN4vllm3moe10topkGatingILi4ELi4ELi4ELi16ELi64EjfLNS0_11ScoringFuncE1EEEvPKT5_PKbPfiPT4_PiiiibPKf: ; @_ZN4vllm3moe10topkGatingILi4ELi4ELi4ELi16ELi64EjfLNS0_11ScoringFuncE1EEEvPKT5_PKbPfiPT4_PiiiibPKf
; %bb.0:
	s_load_dword s16, s[4:5], 0x18
	v_bfe_u32 v1, v0, 10, 10
	s_lshl_b32 s0, s6, 8
	v_lshlrev_b32_e32 v1, 6, v1
	v_and_b32_e32 v0, 0x3ff, v0
	v_add3_u32 v14, v1, v0, s0
	s_waitcnt lgkmcnt(0)
	v_cmp_gt_i32_e32 vcc, s16, v14
	s_and_saveexec_b64 s[0:1], vcc
	s_cbranch_execz .LBB213_20
; %bb.1:
	s_load_dwordx4 s[0:3], s[4:5], 0x0
	s_load_dwordx2 s[12:13], s[4:5], 0x10
	s_mov_b64 s[8:9], -1
	s_mov_b64 s[14:15], -1
	s_waitcnt lgkmcnt(0)
	s_cmp_eq_u64 s[2:3], 0
	s_cbranch_scc1 .LBB213_3
; %bb.2:
	v_ashrrev_i32_e32 v1, 31, v14
	v_mov_b32_e32 v2, s3
	v_add_co_u32_e32 v0, vcc, s2, v14
	v_addc_co_u32_e32 v1, vcc, v2, v1, vcc
	global_load_ubyte v0, v[0:1], off
	s_waitcnt vmcnt(0)
	v_and_b32_e32 v0, 1, v0
	v_cmp_eq_u32_e32 vcc, 1, v0
	s_xor_b64 s[2:3], vcc, -1
	s_orn2_b64 s[14:15], s[2:3], exec
.LBB213_3:
	v_lshlrev_b32_e32 v0, 2, v14
	v_ashrrev_i32_e32 v1, 31, v0
	v_lshlrev_b64 v[0:1], 2, v[0:1]
	v_mov_b32_e32 v2, s1
	v_add_co_u32_e32 v0, vcc, s0, v0
	v_addc_co_u32_e32 v1, vcc, v2, v1, vcc
	global_load_dwordx4 v[0:3], v[0:1], off
	v_mov_b32_e32 v4, 0x207
	s_load_dwordx2 s[10:11], s[4:5], 0x40
	s_waitcnt lgkmcnt(0)
	s_cmp_eq_u64 s[10:11], 0
	s_waitcnt vmcnt(0)
	v_mul_f32_e32 v0, 0xbfb8aa3b, v0
	v_mul_f32_e32 v1, 0xbfb8aa3b, v1
	v_exp_f32_e32 v0, v0
	v_exp_f32_e32 v1, v1
	v_mul_f32_e32 v2, 0xbfb8aa3b, v2
	v_mul_f32_e32 v3, 0xbfb8aa3b, v3
	v_exp_f32_e32 v2, v2
	v_exp_f32_e32 v3, v3
	v_pk_add_f32 v[0:1], v[0:1], 1.0 op_sel_hi:[1,0]
	v_div_scale_f32 v5, s[0:1], v1, v1, 1.0
	v_rcp_f32_e32 v13, v5
	v_div_scale_f32 v7, s[0:1], v0, v0, 1.0
	v_pk_add_f32 v[2:3], v[2:3], 1.0 op_sel_hi:[1,0]
	v_rcp_f32_e32 v15, v7
	v_div_scale_f32 v9, s[2:3], v3, v3, 1.0
	v_rcp_f32_e32 v16, v9
	v_fma_f32 v18, -v5, v13, 1.0
	v_div_scale_f32 v6, vcc, 1.0, v1, 1.0
	v_div_scale_f32 v11, s[6:7], v2, v2, 1.0
	v_fmac_f32_e32 v13, v18, v13
	v_rcp_f32_e32 v17, v11
	v_fma_f32 v19, -v7, v15, 1.0
	v_mul_f32_e32 v18, v6, v13
	v_div_scale_f32 v8, s[0:1], 1.0, v0, 1.0
	v_fmac_f32_e32 v15, v19, v15
	v_fma_f32 v22, -v5, v18, v6
	v_fma_f32 v20, -v9, v16, 1.0
	v_mul_f32_e32 v19, v8, v15
	v_fmac_f32_e32 v18, v22, v13
	v_div_scale_f32 v10, s[2:3], 1.0, v3, 1.0
	v_fmac_f32_e32 v16, v20, v16
	v_fma_f32 v23, -v7, v19, v8
	v_fma_f32 v5, -v5, v18, v6
	v_fma_f32 v21, -v11, v17, 1.0
	v_mul_f32_e32 v20, v10, v16
	v_fmac_f32_e32 v19, v23, v15
	v_div_fmas_f32 v5, v5, v13, v18
	v_div_scale_f32 v12, s[6:7], 1.0, v2, 1.0
	v_fmac_f32_e32 v17, v21, v17
	v_fma_f32 v24, -v9, v20, v10
	v_fma_f32 v6, -v7, v19, v8
	v_div_fixup_f32 v1, v5, v1, 1.0
	s_mov_b64 vcc, s[0:1]
	v_mul_f32_e32 v21, v12, v17
	v_fmac_f32_e32 v20, v24, v16
	v_div_fmas_f32 v5, v6, v15, v19
	v_cmp_class_f32_e32 vcc, v1, v4
	v_fma_f32 v25, -v11, v21, v12
	v_fma_f32 v7, -v9, v20, v10
	v_div_fixup_f32 v0, v5, v0, 1.0
	v_cndmask_b32_e64 v1, v1, 0, vcc
	s_mov_b64 vcc, s[2:3]
	v_fmac_f32_e32 v21, v25, v17
	v_div_fmas_f32 v5, v7, v16, v20
	v_cmp_class_f32_e32 vcc, v0, v4
	v_fma_f32 v8, -v11, v21, v12
	v_cndmask_b32_e64 v0, v0, 0, vcc
	s_mov_b64 vcc, s[6:7]
	v_div_fixup_f32 v3, v5, v3, 1.0
	v_div_fmas_f32 v5, v8, v17, v21
	v_div_fixup_f32 v2, v5, v2, 1.0
	v_cmp_class_f32_e32 vcc, v3, v4
	v_cndmask_b32_e64 v3, v3, 0, vcc
	v_cmp_class_f32_e32 vcc, v2, v4
	v_cndmask_b32_e64 v2, v2, 0, vcc
	s_cbranch_scc1 .LBB213_10
; %bb.4:
	s_load_dwordx4 s[0:3], s[10:11], 0x0
	s_waitcnt lgkmcnt(0)
	v_pk_add_f32 v[4:5], s[0:1], v[0:1]
	v_pk_add_f32 v[6:7], s[2:3], v[2:3]
	s_cbranch_execnz .LBB213_6
.LBB213_5:
	v_pk_mov_b32 v[6:7], v[2:3], v[2:3] op_sel:[0,1]
	v_pk_mov_b32 v[4:5], v[0:1], v[0:1] op_sel:[0,1]
.LBB213_6:
	s_load_dwordx4 s[8:11], s[4:5], 0x30
	s_waitcnt lgkmcnt(0)
	s_bitcmp1_b32 s11, 0
	s_cselect_b64 vcc, -1, 0
	s_cmp_gt_i32 s8, 0
	s_cselect_b64 s[6:7], -1, 0
	s_cmp_lt_i32 s8, 1
	s_mov_b32 s11, 0
	s_cbranch_scc1 .LBB213_11
; %bb.7:
	s_load_dwordx4 s[20:23], s[4:5], 0x20
	v_mul_lo_u32 v8, v14, s8
	v_ashrrev_i32_e32 v9, 31, v8
	v_lshlrev_b64 v[12:13], 2, v[8:9]
	v_mov_b32_e32 v9, s13
	v_add_co_u32_e64 v8, s[0:1], s12, v12
	v_addc_co_u32_e64 v9, s[0:1], v9, v13, s[0:1]
	s_waitcnt lgkmcnt(0)
	v_mov_b32_e32 v11, s21
	v_add_co_u32_e64 v10, s[0:1], s20, v12
	v_addc_co_u32_e64 v11, s[0:1], v11, v13, s[0:1]
	v_mov_b32_e32 v15, s23
	v_add_co_u32_e64 v12, s[0:1], s22, v12
	v_addc_co_u32_e64 v13, s[0:1], v15, v13, s[0:1]
	v_mov_b32_e32 v15, 0
	v_mov_b32_e32 v16, 0xc61c4000
	;; [unrolled: 1-line block ×3, first 2 shown]
.LBB213_8:                              ; =>This Inner Loop Header: Depth=1
	v_cmp_gt_f32_e64 s[0:1], v5, v4
	v_cndmask_b32_e64 v20, v4, v5, s[0:1]
	v_cndmask_b32_e64 v18, 0, 1, s[0:1]
	;; [unrolled: 1-line block ×3, first 2 shown]
	v_cmp_gt_f32_e64 s[0:1], v6, v20
	v_cndmask_b32_e64 v20, v20, v6, s[0:1]
	v_cndmask_b32_e64 v18, v18, 2, s[0:1]
	;; [unrolled: 1-line block ×3, first 2 shown]
	v_cmp_gt_f32_e64 s[0:1], v7, v20
	v_cndmask_b32_e64 v18, v18, 3, s[0:1]
	v_cndmask_b32_e64 v19, v19, v3, s[0:1]
	v_cmp_le_i32_e64 s[0:1], s9, v18
	v_cmp_gt_i32_e64 s[2:3], s10, v18
	s_and_b64 s[0:1], s[0:1], s[2:3]
	v_subrev_u32_e32 v20, s9, v18
	s_and_b64 s[0:1], s[14:15], s[0:1]
	global_store_dword v[8:9], v19, off
	v_cndmask_b32_e64 v20, 4, v20, s[0:1]
	v_add_f32_e32 v19, v15, v19
	v_cmp_ne_u32_e64 s[0:1], 0, v18
	v_cndmask_b32_e32 v15, v15, v19, vcc
	v_cndmask_b32_e64 v19, v16, v4, s[0:1]
	v_cmp_ne_u32_e64 s[0:1], 1, v18
	global_store_dword v[10:11], v20, off
	global_store_dword v[12:13], v17, off
	s_add_i32 s11, s11, 1
	v_cndmask_b32_e64 v20, v16, v5, s[0:1]
	v_cmp_ne_u32_e64 s[0:1], 2, v18
	s_cmp_lt_i32 s11, s8
	v_cndmask_b32_e64 v21, v16, v6, s[0:1]
	v_cmp_ne_u32_e64 s[0:1], 3, v18
	v_cndmask_b32_e64 v18, v16, v7, s[0:1]
	s_cselect_b64 s[0:1], -1, 0
	v_cndmask_b32_e64 v7, v7, v18, s[0:1]
	v_cndmask_b32_e64 v6, v6, v21, s[0:1]
	;; [unrolled: 1-line block ×4, first 2 shown]
	v_add_co_u32_e64 v8, s[0:1], 4, v8
	v_addc_co_u32_e64 v9, s[0:1], 0, v9, s[0:1]
	v_add_co_u32_e64 v10, s[0:1], 4, v10
	v_addc_co_u32_e64 v11, s[0:1], 0, v11, s[0:1]
	v_add_co_u32_e64 v12, s[0:1], 4, v12
	v_add_u32_e32 v17, s16, v17
	s_cmp_eq_u32 s8, s11
	v_addc_co_u32_e64 v13, s[0:1], 0, v13, s[0:1]
	s_cbranch_scc0 .LBB213_8
; %bb.9:
	s_and_b64 vcc, exec, vcc
	s_cbranch_vccnz .LBB213_12
	s_branch .LBB213_20
.LBB213_10:
                                        ; implicit-def: $vgpr4_vgpr5_vgpr6_vgpr7
	s_andn2_b64 vcc, exec, s[8:9]
	s_cbranch_vccz .LBB213_5
	s_branch .LBB213_6
.LBB213_11:
	v_mov_b32_e32 v15, 0
	s_and_b64 vcc, exec, vcc
	s_cbranch_vccz .LBB213_20
.LBB213_12:
	s_andn2_b64 vcc, exec, s[6:7]
	s_cbranch_vccnz .LBB213_20
; %bb.13:
	v_cmp_lt_f32_e32 vcc, 0, v15
	s_mov_b32 s2, 0
	v_cndmask_b32_e32 v0, 1.0, v15, vcc
	v_mul_lo_u32 v4, v14, s8
	s_cmp_eq_u32 s8, 1
	s_mov_b64 s[0:1], -1
	s_cbranch_scc1 .LBB213_17
; %bb.14:
	s_and_b32 s2, s8, 0x7ffffffe
	v_mov_b32_e32 v1, v0
	v_mov_b32_e32 v5, s13
	s_mov_b32 s3, s2
	v_mov_b32_e32 v2, v4
.LBB213_15:                             ; =>This Inner Loop Header: Depth=1
	v_ashrrev_i32_e32 v3, 31, v2
	v_lshlrev_b64 v[6:7], 2, v[2:3]
	v_add_co_u32_e32 v6, vcc, s12, v6
	v_addc_co_u32_e32 v7, vcc, v5, v7, vcc
	global_load_dwordx2 v[8:9], v[6:7], off
	s_add_i32 s3, s3, -2
	s_cmp_lg_u32 s3, 0
	v_add_u32_e32 v2, 2, v2
	s_waitcnt vmcnt(0)
	v_div_scale_f32 v3, s[0:1], v1, v1, v9
	v_div_scale_f32 v11, s[0:1], v0, v0, v8
	v_rcp_f32_e32 v12, v3
	v_rcp_f32_e32 v13, v11
	v_div_scale_f32 v10, vcc, v9, v1, v9
	v_fma_f32 v15, -v3, v12, 1.0
	v_fma_f32 v16, -v11, v13, 1.0
	v_fmac_f32_e32 v12, v15, v12
	v_div_scale_f32 v14, s[0:1], v8, v0, v8
	v_fmac_f32_e32 v13, v16, v13
	v_mul_f32_e32 v15, v10, v12
	v_mul_f32_e32 v16, v14, v13
	v_fma_f32 v17, -v3, v15, v10
	v_fma_f32 v18, -v11, v16, v14
	v_fmac_f32_e32 v15, v17, v12
	v_fmac_f32_e32 v16, v18, v13
	v_fma_f32 v3, -v3, v15, v10
	v_fma_f32 v10, -v11, v16, v14
	v_div_fmas_f32 v3, v3, v12, v15
	s_mov_b64 vcc, s[0:1]
	v_div_fixup_f32 v9, v3, v1, v9
	v_div_fmas_f32 v3, v10, v13, v16
	v_div_fixup_f32 v8, v3, v0, v8
	global_store_dwordx2 v[6:7], v[8:9], off
	s_cbranch_scc1 .LBB213_15
; %bb.16:
	s_cmp_lg_u32 s2, s8
	s_cselect_b64 s[0:1], -1, 0
.LBB213_17:
	s_and_b64 vcc, exec, s[0:1]
	s_cbranch_vccz .LBB213_20
; %bb.18:
	v_ashrrev_i32_e32 v1, 31, v4
	v_add_co_u32_e32 v2, vcc, s2, v4
	v_addc_co_u32_e32 v3, vcc, 0, v1, vcc
	v_lshlrev_b64 v[2:3], 2, v[2:3]
	v_mov_b32_e32 v1, s13
	v_add_co_u32_e32 v2, vcc, s12, v2
	s_sub_i32 s0, s8, s2
	v_addc_co_u32_e32 v3, vcc, v1, v3, vcc
.LBB213_19:                             ; =>This Inner Loop Header: Depth=1
	global_load_dword v1, v[2:3], off
	s_add_i32 s0, s0, -1
	s_cmp_lg_u32 s0, 0
	s_waitcnt vmcnt(0)
	v_div_scale_f32 v4, s[2:3], v0, v0, v1
	v_rcp_f32_e32 v5, v4
	v_div_scale_f32 v6, vcc, v1, v0, v1
	v_fma_f32 v7, -v4, v5, 1.0
	v_fmac_f32_e32 v5, v7, v5
	v_mul_f32_e32 v7, v6, v5
	v_fma_f32 v8, -v4, v7, v6
	v_fmac_f32_e32 v7, v8, v5
	v_fma_f32 v4, -v4, v7, v6
	v_div_fmas_f32 v4, v4, v5, v7
	v_div_fixup_f32 v1, v4, v0, v1
	global_store_dword v[2:3], v1, off
	v_add_co_u32_e32 v2, vcc, 4, v2
	v_addc_co_u32_e32 v3, vcc, 0, v3, vcc
	s_cbranch_scc1 .LBB213_19
.LBB213_20:
	s_endpgm
	.section	.rodata,"a",@progbits
	.p2align	6, 0x0
	.amdhsa_kernel _ZN4vllm3moe10topkGatingILi4ELi4ELi4ELi16ELi64EjfLNS0_11ScoringFuncE1EEEvPKT5_PKbPfiPT4_PiiiibPKf
		.amdhsa_group_segment_fixed_size 0
		.amdhsa_private_segment_fixed_size 0
		.amdhsa_kernarg_size 72
		.amdhsa_user_sgpr_count 6
		.amdhsa_user_sgpr_private_segment_buffer 1
		.amdhsa_user_sgpr_dispatch_ptr 0
		.amdhsa_user_sgpr_queue_ptr 0
		.amdhsa_user_sgpr_kernarg_segment_ptr 1
		.amdhsa_user_sgpr_dispatch_id 0
		.amdhsa_user_sgpr_flat_scratch_init 0
		.amdhsa_user_sgpr_kernarg_preload_length 0
		.amdhsa_user_sgpr_kernarg_preload_offset 0
		.amdhsa_user_sgpr_private_segment_size 0
		.amdhsa_uses_dynamic_stack 0
		.amdhsa_system_sgpr_private_segment_wavefront_offset 0
		.amdhsa_system_sgpr_workgroup_id_x 1
		.amdhsa_system_sgpr_workgroup_id_y 0
		.amdhsa_system_sgpr_workgroup_id_z 0
		.amdhsa_system_sgpr_workgroup_info 0
		.amdhsa_system_vgpr_workitem_id 1
		.amdhsa_next_free_vgpr 26
		.amdhsa_next_free_sgpr 24
		.amdhsa_accum_offset 28
		.amdhsa_reserve_vcc 1
		.amdhsa_reserve_flat_scratch 0
		.amdhsa_float_round_mode_32 0
		.amdhsa_float_round_mode_16_64 0
		.amdhsa_float_denorm_mode_32 3
		.amdhsa_float_denorm_mode_16_64 3
		.amdhsa_dx10_clamp 1
		.amdhsa_ieee_mode 1
		.amdhsa_fp16_overflow 0
		.amdhsa_tg_split 0
		.amdhsa_exception_fp_ieee_invalid_op 0
		.amdhsa_exception_fp_denorm_src 0
		.amdhsa_exception_fp_ieee_div_zero 0
		.amdhsa_exception_fp_ieee_overflow 0
		.amdhsa_exception_fp_ieee_underflow 0
		.amdhsa_exception_fp_ieee_inexact 0
		.amdhsa_exception_int_div_zero 0
	.end_amdhsa_kernel
	.section	.text._ZN4vllm3moe10topkGatingILi4ELi4ELi4ELi16ELi64EjfLNS0_11ScoringFuncE1EEEvPKT5_PKbPfiPT4_PiiiibPKf,"axG",@progbits,_ZN4vllm3moe10topkGatingILi4ELi4ELi4ELi16ELi64EjfLNS0_11ScoringFuncE1EEEvPKT5_PKbPfiPT4_PiiiibPKf,comdat
.Lfunc_end213:
	.size	_ZN4vllm3moe10topkGatingILi4ELi4ELi4ELi16ELi64EjfLNS0_11ScoringFuncE1EEEvPKT5_PKbPfiPT4_PiiiibPKf, .Lfunc_end213-_ZN4vllm3moe10topkGatingILi4ELi4ELi4ELi16ELi64EjfLNS0_11ScoringFuncE1EEEvPKT5_PKbPfiPT4_PiiiibPKf
                                        ; -- End function
	.section	.AMDGPU.csdata,"",@progbits
; Kernel info:
; codeLenInByte = 1608
; NumSgprs: 28
; NumVgprs: 26
; NumAgprs: 0
; TotalNumVgprs: 26
; ScratchSize: 0
; MemoryBound: 1
; FloatMode: 240
; IeeeMode: 1
; LDSByteSize: 0 bytes/workgroup (compile time only)
; SGPRBlocks: 3
; VGPRBlocks: 3
; NumSGPRsForWavesPerEU: 28
; NumVGPRsForWavesPerEU: 26
; AccumOffset: 28
; Occupancy: 8
; WaveLimiterHint : 0
; COMPUTE_PGM_RSRC2:SCRATCH_EN: 0
; COMPUTE_PGM_RSRC2:USER_SGPR: 6
; COMPUTE_PGM_RSRC2:TRAP_HANDLER: 0
; COMPUTE_PGM_RSRC2:TGID_X_EN: 1
; COMPUTE_PGM_RSRC2:TGID_Y_EN: 0
; COMPUTE_PGM_RSRC2:TGID_Z_EN: 0
; COMPUTE_PGM_RSRC2:TIDIG_COMP_CNT: 1
; COMPUTE_PGM_RSRC3_GFX90A:ACCUM_OFFSET: 6
; COMPUTE_PGM_RSRC3_GFX90A:TG_SPLIT: 0
	.section	.text._ZN4vllm3moe10topkGatingILi4ELi4ELi4ELi16ELi32EjfLNS0_11ScoringFuncE1EEEvPKT5_PKbPfiPT4_PiiiibPKf,"axG",@progbits,_ZN4vllm3moe10topkGatingILi4ELi4ELi4ELi16ELi32EjfLNS0_11ScoringFuncE1EEEvPKT5_PKbPfiPT4_PiiiibPKf,comdat
	.protected	_ZN4vllm3moe10topkGatingILi4ELi4ELi4ELi16ELi32EjfLNS0_11ScoringFuncE1EEEvPKT5_PKbPfiPT4_PiiiibPKf ; -- Begin function _ZN4vllm3moe10topkGatingILi4ELi4ELi4ELi16ELi32EjfLNS0_11ScoringFuncE1EEEvPKT5_PKbPfiPT4_PiiiibPKf
	.globl	_ZN4vllm3moe10topkGatingILi4ELi4ELi4ELi16ELi32EjfLNS0_11ScoringFuncE1EEEvPKT5_PKbPfiPT4_PiiiibPKf
	.p2align	8
	.type	_ZN4vllm3moe10topkGatingILi4ELi4ELi4ELi16ELi32EjfLNS0_11ScoringFuncE1EEEvPKT5_PKbPfiPT4_PiiiibPKf,@function
_ZN4vllm3moe10topkGatingILi4ELi4ELi4ELi16ELi32EjfLNS0_11ScoringFuncE1EEEvPKT5_PKbPfiPT4_PiiiibPKf: ; @_ZN4vllm3moe10topkGatingILi4ELi4ELi4ELi16ELi32EjfLNS0_11ScoringFuncE1EEEvPKT5_PKbPfiPT4_PiiiibPKf
; %bb.0:
	s_load_dword s16, s[4:5], 0x18
	v_bfe_u32 v1, v0, 10, 10
	s_lshl_b32 s0, s6, 7
	v_lshlrev_b32_e32 v1, 5, v1
	v_and_b32_e32 v0, 0x3ff, v0
	v_add3_u32 v14, v1, v0, s0
	s_waitcnt lgkmcnt(0)
	v_cmp_gt_i32_e32 vcc, s16, v14
	s_and_saveexec_b64 s[0:1], vcc
	s_cbranch_execz .LBB214_20
; %bb.1:
	s_load_dwordx4 s[0:3], s[4:5], 0x0
	s_load_dwordx2 s[12:13], s[4:5], 0x10
	s_mov_b64 s[8:9], -1
	s_mov_b64 s[14:15], -1
	s_waitcnt lgkmcnt(0)
	s_cmp_eq_u64 s[2:3], 0
	s_cbranch_scc1 .LBB214_3
; %bb.2:
	v_ashrrev_i32_e32 v1, 31, v14
	v_mov_b32_e32 v2, s3
	v_add_co_u32_e32 v0, vcc, s2, v14
	v_addc_co_u32_e32 v1, vcc, v2, v1, vcc
	global_load_ubyte v0, v[0:1], off
	s_waitcnt vmcnt(0)
	v_and_b32_e32 v0, 1, v0
	v_cmp_eq_u32_e32 vcc, 1, v0
	s_xor_b64 s[2:3], vcc, -1
	s_orn2_b64 s[14:15], s[2:3], exec
.LBB214_3:
	v_lshlrev_b32_e32 v0, 2, v14
	v_ashrrev_i32_e32 v1, 31, v0
	v_lshlrev_b64 v[0:1], 2, v[0:1]
	v_mov_b32_e32 v2, s1
	v_add_co_u32_e32 v0, vcc, s0, v0
	v_addc_co_u32_e32 v1, vcc, v2, v1, vcc
	global_load_dwordx4 v[0:3], v[0:1], off
	v_mov_b32_e32 v4, 0x207
	s_load_dwordx2 s[10:11], s[4:5], 0x40
	s_waitcnt lgkmcnt(0)
	s_cmp_eq_u64 s[10:11], 0
	s_waitcnt vmcnt(0)
	v_mul_f32_e32 v0, 0xbfb8aa3b, v0
	v_mul_f32_e32 v1, 0xbfb8aa3b, v1
	v_exp_f32_e32 v0, v0
	v_exp_f32_e32 v1, v1
	v_mul_f32_e32 v2, 0xbfb8aa3b, v2
	v_mul_f32_e32 v3, 0xbfb8aa3b, v3
	v_exp_f32_e32 v2, v2
	v_exp_f32_e32 v3, v3
	v_pk_add_f32 v[0:1], v[0:1], 1.0 op_sel_hi:[1,0]
	v_div_scale_f32 v5, s[0:1], v1, v1, 1.0
	v_rcp_f32_e32 v13, v5
	v_div_scale_f32 v7, s[0:1], v0, v0, 1.0
	v_pk_add_f32 v[2:3], v[2:3], 1.0 op_sel_hi:[1,0]
	v_rcp_f32_e32 v15, v7
	v_div_scale_f32 v9, s[2:3], v3, v3, 1.0
	v_rcp_f32_e32 v16, v9
	v_fma_f32 v18, -v5, v13, 1.0
	v_div_scale_f32 v6, vcc, 1.0, v1, 1.0
	v_div_scale_f32 v11, s[6:7], v2, v2, 1.0
	v_fmac_f32_e32 v13, v18, v13
	v_rcp_f32_e32 v17, v11
	v_fma_f32 v19, -v7, v15, 1.0
	v_mul_f32_e32 v18, v6, v13
	v_div_scale_f32 v8, s[0:1], 1.0, v0, 1.0
	v_fmac_f32_e32 v15, v19, v15
	v_fma_f32 v22, -v5, v18, v6
	v_fma_f32 v20, -v9, v16, 1.0
	v_mul_f32_e32 v19, v8, v15
	v_fmac_f32_e32 v18, v22, v13
	v_div_scale_f32 v10, s[2:3], 1.0, v3, 1.0
	v_fmac_f32_e32 v16, v20, v16
	v_fma_f32 v23, -v7, v19, v8
	v_fma_f32 v5, -v5, v18, v6
	v_fma_f32 v21, -v11, v17, 1.0
	v_mul_f32_e32 v20, v10, v16
	v_fmac_f32_e32 v19, v23, v15
	v_div_fmas_f32 v5, v5, v13, v18
	v_div_scale_f32 v12, s[6:7], 1.0, v2, 1.0
	v_fmac_f32_e32 v17, v21, v17
	v_fma_f32 v24, -v9, v20, v10
	v_fma_f32 v6, -v7, v19, v8
	v_div_fixup_f32 v1, v5, v1, 1.0
	s_mov_b64 vcc, s[0:1]
	v_mul_f32_e32 v21, v12, v17
	v_fmac_f32_e32 v20, v24, v16
	v_div_fmas_f32 v5, v6, v15, v19
	v_cmp_class_f32_e32 vcc, v1, v4
	v_fma_f32 v25, -v11, v21, v12
	v_fma_f32 v7, -v9, v20, v10
	v_div_fixup_f32 v0, v5, v0, 1.0
	v_cndmask_b32_e64 v1, v1, 0, vcc
	s_mov_b64 vcc, s[2:3]
	v_fmac_f32_e32 v21, v25, v17
	v_div_fmas_f32 v5, v7, v16, v20
	v_cmp_class_f32_e32 vcc, v0, v4
	v_fma_f32 v8, -v11, v21, v12
	v_cndmask_b32_e64 v0, v0, 0, vcc
	s_mov_b64 vcc, s[6:7]
	v_div_fixup_f32 v3, v5, v3, 1.0
	v_div_fmas_f32 v5, v8, v17, v21
	v_div_fixup_f32 v2, v5, v2, 1.0
	v_cmp_class_f32_e32 vcc, v3, v4
	v_cndmask_b32_e64 v3, v3, 0, vcc
	v_cmp_class_f32_e32 vcc, v2, v4
	v_cndmask_b32_e64 v2, v2, 0, vcc
	s_cbranch_scc1 .LBB214_10
; %bb.4:
	s_load_dwordx4 s[0:3], s[10:11], 0x0
	s_waitcnt lgkmcnt(0)
	v_pk_add_f32 v[4:5], s[0:1], v[0:1]
	v_pk_add_f32 v[6:7], s[2:3], v[2:3]
	s_cbranch_execnz .LBB214_6
.LBB214_5:
	v_pk_mov_b32 v[6:7], v[2:3], v[2:3] op_sel:[0,1]
	v_pk_mov_b32 v[4:5], v[0:1], v[0:1] op_sel:[0,1]
.LBB214_6:
	s_load_dwordx4 s[8:11], s[4:5], 0x30
	s_waitcnt lgkmcnt(0)
	s_bitcmp1_b32 s11, 0
	s_cselect_b64 vcc, -1, 0
	s_cmp_gt_i32 s8, 0
	s_cselect_b64 s[6:7], -1, 0
	s_cmp_lt_i32 s8, 1
	s_mov_b32 s11, 0
	s_cbranch_scc1 .LBB214_11
; %bb.7:
	s_load_dwordx4 s[20:23], s[4:5], 0x20
	v_mul_lo_u32 v8, v14, s8
	v_ashrrev_i32_e32 v9, 31, v8
	v_lshlrev_b64 v[12:13], 2, v[8:9]
	v_mov_b32_e32 v9, s13
	v_add_co_u32_e64 v8, s[0:1], s12, v12
	v_addc_co_u32_e64 v9, s[0:1], v9, v13, s[0:1]
	s_waitcnt lgkmcnt(0)
	v_mov_b32_e32 v11, s21
	v_add_co_u32_e64 v10, s[0:1], s20, v12
	v_addc_co_u32_e64 v11, s[0:1], v11, v13, s[0:1]
	v_mov_b32_e32 v15, s23
	v_add_co_u32_e64 v12, s[0:1], s22, v12
	v_addc_co_u32_e64 v13, s[0:1], v15, v13, s[0:1]
	v_mov_b32_e32 v15, 0
	v_mov_b32_e32 v16, 0xc61c4000
	;; [unrolled: 1-line block ×3, first 2 shown]
.LBB214_8:                              ; =>This Inner Loop Header: Depth=1
	v_cmp_gt_f32_e64 s[0:1], v5, v4
	v_cndmask_b32_e64 v20, v4, v5, s[0:1]
	v_cndmask_b32_e64 v18, 0, 1, s[0:1]
	;; [unrolled: 1-line block ×3, first 2 shown]
	v_cmp_gt_f32_e64 s[0:1], v6, v20
	v_cndmask_b32_e64 v20, v20, v6, s[0:1]
	v_cndmask_b32_e64 v18, v18, 2, s[0:1]
	;; [unrolled: 1-line block ×3, first 2 shown]
	v_cmp_gt_f32_e64 s[0:1], v7, v20
	v_cndmask_b32_e64 v18, v18, 3, s[0:1]
	v_cndmask_b32_e64 v19, v19, v3, s[0:1]
	v_cmp_le_i32_e64 s[0:1], s9, v18
	v_cmp_gt_i32_e64 s[2:3], s10, v18
	s_and_b64 s[0:1], s[0:1], s[2:3]
	v_subrev_u32_e32 v20, s9, v18
	s_and_b64 s[0:1], s[14:15], s[0:1]
	global_store_dword v[8:9], v19, off
	v_cndmask_b32_e64 v20, 4, v20, s[0:1]
	v_add_f32_e32 v19, v15, v19
	v_cmp_ne_u32_e64 s[0:1], 0, v18
	v_cndmask_b32_e32 v15, v15, v19, vcc
	v_cndmask_b32_e64 v19, v16, v4, s[0:1]
	v_cmp_ne_u32_e64 s[0:1], 1, v18
	global_store_dword v[10:11], v20, off
	global_store_dword v[12:13], v17, off
	s_add_i32 s11, s11, 1
	v_cndmask_b32_e64 v20, v16, v5, s[0:1]
	v_cmp_ne_u32_e64 s[0:1], 2, v18
	s_cmp_lt_i32 s11, s8
	v_cndmask_b32_e64 v21, v16, v6, s[0:1]
	v_cmp_ne_u32_e64 s[0:1], 3, v18
	v_cndmask_b32_e64 v18, v16, v7, s[0:1]
	s_cselect_b64 s[0:1], -1, 0
	v_cndmask_b32_e64 v7, v7, v18, s[0:1]
	v_cndmask_b32_e64 v6, v6, v21, s[0:1]
	;; [unrolled: 1-line block ×4, first 2 shown]
	v_add_co_u32_e64 v8, s[0:1], 4, v8
	v_addc_co_u32_e64 v9, s[0:1], 0, v9, s[0:1]
	v_add_co_u32_e64 v10, s[0:1], 4, v10
	v_addc_co_u32_e64 v11, s[0:1], 0, v11, s[0:1]
	v_add_co_u32_e64 v12, s[0:1], 4, v12
	v_add_u32_e32 v17, s16, v17
	s_cmp_eq_u32 s8, s11
	v_addc_co_u32_e64 v13, s[0:1], 0, v13, s[0:1]
	s_cbranch_scc0 .LBB214_8
; %bb.9:
	s_and_b64 vcc, exec, vcc
	s_cbranch_vccnz .LBB214_12
	s_branch .LBB214_20
.LBB214_10:
                                        ; implicit-def: $vgpr4_vgpr5_vgpr6_vgpr7
	s_andn2_b64 vcc, exec, s[8:9]
	s_cbranch_vccz .LBB214_5
	s_branch .LBB214_6
.LBB214_11:
	v_mov_b32_e32 v15, 0
	s_and_b64 vcc, exec, vcc
	s_cbranch_vccz .LBB214_20
.LBB214_12:
	s_andn2_b64 vcc, exec, s[6:7]
	s_cbranch_vccnz .LBB214_20
; %bb.13:
	v_cmp_lt_f32_e32 vcc, 0, v15
	s_mov_b32 s2, 0
	v_cndmask_b32_e32 v0, 1.0, v15, vcc
	v_mul_lo_u32 v4, v14, s8
	s_cmp_eq_u32 s8, 1
	s_mov_b64 s[0:1], -1
	s_cbranch_scc1 .LBB214_17
; %bb.14:
	s_and_b32 s2, s8, 0x7ffffffe
	v_mov_b32_e32 v1, v0
	v_mov_b32_e32 v5, s13
	s_mov_b32 s3, s2
	v_mov_b32_e32 v2, v4
.LBB214_15:                             ; =>This Inner Loop Header: Depth=1
	v_ashrrev_i32_e32 v3, 31, v2
	v_lshlrev_b64 v[6:7], 2, v[2:3]
	v_add_co_u32_e32 v6, vcc, s12, v6
	v_addc_co_u32_e32 v7, vcc, v5, v7, vcc
	global_load_dwordx2 v[8:9], v[6:7], off
	s_add_i32 s3, s3, -2
	s_cmp_lg_u32 s3, 0
	v_add_u32_e32 v2, 2, v2
	s_waitcnt vmcnt(0)
	v_div_scale_f32 v3, s[0:1], v1, v1, v9
	v_div_scale_f32 v11, s[0:1], v0, v0, v8
	v_rcp_f32_e32 v12, v3
	v_rcp_f32_e32 v13, v11
	v_div_scale_f32 v10, vcc, v9, v1, v9
	v_fma_f32 v15, -v3, v12, 1.0
	v_fma_f32 v16, -v11, v13, 1.0
	v_fmac_f32_e32 v12, v15, v12
	v_div_scale_f32 v14, s[0:1], v8, v0, v8
	v_fmac_f32_e32 v13, v16, v13
	v_mul_f32_e32 v15, v10, v12
	v_mul_f32_e32 v16, v14, v13
	v_fma_f32 v17, -v3, v15, v10
	v_fma_f32 v18, -v11, v16, v14
	v_fmac_f32_e32 v15, v17, v12
	v_fmac_f32_e32 v16, v18, v13
	v_fma_f32 v3, -v3, v15, v10
	v_fma_f32 v10, -v11, v16, v14
	v_div_fmas_f32 v3, v3, v12, v15
	s_mov_b64 vcc, s[0:1]
	v_div_fixup_f32 v9, v3, v1, v9
	v_div_fmas_f32 v3, v10, v13, v16
	v_div_fixup_f32 v8, v3, v0, v8
	global_store_dwordx2 v[6:7], v[8:9], off
	s_cbranch_scc1 .LBB214_15
; %bb.16:
	s_cmp_lg_u32 s2, s8
	s_cselect_b64 s[0:1], -1, 0
.LBB214_17:
	s_and_b64 vcc, exec, s[0:1]
	s_cbranch_vccz .LBB214_20
; %bb.18:
	v_ashrrev_i32_e32 v1, 31, v4
	v_add_co_u32_e32 v2, vcc, s2, v4
	v_addc_co_u32_e32 v3, vcc, 0, v1, vcc
	v_lshlrev_b64 v[2:3], 2, v[2:3]
	v_mov_b32_e32 v1, s13
	v_add_co_u32_e32 v2, vcc, s12, v2
	s_sub_i32 s0, s8, s2
	v_addc_co_u32_e32 v3, vcc, v1, v3, vcc
.LBB214_19:                             ; =>This Inner Loop Header: Depth=1
	global_load_dword v1, v[2:3], off
	s_add_i32 s0, s0, -1
	s_cmp_lg_u32 s0, 0
	s_waitcnt vmcnt(0)
	v_div_scale_f32 v4, s[2:3], v0, v0, v1
	v_rcp_f32_e32 v5, v4
	v_div_scale_f32 v6, vcc, v1, v0, v1
	v_fma_f32 v7, -v4, v5, 1.0
	v_fmac_f32_e32 v5, v7, v5
	v_mul_f32_e32 v7, v6, v5
	v_fma_f32 v8, -v4, v7, v6
	v_fmac_f32_e32 v7, v8, v5
	v_fma_f32 v4, -v4, v7, v6
	v_div_fmas_f32 v4, v4, v5, v7
	v_div_fixup_f32 v1, v4, v0, v1
	global_store_dword v[2:3], v1, off
	v_add_co_u32_e32 v2, vcc, 4, v2
	v_addc_co_u32_e32 v3, vcc, 0, v3, vcc
	s_cbranch_scc1 .LBB214_19
.LBB214_20:
	s_endpgm
	.section	.rodata,"a",@progbits
	.p2align	6, 0x0
	.amdhsa_kernel _ZN4vllm3moe10topkGatingILi4ELi4ELi4ELi16ELi32EjfLNS0_11ScoringFuncE1EEEvPKT5_PKbPfiPT4_PiiiibPKf
		.amdhsa_group_segment_fixed_size 0
		.amdhsa_private_segment_fixed_size 0
		.amdhsa_kernarg_size 72
		.amdhsa_user_sgpr_count 6
		.amdhsa_user_sgpr_private_segment_buffer 1
		.amdhsa_user_sgpr_dispatch_ptr 0
		.amdhsa_user_sgpr_queue_ptr 0
		.amdhsa_user_sgpr_kernarg_segment_ptr 1
		.amdhsa_user_sgpr_dispatch_id 0
		.amdhsa_user_sgpr_flat_scratch_init 0
		.amdhsa_user_sgpr_kernarg_preload_length 0
		.amdhsa_user_sgpr_kernarg_preload_offset 0
		.amdhsa_user_sgpr_private_segment_size 0
		.amdhsa_uses_dynamic_stack 0
		.amdhsa_system_sgpr_private_segment_wavefront_offset 0
		.amdhsa_system_sgpr_workgroup_id_x 1
		.amdhsa_system_sgpr_workgroup_id_y 0
		.amdhsa_system_sgpr_workgroup_id_z 0
		.amdhsa_system_sgpr_workgroup_info 0
		.amdhsa_system_vgpr_workitem_id 1
		.amdhsa_next_free_vgpr 26
		.amdhsa_next_free_sgpr 24
		.amdhsa_accum_offset 28
		.amdhsa_reserve_vcc 1
		.amdhsa_reserve_flat_scratch 0
		.amdhsa_float_round_mode_32 0
		.amdhsa_float_round_mode_16_64 0
		.amdhsa_float_denorm_mode_32 3
		.amdhsa_float_denorm_mode_16_64 3
		.amdhsa_dx10_clamp 1
		.amdhsa_ieee_mode 1
		.amdhsa_fp16_overflow 0
		.amdhsa_tg_split 0
		.amdhsa_exception_fp_ieee_invalid_op 0
		.amdhsa_exception_fp_denorm_src 0
		.amdhsa_exception_fp_ieee_div_zero 0
		.amdhsa_exception_fp_ieee_overflow 0
		.amdhsa_exception_fp_ieee_underflow 0
		.amdhsa_exception_fp_ieee_inexact 0
		.amdhsa_exception_int_div_zero 0
	.end_amdhsa_kernel
	.section	.text._ZN4vllm3moe10topkGatingILi4ELi4ELi4ELi16ELi32EjfLNS0_11ScoringFuncE1EEEvPKT5_PKbPfiPT4_PiiiibPKf,"axG",@progbits,_ZN4vllm3moe10topkGatingILi4ELi4ELi4ELi16ELi32EjfLNS0_11ScoringFuncE1EEEvPKT5_PKbPfiPT4_PiiiibPKf,comdat
.Lfunc_end214:
	.size	_ZN4vllm3moe10topkGatingILi4ELi4ELi4ELi16ELi32EjfLNS0_11ScoringFuncE1EEEvPKT5_PKbPfiPT4_PiiiibPKf, .Lfunc_end214-_ZN4vllm3moe10topkGatingILi4ELi4ELi4ELi16ELi32EjfLNS0_11ScoringFuncE1EEEvPKT5_PKbPfiPT4_PiiiibPKf
                                        ; -- End function
	.section	.AMDGPU.csdata,"",@progbits
; Kernel info:
; codeLenInByte = 1608
; NumSgprs: 28
; NumVgprs: 26
; NumAgprs: 0
; TotalNumVgprs: 26
; ScratchSize: 0
; MemoryBound: 1
; FloatMode: 240
; IeeeMode: 1
; LDSByteSize: 0 bytes/workgroup (compile time only)
; SGPRBlocks: 3
; VGPRBlocks: 3
; NumSGPRsForWavesPerEU: 28
; NumVGPRsForWavesPerEU: 26
; AccumOffset: 28
; Occupancy: 8
; WaveLimiterHint : 0
; COMPUTE_PGM_RSRC2:SCRATCH_EN: 0
; COMPUTE_PGM_RSRC2:USER_SGPR: 6
; COMPUTE_PGM_RSRC2:TRAP_HANDLER: 0
; COMPUTE_PGM_RSRC2:TGID_X_EN: 1
; COMPUTE_PGM_RSRC2:TGID_Y_EN: 0
; COMPUTE_PGM_RSRC2:TGID_Z_EN: 0
; COMPUTE_PGM_RSRC2:TIDIG_COMP_CNT: 1
; COMPUTE_PGM_RSRC3_GFX90A:ACCUM_OFFSET: 6
; COMPUTE_PGM_RSRC3_GFX90A:TG_SPLIT: 0
	.section	.text._ZN4vllm3moe10topkGatingILi4ELi8ELi4ELi16ELi64EjfLNS0_11ScoringFuncE1EEEvPKT5_PKbPfiPT4_PiiiibPKf,"axG",@progbits,_ZN4vllm3moe10topkGatingILi4ELi8ELi4ELi16ELi64EjfLNS0_11ScoringFuncE1EEEvPKT5_PKbPfiPT4_PiiiibPKf,comdat
	.protected	_ZN4vllm3moe10topkGatingILi4ELi8ELi4ELi16ELi64EjfLNS0_11ScoringFuncE1EEEvPKT5_PKbPfiPT4_PiiiibPKf ; -- Begin function _ZN4vllm3moe10topkGatingILi4ELi8ELi4ELi16ELi64EjfLNS0_11ScoringFuncE1EEEvPKT5_PKbPfiPT4_PiiiibPKf
	.globl	_ZN4vllm3moe10topkGatingILi4ELi8ELi4ELi16ELi64EjfLNS0_11ScoringFuncE1EEEvPKT5_PKbPfiPT4_PiiiibPKf
	.p2align	8
	.type	_ZN4vllm3moe10topkGatingILi4ELi8ELi4ELi16ELi64EjfLNS0_11ScoringFuncE1EEEvPKT5_PKbPfiPT4_PiiiibPKf,@function
_ZN4vllm3moe10topkGatingILi4ELi8ELi4ELi16ELi64EjfLNS0_11ScoringFuncE1EEEvPKT5_PKbPfiPT4_PiiiibPKf: ; @_ZN4vllm3moe10topkGatingILi4ELi8ELi4ELi16ELi64EjfLNS0_11ScoringFuncE1EEEvPKT5_PKbPfiPT4_PiiiibPKf
; %bb.0:
	s_load_dword s24, s[4:5], 0x18
	v_bfe_u32 v1, v0, 10, 10
	v_and_b32_e32 v0, 0x3ff, v0
	s_lshl_b32 s0, s6, 7
	v_lshlrev_b32_e32 v1, 5, v1
	v_lshrrev_b32_e32 v2, 1, v0
	v_add3_u32 v8, s0, v1, v2
	s_waitcnt lgkmcnt(0)
	v_cmp_gt_i32_e32 vcc, s24, v8
	s_and_saveexec_b64 s[0:1], vcc
	s_cbranch_execz .LBB215_30
; %bb.1:
	s_load_dwordx4 s[0:3], s[4:5], 0x0
	s_load_dwordx2 s[16:17], s[4:5], 0x10
	s_mov_b64 s[8:9], -1
	s_mov_b64 s[18:19], -1
	s_waitcnt lgkmcnt(0)
	s_cmp_eq_u64 s[2:3], 0
	s_cbranch_scc1 .LBB215_3
; %bb.2:
	v_ashrrev_i32_e32 v1, 31, v8
	v_mov_b32_e32 v3, s3
	v_add_co_u32_e32 v2, vcc, s2, v8
	v_addc_co_u32_e32 v3, vcc, v3, v1, vcc
	global_load_ubyte v1, v[2:3], off
	s_waitcnt vmcnt(0)
	v_and_b32_e32 v1, 1, v1
	v_cmp_eq_u32_e32 vcc, 1, v1
	s_xor_b64 s[2:3], vcc, -1
	s_orn2_b64 s[18:19], s[2:3], exec
.LBB215_3:
	v_lshlrev_b32_e32 v2, 3, v8
	v_ashrrev_i32_e32 v3, 31, v2
	v_lshlrev_b64 v[2:3], 2, v[2:3]
	v_mov_b32_e32 v1, s1
	v_add_co_u32_e32 v2, vcc, s0, v2
	v_and_b32_e32 v9, 1, v0
	v_addc_co_u32_e32 v1, vcc, v1, v3, vcc
	v_lshlrev_b32_e32 v0, 4, v9
	v_add_co_u32_e32 v0, vcc, v2, v0
	v_addc_co_u32_e32 v1, vcc, 0, v1, vcc
	global_load_dwordx4 v[0:3], v[0:1], off
	v_mov_b32_e32 v4, 0x207
	s_load_dwordx2 s[10:11], s[4:5], 0x40
	v_lshlrev_b32_e32 v10, 2, v9
	s_waitcnt lgkmcnt(0)
	s_cmp_eq_u64 s[10:11], 0
	s_waitcnt vmcnt(0)
	v_mul_f32_e32 v0, 0xbfb8aa3b, v0
	v_mul_f32_e32 v1, 0xbfb8aa3b, v1
	v_exp_f32_e32 v0, v0
	v_exp_f32_e32 v1, v1
	v_mul_f32_e32 v2, 0xbfb8aa3b, v2
	v_mul_f32_e32 v3, 0xbfb8aa3b, v3
	v_exp_f32_e32 v2, v2
	v_exp_f32_e32 v3, v3
	v_pk_add_f32 v[0:1], v[0:1], 1.0 op_sel_hi:[1,0]
	v_div_scale_f32 v5, s[0:1], v1, v1, 1.0
	v_rcp_f32_e32 v16, v5
	v_div_scale_f32 v7, s[0:1], v0, v0, 1.0
	v_pk_add_f32 v[2:3], v[2:3], 1.0 op_sel_hi:[1,0]
	v_rcp_f32_e32 v17, v7
	v_div_scale_f32 v12, s[2:3], v3, v3, 1.0
	v_rcp_f32_e32 v18, v12
	v_fma_f32 v20, -v5, v16, 1.0
	v_div_scale_f32 v6, vcc, 1.0, v1, 1.0
	v_div_scale_f32 v14, s[6:7], v2, v2, 1.0
	v_fmac_f32_e32 v16, v20, v16
	v_rcp_f32_e32 v19, v14
	v_fma_f32 v21, -v7, v17, 1.0
	v_mul_f32_e32 v20, v6, v16
	v_div_scale_f32 v11, s[0:1], 1.0, v0, 1.0
	v_fmac_f32_e32 v17, v21, v17
	v_fma_f32 v24, -v5, v20, v6
	v_fma_f32 v22, -v12, v18, 1.0
	v_mul_f32_e32 v21, v11, v17
	v_fmac_f32_e32 v20, v24, v16
	v_div_scale_f32 v13, s[2:3], 1.0, v3, 1.0
	v_fmac_f32_e32 v18, v22, v18
	v_fma_f32 v25, -v7, v21, v11
	v_fma_f32 v5, -v5, v20, v6
	v_fma_f32 v23, -v14, v19, 1.0
	v_mul_f32_e32 v22, v13, v18
	v_fmac_f32_e32 v21, v25, v17
	v_div_fmas_f32 v5, v5, v16, v20
	v_div_scale_f32 v15, s[6:7], 1.0, v2, 1.0
	v_fmac_f32_e32 v19, v23, v19
	v_fma_f32 v26, -v12, v22, v13
	v_fma_f32 v6, -v7, v21, v11
	v_div_fixup_f32 v1, v5, v1, 1.0
	s_mov_b64 vcc, s[0:1]
	v_mul_f32_e32 v23, v15, v19
	v_fmac_f32_e32 v22, v26, v18
	v_div_fmas_f32 v5, v6, v17, v21
	v_cmp_class_f32_e32 vcc, v1, v4
	v_fma_f32 v27, -v14, v23, v15
	v_fma_f32 v7, -v12, v22, v13
	v_div_fixup_f32 v0, v5, v0, 1.0
	v_cndmask_b32_e64 v1, v1, 0, vcc
	s_mov_b64 vcc, s[2:3]
	v_fmac_f32_e32 v23, v27, v19
	v_div_fmas_f32 v5, v7, v18, v22
	v_cmp_class_f32_e32 vcc, v0, v4
	v_fma_f32 v11, -v14, v23, v15
	v_cndmask_b32_e64 v0, v0, 0, vcc
	s_mov_b64 vcc, s[6:7]
	v_div_fixup_f32 v3, v5, v3, 1.0
	v_div_fmas_f32 v5, v11, v19, v23
	v_div_fixup_f32 v2, v5, v2, 1.0
	v_cmp_class_f32_e32 vcc, v3, v4
	v_cndmask_b32_e64 v3, v3, 0, vcc
	v_cmp_class_f32_e32 vcc, v2, v4
	v_cndmask_b32_e64 v2, v2, 0, vcc
	s_cbranch_scc1 .LBB215_19
; %bb.4:
	v_lshlrev_b32_e32 v4, 2, v10
	global_load_dwordx4 v[4:7], v4, s[10:11]
	s_waitcnt vmcnt(0)
	v_pk_add_f32 v[4:5], v[4:5], v[0:1]
	v_pk_add_f32 v[6:7], v[6:7], v[2:3]
	s_cbranch_execnz .LBB215_6
.LBB215_5:
	v_pk_mov_b32 v[6:7], v[2:3], v[2:3] op_sel:[0,1]
	v_pk_mov_b32 v[4:5], v[0:1], v[0:1] op_sel:[0,1]
.LBB215_6:
	s_load_dwordx4 s[8:11], s[4:5], 0x30
	s_mov_b32 s25, 0
	v_cmp_eq_u32_e64 s[0:1], 0, v9
	s_waitcnt lgkmcnt(0)
	s_bitcmp1_b32 s11, 0
	s_cselect_b64 vcc, -1, 0
	s_cmp_gt_i32 s8, 0
	s_cselect_b64 s[6:7], -1, 0
	s_cmp_lt_i32 s8, 1
	s_cbranch_scc1 .LBB215_20
; %bb.7:
	v_mbcnt_lo_u32_b32 v11, -1, 0
	v_mbcnt_hi_u32_b32 v11, -1, v11
	s_load_dwordx4 s[12:15], s[4:5], 0x20
	v_and_b32_e32 v13, 0x7e, v11
	v_xor_b32_e32 v12, 1, v11
	v_add_u32_e32 v13, 2, v13
	v_cmp_lt_i32_e64 s[2:3], v12, v13
	v_cndmask_b32_e64 v11, v11, v12, s[2:3]
	v_lshlrev_b32_e32 v12, 2, v11
	v_mul_lo_u32 v13, v8, s8
	v_mov_b32_e32 v11, 0
	v_mov_b32_e32 v14, 0xc61c4000
	;; [unrolled: 1-line block ×3, first 2 shown]
	s_branch .LBB215_10
.LBB215_8:                              ;   in Loop: Header=BB215_10 Depth=1
	s_or_b64 exec, exec, s[4:5]
.LBB215_9:                              ;   in Loop: Header=BB215_10 Depth=1
	s_cmp_eq_u32 s8, s25
	v_add_u32_e32 v15, s24, v15
	s_cbranch_scc1 .LBB215_21
.LBB215_10:                             ; =>This Inner Loop Header: Depth=1
	v_cmp_gt_f32_e64 s[2:3], v5, v4
	v_cndmask_b32_e64 v18, v4, v5, s[2:3]
	v_cndmask_b32_e64 v16, 0, 1, s[2:3]
	;; [unrolled: 1-line block ×3, first 2 shown]
	v_cmp_gt_f32_e64 s[2:3], v6, v18
	v_cndmask_b32_e64 v18, v18, v6, s[2:3]
	v_cndmask_b32_e64 v16, v16, 2, s[2:3]
	;; [unrolled: 1-line block ×3, first 2 shown]
	v_cmp_gt_f32_e64 s[2:3], v7, v18
	v_cndmask_b32_e64 v16, v16, 3, s[2:3]
	v_cndmask_b32_e64 v20, v18, v7, s[2:3]
	v_or_b32_e32 v16, v10, v16
	v_cndmask_b32_e64 v17, v17, v3, s[2:3]
	ds_bpermute_b32 v21, v12, v20
	ds_bpermute_b32 v18, v12, v17
	;; [unrolled: 1-line block ×3, first 2 shown]
	s_waitcnt lgkmcnt(0)
	v_cmp_lt_f32_e64 s[20:21], v20, v21
	v_cmp_nlt_f32_e64 s[2:3], v20, v21
	s_and_saveexec_b64 s[22:23], s[2:3]
	s_cbranch_execnz .LBB215_14
; %bb.11:                               ;   in Loop: Header=BB215_10 Depth=1
	s_or_b64 exec, exec, s[22:23]
	s_and_saveexec_b64 s[2:3], s[20:21]
	s_cbranch_execnz .LBB215_15
.LBB215_12:                             ;   in Loop: Header=BB215_10 Depth=1
	s_or_b64 exec, exec, s[2:3]
	s_and_saveexec_b64 s[20:21], s[0:1]
	s_cbranch_execnz .LBB215_16
.LBB215_13:                             ;   in Loop: Header=BB215_10 Depth=1
	s_or_b64 exec, exec, s[20:21]
	s_add_i32 s25, s25, 1
	s_cmp_ge_i32 s25, s8
	s_cbranch_scc1 .LBB215_9
	s_branch .LBB215_17
.LBB215_14:                             ;   in Loop: Header=BB215_10 Depth=1
	v_cmp_eq_f32_e64 s[2:3], v20, v21
	v_cmp_lt_i32_e64 s[4:5], v19, v16
	s_and_b64 s[2:3], s[2:3], s[4:5]
	s_andn2_b64 s[4:5], s[20:21], exec
	s_and_b64 s[2:3], s[2:3], exec
	s_or_b64 s[20:21], s[4:5], s[2:3]
	s_or_b64 exec, exec, s[22:23]
	s_and_saveexec_b64 s[2:3], s[20:21]
	s_cbranch_execz .LBB215_12
.LBB215_15:                             ;   in Loop: Header=BB215_10 Depth=1
	v_mov_b32_e32 v16, v19
	v_mov_b32_e32 v17, v18
	s_or_b64 exec, exec, s[2:3]
	s_and_saveexec_b64 s[20:21], s[0:1]
	s_cbranch_execz .LBB215_13
.LBB215_16:                             ;   in Loop: Header=BB215_10 Depth=1
	v_add_u32_e32 v18, s25, v13
	v_ashrrev_i32_e32 v19, 31, v18
	v_cmp_le_i32_e64 s[2:3], s9, v16
	v_cmp_gt_i32_e64 s[4:5], s10, v16
	v_lshlrev_b64 v[18:19], 2, v[18:19]
	s_and_b64 s[4:5], s[2:3], s[4:5]
	v_mov_b32_e32 v21, s17
	v_add_co_u32_e64 v20, s[2:3], s16, v18
	v_addc_co_u32_e64 v21, s[2:3], v21, v19, s[2:3]
	global_store_dword v[20:21], v17, off
	v_subrev_u32_e32 v20, s9, v16
	s_and_b64 s[2:3], s[18:19], s[4:5]
	v_cndmask_b32_e64 v22, 8, v20, s[2:3]
	v_mov_b32_e32 v21, s13
	v_add_co_u32_e64 v20, s[2:3], s12, v18
	v_addc_co_u32_e64 v21, s[2:3], v21, v19, s[2:3]
	global_store_dword v[20:21], v22, off
	v_mov_b32_e32 v20, s15
	v_add_co_u32_e64 v18, s[2:3], s14, v18
	v_add_f32_e32 v17, v11, v17
	v_addc_co_u32_e64 v19, s[2:3], v20, v19, s[2:3]
	v_cndmask_b32_e32 v11, v11, v17, vcc
	global_store_dword v[18:19], v15, off
	s_or_b64 exec, exec, s[20:21]
	s_add_i32 s25, s25, 1
	s_cmp_ge_i32 s25, s8
	s_cbranch_scc1 .LBB215_9
.LBB215_17:                             ;   in Loop: Header=BB215_10 Depth=1
	v_ashrrev_i32_e32 v18, 31, v16
	v_lshrrev_b32_e32 v17, 30, v18
	v_add_u32_e32 v19, v16, v17
	v_ashrrev_i32_e32 v17, 2, v19
	v_lshrrev_b32_e32 v19, 31, v19
	v_add_u32_e32 v19, v17, v19
	v_and_b32_e32 v19, -2, v19
	v_sub_u32_e32 v19, v17, v19
	v_cmp_eq_u32_e64 s[2:3], v9, v19
	s_and_saveexec_b64 s[4:5], s[2:3]
	s_cbranch_execz .LBB215_8
; %bb.18:                               ;   in Loop: Header=BB215_10 Depth=1
	v_lshrrev_b32_e32 v18, 29, v18
	v_add_u32_e32 v18, v16, v18
	v_lshlrev_b32_e32 v17, 2, v17
	v_ashrrev_i32_e32 v18, 3, v18
	v_sub_u32_e32 v16, v16, v17
	v_lshl_add_u32 v16, v18, 2, v16
	v_cmp_ne_u32_e64 s[2:3], 3, v16
	v_cndmask_b32_e64 v7, v14, v7, s[2:3]
	v_cmp_ne_u32_e64 s[2:3], 2, v16
	v_cndmask_b32_e64 v6, v14, v6, s[2:3]
	;; [unrolled: 2-line block ×4, first 2 shown]
	s_branch .LBB215_8
.LBB215_19:
                                        ; implicit-def: $vgpr4_vgpr5_vgpr6_vgpr7
	s_andn2_b64 vcc, exec, s[8:9]
	s_cbranch_vccz .LBB215_5
	s_branch .LBB215_6
.LBB215_20:
	v_mov_b32_e32 v11, 0
.LBB215_21:
	v_cmp_eq_u32_e64 s[0:1], 0, v9
	s_and_b64 s[0:1], s[0:1], vcc
	s_and_b64 exec, exec, s[0:1]
	s_cbranch_execz .LBB215_30
; %bb.22:
	s_andn2_b64 vcc, exec, s[6:7]
	s_cbranch_vccnz .LBB215_30
; %bb.23:
	v_cmp_lt_f32_e32 vcc, 0, v11
	s_mov_b32 s2, 0
	v_cndmask_b32_e32 v0, 1.0, v11, vcc
	v_mul_lo_u32 v4, v8, s8
	s_cmp_eq_u32 s8, 1
	s_mov_b64 s[0:1], -1
	s_cbranch_scc1 .LBB215_27
; %bb.24:
	s_and_b32 s2, s8, 0x7ffffffe
	v_mov_b32_e32 v1, v0
	v_mov_b32_e32 v5, s17
	s_mov_b32 s3, s2
	v_mov_b32_e32 v2, v4
.LBB215_25:                             ; =>This Inner Loop Header: Depth=1
	v_ashrrev_i32_e32 v3, 31, v2
	v_lshlrev_b64 v[6:7], 2, v[2:3]
	v_add_co_u32_e32 v6, vcc, s16, v6
	v_addc_co_u32_e32 v7, vcc, v5, v7, vcc
	global_load_dwordx2 v[8:9], v[6:7], off
	s_add_i32 s3, s3, -2
	s_cmp_lg_u32 s3, 0
	v_add_u32_e32 v2, 2, v2
	s_waitcnt vmcnt(0)
	v_div_scale_f32 v3, s[0:1], v1, v1, v9
	v_div_scale_f32 v11, s[0:1], v0, v0, v8
	v_rcp_f32_e32 v12, v3
	v_rcp_f32_e32 v13, v11
	v_div_scale_f32 v10, vcc, v9, v1, v9
	v_fma_f32 v15, -v3, v12, 1.0
	v_fma_f32 v16, -v11, v13, 1.0
	v_fmac_f32_e32 v12, v15, v12
	v_div_scale_f32 v14, s[0:1], v8, v0, v8
	v_fmac_f32_e32 v13, v16, v13
	v_mul_f32_e32 v15, v10, v12
	v_mul_f32_e32 v16, v14, v13
	v_fma_f32 v17, -v3, v15, v10
	v_fma_f32 v18, -v11, v16, v14
	v_fmac_f32_e32 v15, v17, v12
	v_fmac_f32_e32 v16, v18, v13
	v_fma_f32 v3, -v3, v15, v10
	v_fma_f32 v10, -v11, v16, v14
	v_div_fmas_f32 v3, v3, v12, v15
	s_mov_b64 vcc, s[0:1]
	v_div_fixup_f32 v9, v3, v1, v9
	v_div_fmas_f32 v3, v10, v13, v16
	v_div_fixup_f32 v8, v3, v0, v8
	global_store_dwordx2 v[6:7], v[8:9], off
	s_cbranch_scc1 .LBB215_25
; %bb.26:
	s_cmp_lg_u32 s2, s8
	s_cselect_b64 s[0:1], -1, 0
.LBB215_27:
	s_and_b64 vcc, exec, s[0:1]
	s_cbranch_vccz .LBB215_30
; %bb.28:
	v_ashrrev_i32_e32 v1, 31, v4
	v_add_co_u32_e32 v2, vcc, s2, v4
	v_addc_co_u32_e32 v3, vcc, 0, v1, vcc
	v_lshlrev_b64 v[2:3], 2, v[2:3]
	v_mov_b32_e32 v1, s17
	v_add_co_u32_e32 v2, vcc, s16, v2
	s_sub_i32 s0, s8, s2
	v_addc_co_u32_e32 v3, vcc, v1, v3, vcc
.LBB215_29:                             ; =>This Inner Loop Header: Depth=1
	global_load_dword v1, v[2:3], off
	s_add_i32 s0, s0, -1
	s_cmp_lg_u32 s0, 0
	s_waitcnt vmcnt(0)
	v_div_scale_f32 v4, s[2:3], v0, v0, v1
	v_rcp_f32_e32 v5, v4
	v_div_scale_f32 v6, vcc, v1, v0, v1
	v_fma_f32 v7, -v4, v5, 1.0
	v_fmac_f32_e32 v5, v7, v5
	v_mul_f32_e32 v7, v6, v5
	v_fma_f32 v8, -v4, v7, v6
	v_fmac_f32_e32 v7, v8, v5
	v_fma_f32 v4, -v4, v7, v6
	v_div_fmas_f32 v4, v4, v5, v7
	v_div_fixup_f32 v1, v4, v0, v1
	global_store_dword v[2:3], v1, off
	v_add_co_u32_e32 v2, vcc, 4, v2
	v_addc_co_u32_e32 v3, vcc, 0, v3, vcc
	s_cbranch_scc1 .LBB215_29
.LBB215_30:
	s_endpgm
	.section	.rodata,"a",@progbits
	.p2align	6, 0x0
	.amdhsa_kernel _ZN4vllm3moe10topkGatingILi4ELi8ELi4ELi16ELi64EjfLNS0_11ScoringFuncE1EEEvPKT5_PKbPfiPT4_PiiiibPKf
		.amdhsa_group_segment_fixed_size 0
		.amdhsa_private_segment_fixed_size 0
		.amdhsa_kernarg_size 72
		.amdhsa_user_sgpr_count 6
		.amdhsa_user_sgpr_private_segment_buffer 1
		.amdhsa_user_sgpr_dispatch_ptr 0
		.amdhsa_user_sgpr_queue_ptr 0
		.amdhsa_user_sgpr_kernarg_segment_ptr 1
		.amdhsa_user_sgpr_dispatch_id 0
		.amdhsa_user_sgpr_flat_scratch_init 0
		.amdhsa_user_sgpr_kernarg_preload_length 0
		.amdhsa_user_sgpr_kernarg_preload_offset 0
		.amdhsa_user_sgpr_private_segment_size 0
		.amdhsa_uses_dynamic_stack 0
		.amdhsa_system_sgpr_private_segment_wavefront_offset 0
		.amdhsa_system_sgpr_workgroup_id_x 1
		.amdhsa_system_sgpr_workgroup_id_y 0
		.amdhsa_system_sgpr_workgroup_id_z 0
		.amdhsa_system_sgpr_workgroup_info 0
		.amdhsa_system_vgpr_workitem_id 1
		.amdhsa_next_free_vgpr 28
		.amdhsa_next_free_sgpr 26
		.amdhsa_accum_offset 28
		.amdhsa_reserve_vcc 1
		.amdhsa_reserve_flat_scratch 0
		.amdhsa_float_round_mode_32 0
		.amdhsa_float_round_mode_16_64 0
		.amdhsa_float_denorm_mode_32 3
		.amdhsa_float_denorm_mode_16_64 3
		.amdhsa_dx10_clamp 1
		.amdhsa_ieee_mode 1
		.amdhsa_fp16_overflow 0
		.amdhsa_tg_split 0
		.amdhsa_exception_fp_ieee_invalid_op 0
		.amdhsa_exception_fp_denorm_src 0
		.amdhsa_exception_fp_ieee_div_zero 0
		.amdhsa_exception_fp_ieee_overflow 0
		.amdhsa_exception_fp_ieee_underflow 0
		.amdhsa_exception_fp_ieee_inexact 0
		.amdhsa_exception_int_div_zero 0
	.end_amdhsa_kernel
	.section	.text._ZN4vllm3moe10topkGatingILi4ELi8ELi4ELi16ELi64EjfLNS0_11ScoringFuncE1EEEvPKT5_PKbPfiPT4_PiiiibPKf,"axG",@progbits,_ZN4vllm3moe10topkGatingILi4ELi8ELi4ELi16ELi64EjfLNS0_11ScoringFuncE1EEEvPKT5_PKbPfiPT4_PiiiibPKf,comdat
.Lfunc_end215:
	.size	_ZN4vllm3moe10topkGatingILi4ELi8ELi4ELi16ELi64EjfLNS0_11ScoringFuncE1EEEvPKT5_PKbPfiPT4_PiiiibPKf, .Lfunc_end215-_ZN4vllm3moe10topkGatingILi4ELi8ELi4ELi16ELi64EjfLNS0_11ScoringFuncE1EEEvPKT5_PKbPfiPT4_PiiiibPKf
                                        ; -- End function
	.section	.AMDGPU.csdata,"",@progbits
; Kernel info:
; codeLenInByte = 1880
; NumSgprs: 30
; NumVgprs: 28
; NumAgprs: 0
; TotalNumVgprs: 28
; ScratchSize: 0
; MemoryBound: 0
; FloatMode: 240
; IeeeMode: 1
; LDSByteSize: 0 bytes/workgroup (compile time only)
; SGPRBlocks: 3
; VGPRBlocks: 3
; NumSGPRsForWavesPerEU: 30
; NumVGPRsForWavesPerEU: 28
; AccumOffset: 28
; Occupancy: 8
; WaveLimiterHint : 0
; COMPUTE_PGM_RSRC2:SCRATCH_EN: 0
; COMPUTE_PGM_RSRC2:USER_SGPR: 6
; COMPUTE_PGM_RSRC2:TRAP_HANDLER: 0
; COMPUTE_PGM_RSRC2:TGID_X_EN: 1
; COMPUTE_PGM_RSRC2:TGID_Y_EN: 0
; COMPUTE_PGM_RSRC2:TGID_Z_EN: 0
; COMPUTE_PGM_RSRC2:TIDIG_COMP_CNT: 1
; COMPUTE_PGM_RSRC3_GFX90A:ACCUM_OFFSET: 6
; COMPUTE_PGM_RSRC3_GFX90A:TG_SPLIT: 0
	.section	.text._ZN4vllm3moe10topkGatingILi4ELi8ELi4ELi16ELi32EjfLNS0_11ScoringFuncE1EEEvPKT5_PKbPfiPT4_PiiiibPKf,"axG",@progbits,_ZN4vllm3moe10topkGatingILi4ELi8ELi4ELi16ELi32EjfLNS0_11ScoringFuncE1EEEvPKT5_PKbPfiPT4_PiiiibPKf,comdat
	.protected	_ZN4vllm3moe10topkGatingILi4ELi8ELi4ELi16ELi32EjfLNS0_11ScoringFuncE1EEEvPKT5_PKbPfiPT4_PiiiibPKf ; -- Begin function _ZN4vllm3moe10topkGatingILi4ELi8ELi4ELi16ELi32EjfLNS0_11ScoringFuncE1EEEvPKT5_PKbPfiPT4_PiiiibPKf
	.globl	_ZN4vllm3moe10topkGatingILi4ELi8ELi4ELi16ELi32EjfLNS0_11ScoringFuncE1EEEvPKT5_PKbPfiPT4_PiiiibPKf
	.p2align	8
	.type	_ZN4vllm3moe10topkGatingILi4ELi8ELi4ELi16ELi32EjfLNS0_11ScoringFuncE1EEEvPKT5_PKbPfiPT4_PiiiibPKf,@function
_ZN4vllm3moe10topkGatingILi4ELi8ELi4ELi16ELi32EjfLNS0_11ScoringFuncE1EEEvPKT5_PKbPfiPT4_PiiiibPKf: ; @_ZN4vllm3moe10topkGatingILi4ELi8ELi4ELi16ELi32EjfLNS0_11ScoringFuncE1EEEvPKT5_PKbPfiPT4_PiiiibPKf
; %bb.0:
	s_load_dword s24, s[4:5], 0x18
	v_bfe_u32 v1, v0, 10, 10
	v_and_b32_e32 v0, 0x3ff, v0
	s_lshl_b32 s0, s6, 6
	v_lshlrev_b32_e32 v1, 4, v1
	v_lshrrev_b32_e32 v2, 1, v0
	v_add3_u32 v8, s0, v1, v2
	s_waitcnt lgkmcnt(0)
	v_cmp_gt_i32_e32 vcc, s24, v8
	s_and_saveexec_b64 s[0:1], vcc
	s_cbranch_execz .LBB216_30
; %bb.1:
	s_load_dwordx4 s[0:3], s[4:5], 0x0
	s_load_dwordx2 s[16:17], s[4:5], 0x10
	s_mov_b64 s[8:9], -1
	s_mov_b64 s[18:19], -1
	s_waitcnt lgkmcnt(0)
	s_cmp_eq_u64 s[2:3], 0
	s_cbranch_scc1 .LBB216_3
; %bb.2:
	v_ashrrev_i32_e32 v1, 31, v8
	v_mov_b32_e32 v3, s3
	v_add_co_u32_e32 v2, vcc, s2, v8
	v_addc_co_u32_e32 v3, vcc, v3, v1, vcc
	global_load_ubyte v1, v[2:3], off
	s_waitcnt vmcnt(0)
	v_and_b32_e32 v1, 1, v1
	v_cmp_eq_u32_e32 vcc, 1, v1
	s_xor_b64 s[2:3], vcc, -1
	s_orn2_b64 s[18:19], s[2:3], exec
.LBB216_3:
	v_lshlrev_b32_e32 v2, 3, v8
	v_ashrrev_i32_e32 v3, 31, v2
	v_lshlrev_b64 v[2:3], 2, v[2:3]
	v_mov_b32_e32 v1, s1
	v_add_co_u32_e32 v2, vcc, s0, v2
	v_and_b32_e32 v9, 1, v0
	v_addc_co_u32_e32 v1, vcc, v1, v3, vcc
	v_lshlrev_b32_e32 v0, 4, v9
	v_add_co_u32_e32 v0, vcc, v2, v0
	v_addc_co_u32_e32 v1, vcc, 0, v1, vcc
	global_load_dwordx4 v[0:3], v[0:1], off
	v_mov_b32_e32 v4, 0x207
	s_load_dwordx2 s[10:11], s[4:5], 0x40
	v_lshlrev_b32_e32 v10, 2, v9
	s_waitcnt lgkmcnt(0)
	s_cmp_eq_u64 s[10:11], 0
	s_waitcnt vmcnt(0)
	v_mul_f32_e32 v0, 0xbfb8aa3b, v0
	v_mul_f32_e32 v1, 0xbfb8aa3b, v1
	v_exp_f32_e32 v0, v0
	v_exp_f32_e32 v1, v1
	v_mul_f32_e32 v2, 0xbfb8aa3b, v2
	v_mul_f32_e32 v3, 0xbfb8aa3b, v3
	v_exp_f32_e32 v2, v2
	v_exp_f32_e32 v3, v3
	v_pk_add_f32 v[0:1], v[0:1], 1.0 op_sel_hi:[1,0]
	v_div_scale_f32 v5, s[0:1], v1, v1, 1.0
	v_rcp_f32_e32 v16, v5
	v_div_scale_f32 v7, s[0:1], v0, v0, 1.0
	v_pk_add_f32 v[2:3], v[2:3], 1.0 op_sel_hi:[1,0]
	v_rcp_f32_e32 v17, v7
	v_div_scale_f32 v12, s[2:3], v3, v3, 1.0
	v_rcp_f32_e32 v18, v12
	v_fma_f32 v20, -v5, v16, 1.0
	v_div_scale_f32 v6, vcc, 1.0, v1, 1.0
	v_div_scale_f32 v14, s[6:7], v2, v2, 1.0
	v_fmac_f32_e32 v16, v20, v16
	v_rcp_f32_e32 v19, v14
	v_fma_f32 v21, -v7, v17, 1.0
	v_mul_f32_e32 v20, v6, v16
	v_div_scale_f32 v11, s[0:1], 1.0, v0, 1.0
	v_fmac_f32_e32 v17, v21, v17
	v_fma_f32 v24, -v5, v20, v6
	v_fma_f32 v22, -v12, v18, 1.0
	v_mul_f32_e32 v21, v11, v17
	v_fmac_f32_e32 v20, v24, v16
	v_div_scale_f32 v13, s[2:3], 1.0, v3, 1.0
	v_fmac_f32_e32 v18, v22, v18
	v_fma_f32 v25, -v7, v21, v11
	v_fma_f32 v5, -v5, v20, v6
	v_fma_f32 v23, -v14, v19, 1.0
	v_mul_f32_e32 v22, v13, v18
	v_fmac_f32_e32 v21, v25, v17
	v_div_fmas_f32 v5, v5, v16, v20
	v_div_scale_f32 v15, s[6:7], 1.0, v2, 1.0
	v_fmac_f32_e32 v19, v23, v19
	v_fma_f32 v26, -v12, v22, v13
	v_fma_f32 v6, -v7, v21, v11
	v_div_fixup_f32 v1, v5, v1, 1.0
	s_mov_b64 vcc, s[0:1]
	v_mul_f32_e32 v23, v15, v19
	v_fmac_f32_e32 v22, v26, v18
	v_div_fmas_f32 v5, v6, v17, v21
	v_cmp_class_f32_e32 vcc, v1, v4
	v_fma_f32 v27, -v14, v23, v15
	v_fma_f32 v7, -v12, v22, v13
	v_div_fixup_f32 v0, v5, v0, 1.0
	v_cndmask_b32_e64 v1, v1, 0, vcc
	s_mov_b64 vcc, s[2:3]
	v_fmac_f32_e32 v23, v27, v19
	v_div_fmas_f32 v5, v7, v18, v22
	v_cmp_class_f32_e32 vcc, v0, v4
	v_fma_f32 v11, -v14, v23, v15
	v_cndmask_b32_e64 v0, v0, 0, vcc
	s_mov_b64 vcc, s[6:7]
	v_div_fixup_f32 v3, v5, v3, 1.0
	v_div_fmas_f32 v5, v11, v19, v23
	v_div_fixup_f32 v2, v5, v2, 1.0
	v_cmp_class_f32_e32 vcc, v3, v4
	v_cndmask_b32_e64 v3, v3, 0, vcc
	v_cmp_class_f32_e32 vcc, v2, v4
	v_cndmask_b32_e64 v2, v2, 0, vcc
	s_cbranch_scc1 .LBB216_19
; %bb.4:
	v_lshlrev_b32_e32 v4, 2, v10
	global_load_dwordx4 v[4:7], v4, s[10:11]
	s_waitcnt vmcnt(0)
	v_pk_add_f32 v[4:5], v[4:5], v[0:1]
	v_pk_add_f32 v[6:7], v[6:7], v[2:3]
	s_cbranch_execnz .LBB216_6
.LBB216_5:
	v_pk_mov_b32 v[6:7], v[2:3], v[2:3] op_sel:[0,1]
	v_pk_mov_b32 v[4:5], v[0:1], v[0:1] op_sel:[0,1]
.LBB216_6:
	s_load_dwordx4 s[8:11], s[4:5], 0x30
	s_mov_b32 s25, 0
	v_cmp_eq_u32_e64 s[0:1], 0, v9
	s_waitcnt lgkmcnt(0)
	s_bitcmp1_b32 s11, 0
	s_cselect_b64 vcc, -1, 0
	s_cmp_gt_i32 s8, 0
	s_cselect_b64 s[6:7], -1, 0
	s_cmp_lt_i32 s8, 1
	s_cbranch_scc1 .LBB216_20
; %bb.7:
	v_mbcnt_lo_u32_b32 v11, -1, 0
	v_mbcnt_hi_u32_b32 v11, -1, v11
	s_load_dwordx4 s[12:15], s[4:5], 0x20
	v_and_b32_e32 v13, 0x7e, v11
	v_xor_b32_e32 v12, 1, v11
	v_add_u32_e32 v13, 2, v13
	v_cmp_lt_i32_e64 s[2:3], v12, v13
	v_cndmask_b32_e64 v11, v11, v12, s[2:3]
	v_lshlrev_b32_e32 v12, 2, v11
	v_mul_lo_u32 v13, v8, s8
	v_mov_b32_e32 v11, 0
	v_mov_b32_e32 v14, 0xc61c4000
	;; [unrolled: 1-line block ×3, first 2 shown]
	s_branch .LBB216_10
.LBB216_8:                              ;   in Loop: Header=BB216_10 Depth=1
	s_or_b64 exec, exec, s[4:5]
.LBB216_9:                              ;   in Loop: Header=BB216_10 Depth=1
	s_cmp_eq_u32 s8, s25
	v_add_u32_e32 v15, s24, v15
	s_cbranch_scc1 .LBB216_21
.LBB216_10:                             ; =>This Inner Loop Header: Depth=1
	v_cmp_gt_f32_e64 s[2:3], v5, v4
	v_cndmask_b32_e64 v18, v4, v5, s[2:3]
	v_cndmask_b32_e64 v16, 0, 1, s[2:3]
	;; [unrolled: 1-line block ×3, first 2 shown]
	v_cmp_gt_f32_e64 s[2:3], v6, v18
	v_cndmask_b32_e64 v18, v18, v6, s[2:3]
	v_cndmask_b32_e64 v16, v16, 2, s[2:3]
	;; [unrolled: 1-line block ×3, first 2 shown]
	v_cmp_gt_f32_e64 s[2:3], v7, v18
	v_cndmask_b32_e64 v16, v16, 3, s[2:3]
	v_cndmask_b32_e64 v20, v18, v7, s[2:3]
	v_or_b32_e32 v16, v10, v16
	v_cndmask_b32_e64 v17, v17, v3, s[2:3]
	ds_bpermute_b32 v21, v12, v20
	ds_bpermute_b32 v18, v12, v17
	;; [unrolled: 1-line block ×3, first 2 shown]
	s_waitcnt lgkmcnt(0)
	v_cmp_lt_f32_e64 s[20:21], v20, v21
	v_cmp_nlt_f32_e64 s[2:3], v20, v21
	s_and_saveexec_b64 s[22:23], s[2:3]
	s_cbranch_execnz .LBB216_14
; %bb.11:                               ;   in Loop: Header=BB216_10 Depth=1
	s_or_b64 exec, exec, s[22:23]
	s_and_saveexec_b64 s[2:3], s[20:21]
	s_cbranch_execnz .LBB216_15
.LBB216_12:                             ;   in Loop: Header=BB216_10 Depth=1
	s_or_b64 exec, exec, s[2:3]
	s_and_saveexec_b64 s[20:21], s[0:1]
	s_cbranch_execnz .LBB216_16
.LBB216_13:                             ;   in Loop: Header=BB216_10 Depth=1
	s_or_b64 exec, exec, s[20:21]
	s_add_i32 s25, s25, 1
	s_cmp_ge_i32 s25, s8
	s_cbranch_scc1 .LBB216_9
	s_branch .LBB216_17
.LBB216_14:                             ;   in Loop: Header=BB216_10 Depth=1
	v_cmp_eq_f32_e64 s[2:3], v20, v21
	v_cmp_lt_i32_e64 s[4:5], v19, v16
	s_and_b64 s[2:3], s[2:3], s[4:5]
	s_andn2_b64 s[4:5], s[20:21], exec
	s_and_b64 s[2:3], s[2:3], exec
	s_or_b64 s[20:21], s[4:5], s[2:3]
	s_or_b64 exec, exec, s[22:23]
	s_and_saveexec_b64 s[2:3], s[20:21]
	s_cbranch_execz .LBB216_12
.LBB216_15:                             ;   in Loop: Header=BB216_10 Depth=1
	v_mov_b32_e32 v16, v19
	v_mov_b32_e32 v17, v18
	s_or_b64 exec, exec, s[2:3]
	s_and_saveexec_b64 s[20:21], s[0:1]
	s_cbranch_execz .LBB216_13
.LBB216_16:                             ;   in Loop: Header=BB216_10 Depth=1
	v_add_u32_e32 v18, s25, v13
	v_ashrrev_i32_e32 v19, 31, v18
	v_cmp_le_i32_e64 s[2:3], s9, v16
	v_cmp_gt_i32_e64 s[4:5], s10, v16
	v_lshlrev_b64 v[18:19], 2, v[18:19]
	s_and_b64 s[4:5], s[2:3], s[4:5]
	v_mov_b32_e32 v21, s17
	v_add_co_u32_e64 v20, s[2:3], s16, v18
	v_addc_co_u32_e64 v21, s[2:3], v21, v19, s[2:3]
	global_store_dword v[20:21], v17, off
	v_subrev_u32_e32 v20, s9, v16
	s_and_b64 s[2:3], s[18:19], s[4:5]
	v_cndmask_b32_e64 v22, 8, v20, s[2:3]
	v_mov_b32_e32 v21, s13
	v_add_co_u32_e64 v20, s[2:3], s12, v18
	v_addc_co_u32_e64 v21, s[2:3], v21, v19, s[2:3]
	global_store_dword v[20:21], v22, off
	v_mov_b32_e32 v20, s15
	v_add_co_u32_e64 v18, s[2:3], s14, v18
	v_add_f32_e32 v17, v11, v17
	v_addc_co_u32_e64 v19, s[2:3], v20, v19, s[2:3]
	v_cndmask_b32_e32 v11, v11, v17, vcc
	global_store_dword v[18:19], v15, off
	s_or_b64 exec, exec, s[20:21]
	s_add_i32 s25, s25, 1
	s_cmp_ge_i32 s25, s8
	s_cbranch_scc1 .LBB216_9
.LBB216_17:                             ;   in Loop: Header=BB216_10 Depth=1
	v_ashrrev_i32_e32 v18, 31, v16
	v_lshrrev_b32_e32 v17, 30, v18
	v_add_u32_e32 v19, v16, v17
	v_ashrrev_i32_e32 v17, 2, v19
	v_lshrrev_b32_e32 v19, 31, v19
	v_add_u32_e32 v19, v17, v19
	v_and_b32_e32 v19, -2, v19
	v_sub_u32_e32 v19, v17, v19
	v_cmp_eq_u32_e64 s[2:3], v9, v19
	s_and_saveexec_b64 s[4:5], s[2:3]
	s_cbranch_execz .LBB216_8
; %bb.18:                               ;   in Loop: Header=BB216_10 Depth=1
	v_lshrrev_b32_e32 v18, 29, v18
	v_add_u32_e32 v18, v16, v18
	v_lshlrev_b32_e32 v17, 2, v17
	v_ashrrev_i32_e32 v18, 3, v18
	v_sub_u32_e32 v16, v16, v17
	v_lshl_add_u32 v16, v18, 2, v16
	v_cmp_ne_u32_e64 s[2:3], 3, v16
	v_cndmask_b32_e64 v7, v14, v7, s[2:3]
	v_cmp_ne_u32_e64 s[2:3], 2, v16
	v_cndmask_b32_e64 v6, v14, v6, s[2:3]
	;; [unrolled: 2-line block ×4, first 2 shown]
	s_branch .LBB216_8
.LBB216_19:
                                        ; implicit-def: $vgpr4_vgpr5_vgpr6_vgpr7
	s_andn2_b64 vcc, exec, s[8:9]
	s_cbranch_vccz .LBB216_5
	s_branch .LBB216_6
.LBB216_20:
	v_mov_b32_e32 v11, 0
.LBB216_21:
	v_cmp_eq_u32_e64 s[0:1], 0, v9
	s_and_b64 s[0:1], s[0:1], vcc
	s_and_b64 exec, exec, s[0:1]
	s_cbranch_execz .LBB216_30
; %bb.22:
	s_andn2_b64 vcc, exec, s[6:7]
	s_cbranch_vccnz .LBB216_30
; %bb.23:
	v_cmp_lt_f32_e32 vcc, 0, v11
	s_mov_b32 s2, 0
	v_cndmask_b32_e32 v0, 1.0, v11, vcc
	v_mul_lo_u32 v4, v8, s8
	s_cmp_eq_u32 s8, 1
	s_mov_b64 s[0:1], -1
	s_cbranch_scc1 .LBB216_27
; %bb.24:
	s_and_b32 s2, s8, 0x7ffffffe
	v_mov_b32_e32 v1, v0
	v_mov_b32_e32 v5, s17
	s_mov_b32 s3, s2
	v_mov_b32_e32 v2, v4
.LBB216_25:                             ; =>This Inner Loop Header: Depth=1
	v_ashrrev_i32_e32 v3, 31, v2
	v_lshlrev_b64 v[6:7], 2, v[2:3]
	v_add_co_u32_e32 v6, vcc, s16, v6
	v_addc_co_u32_e32 v7, vcc, v5, v7, vcc
	global_load_dwordx2 v[8:9], v[6:7], off
	s_add_i32 s3, s3, -2
	s_cmp_lg_u32 s3, 0
	v_add_u32_e32 v2, 2, v2
	s_waitcnt vmcnt(0)
	v_div_scale_f32 v3, s[0:1], v1, v1, v9
	v_div_scale_f32 v11, s[0:1], v0, v0, v8
	v_rcp_f32_e32 v12, v3
	v_rcp_f32_e32 v13, v11
	v_div_scale_f32 v10, vcc, v9, v1, v9
	v_fma_f32 v15, -v3, v12, 1.0
	v_fma_f32 v16, -v11, v13, 1.0
	v_fmac_f32_e32 v12, v15, v12
	v_div_scale_f32 v14, s[0:1], v8, v0, v8
	v_fmac_f32_e32 v13, v16, v13
	v_mul_f32_e32 v15, v10, v12
	v_mul_f32_e32 v16, v14, v13
	v_fma_f32 v17, -v3, v15, v10
	v_fma_f32 v18, -v11, v16, v14
	v_fmac_f32_e32 v15, v17, v12
	v_fmac_f32_e32 v16, v18, v13
	v_fma_f32 v3, -v3, v15, v10
	v_fma_f32 v10, -v11, v16, v14
	v_div_fmas_f32 v3, v3, v12, v15
	s_mov_b64 vcc, s[0:1]
	v_div_fixup_f32 v9, v3, v1, v9
	v_div_fmas_f32 v3, v10, v13, v16
	v_div_fixup_f32 v8, v3, v0, v8
	global_store_dwordx2 v[6:7], v[8:9], off
	s_cbranch_scc1 .LBB216_25
; %bb.26:
	s_cmp_lg_u32 s2, s8
	s_cselect_b64 s[0:1], -1, 0
.LBB216_27:
	s_and_b64 vcc, exec, s[0:1]
	s_cbranch_vccz .LBB216_30
; %bb.28:
	v_ashrrev_i32_e32 v1, 31, v4
	v_add_co_u32_e32 v2, vcc, s2, v4
	v_addc_co_u32_e32 v3, vcc, 0, v1, vcc
	v_lshlrev_b64 v[2:3], 2, v[2:3]
	v_mov_b32_e32 v1, s17
	v_add_co_u32_e32 v2, vcc, s16, v2
	s_sub_i32 s0, s8, s2
	v_addc_co_u32_e32 v3, vcc, v1, v3, vcc
.LBB216_29:                             ; =>This Inner Loop Header: Depth=1
	global_load_dword v1, v[2:3], off
	s_add_i32 s0, s0, -1
	s_cmp_lg_u32 s0, 0
	s_waitcnt vmcnt(0)
	v_div_scale_f32 v4, s[2:3], v0, v0, v1
	v_rcp_f32_e32 v5, v4
	v_div_scale_f32 v6, vcc, v1, v0, v1
	v_fma_f32 v7, -v4, v5, 1.0
	v_fmac_f32_e32 v5, v7, v5
	v_mul_f32_e32 v7, v6, v5
	v_fma_f32 v8, -v4, v7, v6
	v_fmac_f32_e32 v7, v8, v5
	v_fma_f32 v4, -v4, v7, v6
	v_div_fmas_f32 v4, v4, v5, v7
	v_div_fixup_f32 v1, v4, v0, v1
	global_store_dword v[2:3], v1, off
	v_add_co_u32_e32 v2, vcc, 4, v2
	v_addc_co_u32_e32 v3, vcc, 0, v3, vcc
	s_cbranch_scc1 .LBB216_29
.LBB216_30:
	s_endpgm
	.section	.rodata,"a",@progbits
	.p2align	6, 0x0
	.amdhsa_kernel _ZN4vllm3moe10topkGatingILi4ELi8ELi4ELi16ELi32EjfLNS0_11ScoringFuncE1EEEvPKT5_PKbPfiPT4_PiiiibPKf
		.amdhsa_group_segment_fixed_size 0
		.amdhsa_private_segment_fixed_size 0
		.amdhsa_kernarg_size 72
		.amdhsa_user_sgpr_count 6
		.amdhsa_user_sgpr_private_segment_buffer 1
		.amdhsa_user_sgpr_dispatch_ptr 0
		.amdhsa_user_sgpr_queue_ptr 0
		.amdhsa_user_sgpr_kernarg_segment_ptr 1
		.amdhsa_user_sgpr_dispatch_id 0
		.amdhsa_user_sgpr_flat_scratch_init 0
		.amdhsa_user_sgpr_kernarg_preload_length 0
		.amdhsa_user_sgpr_kernarg_preload_offset 0
		.amdhsa_user_sgpr_private_segment_size 0
		.amdhsa_uses_dynamic_stack 0
		.amdhsa_system_sgpr_private_segment_wavefront_offset 0
		.amdhsa_system_sgpr_workgroup_id_x 1
		.amdhsa_system_sgpr_workgroup_id_y 0
		.amdhsa_system_sgpr_workgroup_id_z 0
		.amdhsa_system_sgpr_workgroup_info 0
		.amdhsa_system_vgpr_workitem_id 1
		.amdhsa_next_free_vgpr 28
		.amdhsa_next_free_sgpr 26
		.amdhsa_accum_offset 28
		.amdhsa_reserve_vcc 1
		.amdhsa_reserve_flat_scratch 0
		.amdhsa_float_round_mode_32 0
		.amdhsa_float_round_mode_16_64 0
		.amdhsa_float_denorm_mode_32 3
		.amdhsa_float_denorm_mode_16_64 3
		.amdhsa_dx10_clamp 1
		.amdhsa_ieee_mode 1
		.amdhsa_fp16_overflow 0
		.amdhsa_tg_split 0
		.amdhsa_exception_fp_ieee_invalid_op 0
		.amdhsa_exception_fp_denorm_src 0
		.amdhsa_exception_fp_ieee_div_zero 0
		.amdhsa_exception_fp_ieee_overflow 0
		.amdhsa_exception_fp_ieee_underflow 0
		.amdhsa_exception_fp_ieee_inexact 0
		.amdhsa_exception_int_div_zero 0
	.end_amdhsa_kernel
	.section	.text._ZN4vllm3moe10topkGatingILi4ELi8ELi4ELi16ELi32EjfLNS0_11ScoringFuncE1EEEvPKT5_PKbPfiPT4_PiiiibPKf,"axG",@progbits,_ZN4vllm3moe10topkGatingILi4ELi8ELi4ELi16ELi32EjfLNS0_11ScoringFuncE1EEEvPKT5_PKbPfiPT4_PiiiibPKf,comdat
.Lfunc_end216:
	.size	_ZN4vllm3moe10topkGatingILi4ELi8ELi4ELi16ELi32EjfLNS0_11ScoringFuncE1EEEvPKT5_PKbPfiPT4_PiiiibPKf, .Lfunc_end216-_ZN4vllm3moe10topkGatingILi4ELi8ELi4ELi16ELi32EjfLNS0_11ScoringFuncE1EEEvPKT5_PKbPfiPT4_PiiiibPKf
                                        ; -- End function
	.section	.AMDGPU.csdata,"",@progbits
; Kernel info:
; codeLenInByte = 1880
; NumSgprs: 30
; NumVgprs: 28
; NumAgprs: 0
; TotalNumVgprs: 28
; ScratchSize: 0
; MemoryBound: 0
; FloatMode: 240
; IeeeMode: 1
; LDSByteSize: 0 bytes/workgroup (compile time only)
; SGPRBlocks: 3
; VGPRBlocks: 3
; NumSGPRsForWavesPerEU: 30
; NumVGPRsForWavesPerEU: 28
; AccumOffset: 28
; Occupancy: 8
; WaveLimiterHint : 0
; COMPUTE_PGM_RSRC2:SCRATCH_EN: 0
; COMPUTE_PGM_RSRC2:USER_SGPR: 6
; COMPUTE_PGM_RSRC2:TRAP_HANDLER: 0
; COMPUTE_PGM_RSRC2:TGID_X_EN: 1
; COMPUTE_PGM_RSRC2:TGID_Y_EN: 0
; COMPUTE_PGM_RSRC2:TGID_Z_EN: 0
; COMPUTE_PGM_RSRC2:TIDIG_COMP_CNT: 1
; COMPUTE_PGM_RSRC3_GFX90A:ACCUM_OFFSET: 6
; COMPUTE_PGM_RSRC3_GFX90A:TG_SPLIT: 0
	.section	.text._ZN4vllm3moe10topkGatingILi4ELi16ELi4ELi16ELi64EjfLNS0_11ScoringFuncE1EEEvPKT5_PKbPfiPT4_PiiiibPKf,"axG",@progbits,_ZN4vllm3moe10topkGatingILi4ELi16ELi4ELi16ELi64EjfLNS0_11ScoringFuncE1EEEvPKT5_PKbPfiPT4_PiiiibPKf,comdat
	.protected	_ZN4vllm3moe10topkGatingILi4ELi16ELi4ELi16ELi64EjfLNS0_11ScoringFuncE1EEEvPKT5_PKbPfiPT4_PiiiibPKf ; -- Begin function _ZN4vllm3moe10topkGatingILi4ELi16ELi4ELi16ELi64EjfLNS0_11ScoringFuncE1EEEvPKT5_PKbPfiPT4_PiiiibPKf
	.globl	_ZN4vllm3moe10topkGatingILi4ELi16ELi4ELi16ELi64EjfLNS0_11ScoringFuncE1EEEvPKT5_PKbPfiPT4_PiiiibPKf
	.p2align	8
	.type	_ZN4vllm3moe10topkGatingILi4ELi16ELi4ELi16ELi64EjfLNS0_11ScoringFuncE1EEEvPKT5_PKbPfiPT4_PiiiibPKf,@function
_ZN4vllm3moe10topkGatingILi4ELi16ELi4ELi16ELi64EjfLNS0_11ScoringFuncE1EEEvPKT5_PKbPfiPT4_PiiiibPKf: ; @_ZN4vllm3moe10topkGatingILi4ELi16ELi4ELi16ELi64EjfLNS0_11ScoringFuncE1EEEvPKT5_PKbPfiPT4_PiiiibPKf
; %bb.0:
	s_load_dword s24, s[4:5], 0x18
	v_bfe_u32 v1, v0, 10, 10
	v_and_b32_e32 v0, 0x3ff, v0
	s_lshl_b32 s0, s6, 6
	v_lshlrev_b32_e32 v1, 4, v1
	v_lshrrev_b32_e32 v2, 2, v0
	v_add3_u32 v8, s0, v1, v2
	s_waitcnt lgkmcnt(0)
	v_cmp_gt_i32_e32 vcc, s24, v8
	s_and_saveexec_b64 s[0:1], vcc
	s_cbranch_execz .LBB217_34
; %bb.1:
	s_load_dwordx4 s[0:3], s[4:5], 0x0
	s_load_dwordx2 s[16:17], s[4:5], 0x10
	s_mov_b64 s[8:9], -1
	s_mov_b64 s[18:19], -1
	s_waitcnt lgkmcnt(0)
	s_cmp_eq_u64 s[2:3], 0
	s_cbranch_scc1 .LBB217_3
; %bb.2:
	v_ashrrev_i32_e32 v1, 31, v8
	v_mov_b32_e32 v3, s3
	v_add_co_u32_e32 v2, vcc, s2, v8
	v_addc_co_u32_e32 v3, vcc, v3, v1, vcc
	global_load_ubyte v1, v[2:3], off
	s_waitcnt vmcnt(0)
	v_and_b32_e32 v1, 1, v1
	v_cmp_eq_u32_e32 vcc, 1, v1
	s_xor_b64 s[2:3], vcc, -1
	s_orn2_b64 s[18:19], s[2:3], exec
.LBB217_3:
	v_lshlrev_b32_e32 v2, 4, v8
	v_ashrrev_i32_e32 v3, 31, v2
	v_lshlrev_b64 v[2:3], 2, v[2:3]
	v_mov_b32_e32 v1, s1
	v_add_co_u32_e32 v2, vcc, s0, v2
	v_and_b32_e32 v9, 3, v0
	v_addc_co_u32_e32 v1, vcc, v1, v3, vcc
	v_lshlrev_b32_e32 v0, 4, v9
	v_add_co_u32_e32 v0, vcc, v2, v0
	v_addc_co_u32_e32 v1, vcc, 0, v1, vcc
	global_load_dwordx4 v[0:3], v[0:1], off
	v_mov_b32_e32 v4, 0x207
	s_load_dwordx2 s[10:11], s[4:5], 0x40
	v_lshlrev_b32_e32 v10, 2, v9
	s_waitcnt lgkmcnt(0)
	s_cmp_eq_u64 s[10:11], 0
	s_waitcnt vmcnt(0)
	v_mul_f32_e32 v0, 0xbfb8aa3b, v0
	v_mul_f32_e32 v1, 0xbfb8aa3b, v1
	v_exp_f32_e32 v0, v0
	v_exp_f32_e32 v1, v1
	v_mul_f32_e32 v2, 0xbfb8aa3b, v2
	v_mul_f32_e32 v3, 0xbfb8aa3b, v3
	v_exp_f32_e32 v2, v2
	v_exp_f32_e32 v3, v3
	v_pk_add_f32 v[0:1], v[0:1], 1.0 op_sel_hi:[1,0]
	v_div_scale_f32 v5, s[0:1], v1, v1, 1.0
	v_rcp_f32_e32 v16, v5
	v_div_scale_f32 v7, s[0:1], v0, v0, 1.0
	v_pk_add_f32 v[2:3], v[2:3], 1.0 op_sel_hi:[1,0]
	v_rcp_f32_e32 v17, v7
	v_div_scale_f32 v12, s[2:3], v3, v3, 1.0
	v_rcp_f32_e32 v18, v12
	v_fma_f32 v20, -v5, v16, 1.0
	v_div_scale_f32 v6, vcc, 1.0, v1, 1.0
	v_div_scale_f32 v14, s[6:7], v2, v2, 1.0
	v_fmac_f32_e32 v16, v20, v16
	v_rcp_f32_e32 v19, v14
	v_fma_f32 v21, -v7, v17, 1.0
	v_mul_f32_e32 v20, v6, v16
	v_div_scale_f32 v11, s[0:1], 1.0, v0, 1.0
	v_fmac_f32_e32 v17, v21, v17
	v_fma_f32 v24, -v5, v20, v6
	v_fma_f32 v22, -v12, v18, 1.0
	v_mul_f32_e32 v21, v11, v17
	v_fmac_f32_e32 v20, v24, v16
	v_div_scale_f32 v13, s[2:3], 1.0, v3, 1.0
	v_fmac_f32_e32 v18, v22, v18
	v_fma_f32 v25, -v7, v21, v11
	v_fma_f32 v5, -v5, v20, v6
	v_fma_f32 v23, -v14, v19, 1.0
	v_mul_f32_e32 v22, v13, v18
	v_fmac_f32_e32 v21, v25, v17
	v_div_fmas_f32 v5, v5, v16, v20
	v_div_scale_f32 v15, s[6:7], 1.0, v2, 1.0
	v_fmac_f32_e32 v19, v23, v19
	v_fma_f32 v26, -v12, v22, v13
	v_fma_f32 v6, -v7, v21, v11
	v_div_fixup_f32 v1, v5, v1, 1.0
	s_mov_b64 vcc, s[0:1]
	v_mul_f32_e32 v23, v15, v19
	v_fmac_f32_e32 v22, v26, v18
	v_div_fmas_f32 v5, v6, v17, v21
	v_cmp_class_f32_e32 vcc, v1, v4
	v_fma_f32 v27, -v14, v23, v15
	v_fma_f32 v7, -v12, v22, v13
	v_div_fixup_f32 v0, v5, v0, 1.0
	v_cndmask_b32_e64 v1, v1, 0, vcc
	s_mov_b64 vcc, s[2:3]
	v_fmac_f32_e32 v23, v27, v19
	v_div_fmas_f32 v5, v7, v18, v22
	v_cmp_class_f32_e32 vcc, v0, v4
	v_fma_f32 v11, -v14, v23, v15
	v_cndmask_b32_e64 v0, v0, 0, vcc
	s_mov_b64 vcc, s[6:7]
	v_div_fixup_f32 v3, v5, v3, 1.0
	v_div_fmas_f32 v5, v11, v19, v23
	v_div_fixup_f32 v2, v5, v2, 1.0
	v_cmp_class_f32_e32 vcc, v3, v4
	v_cndmask_b32_e64 v3, v3, 0, vcc
	v_cmp_class_f32_e32 vcc, v2, v4
	v_cndmask_b32_e64 v2, v2, 0, vcc
	s_cbranch_scc1 .LBB217_23
; %bb.4:
	v_lshlrev_b32_e32 v4, 2, v10
	global_load_dwordx4 v[4:7], v4, s[10:11]
	s_waitcnt vmcnt(0)
	v_pk_add_f32 v[4:5], v[4:5], v[0:1]
	v_pk_add_f32 v[6:7], v[6:7], v[2:3]
	s_cbranch_execnz .LBB217_6
.LBB217_5:
	v_pk_mov_b32 v[6:7], v[2:3], v[2:3] op_sel:[0,1]
	v_pk_mov_b32 v[4:5], v[0:1], v[0:1] op_sel:[0,1]
.LBB217_6:
	s_load_dwordx4 s[8:11], s[4:5], 0x30
	s_mov_b32 s25, 0
	v_cmp_eq_u32_e64 s[0:1], 0, v9
	s_waitcnt lgkmcnt(0)
	s_bitcmp1_b32 s11, 0
	s_cselect_b64 vcc, -1, 0
	s_cmp_gt_i32 s8, 0
	s_cselect_b64 s[6:7], -1, 0
	s_cmp_lt_i32 s8, 1
	s_cbranch_scc1 .LBB217_24
; %bb.7:
	v_mbcnt_lo_u32_b32 v11, -1, 0
	v_mbcnt_hi_u32_b32 v11, -1, v11
	v_and_b32_e32 v12, 0x7c, v11
	s_load_dwordx4 s[12:15], s[4:5], 0x20
	v_add_u32_e32 v14, 4, v12
	v_xor_b32_e32 v13, 2, v11
	v_cmp_lt_i32_e64 s[2:3], v13, v14
	v_xor_b32_e32 v15, 1, v11
	v_cndmask_b32_e64 v13, v11, v13, s[2:3]
	v_cmp_lt_i32_e64 s[2:3], v15, v14
	v_cndmask_b32_e64 v11, v11, v15, s[2:3]
	v_mul_lo_u32 v12, v8, s8
	v_lshlrev_b32_e32 v13, 2, v13
	v_lshlrev_b32_e32 v14, 2, v11
	v_mov_b32_e32 v11, 0
	v_mov_b32_e32 v15, 0xc61c4000
	;; [unrolled: 1-line block ×3, first 2 shown]
	s_branch .LBB217_10
.LBB217_8:                              ;   in Loop: Header=BB217_10 Depth=1
	s_or_b64 exec, exec, s[4:5]
.LBB217_9:                              ;   in Loop: Header=BB217_10 Depth=1
	s_cmp_eq_u32 s8, s25
	v_add_u32_e32 v16, s24, v16
	s_cbranch_scc1 .LBB217_25
.LBB217_10:                             ; =>This Inner Loop Header: Depth=1
	v_cmp_gt_f32_e64 s[2:3], v5, v4
	v_cndmask_b32_e64 v19, v4, v5, s[2:3]
	v_cndmask_b32_e64 v17, 0, 1, s[2:3]
	;; [unrolled: 1-line block ×3, first 2 shown]
	v_cmp_gt_f32_e64 s[2:3], v6, v19
	v_cndmask_b32_e64 v19, v19, v6, s[2:3]
	v_cndmask_b32_e64 v17, v17, 2, s[2:3]
	;; [unrolled: 1-line block ×3, first 2 shown]
	v_cmp_gt_f32_e64 s[2:3], v7, v19
	v_cndmask_b32_e64 v17, v17, 3, s[2:3]
	v_cndmask_b32_e64 v19, v19, v7, s[2:3]
	v_or_b32_e32 v17, v10, v17
	v_cndmask_b32_e64 v18, v18, v3, s[2:3]
	s_waitcnt lgkmcnt(0)
	ds_bpermute_b32 v20, v13, v19
	ds_bpermute_b32 v22, v13, v18
	;; [unrolled: 1-line block ×3, first 2 shown]
	s_waitcnt lgkmcnt(0)
	v_cmp_lt_f32_e64 s[20:21], v19, v20
	v_cmp_nlt_f32_e64 s[2:3], v19, v20
	s_and_saveexec_b64 s[22:23], s[2:3]
; %bb.11:                               ;   in Loop: Header=BB217_10 Depth=1
	v_cmp_eq_f32_e64 s[2:3], v19, v20
	v_cmp_lt_i32_e64 s[4:5], v21, v17
	s_and_b64 s[2:3], s[2:3], s[4:5]
	s_andn2_b64 s[4:5], s[20:21], exec
	s_and_b64 s[2:3], s[2:3], exec
	s_or_b64 s[20:21], s[4:5], s[2:3]
; %bb.12:                               ;   in Loop: Header=BB217_10 Depth=1
	s_or_b64 exec, exec, s[22:23]
	s_and_saveexec_b64 s[2:3], s[20:21]
; %bb.13:                               ;   in Loop: Header=BB217_10 Depth=1
	v_mov_b32_e32 v18, v22
	v_mov_b32_e32 v19, v20
	;; [unrolled: 1-line block ×3, first 2 shown]
; %bb.14:                               ;   in Loop: Header=BB217_10 Depth=1
	s_or_b64 exec, exec, s[2:3]
	ds_bpermute_b32 v22, v14, v19
	ds_bpermute_b32 v20, v14, v18
	;; [unrolled: 1-line block ×3, first 2 shown]
	s_waitcnt lgkmcnt(2)
	v_cmp_lt_f32_e64 s[20:21], v19, v22
	v_cmp_nlt_f32_e64 s[2:3], v19, v22
	s_and_saveexec_b64 s[22:23], s[2:3]
	s_cbranch_execnz .LBB217_18
; %bb.15:                               ;   in Loop: Header=BB217_10 Depth=1
	s_or_b64 exec, exec, s[22:23]
	s_and_saveexec_b64 s[2:3], s[20:21]
	s_cbranch_execnz .LBB217_19
.LBB217_16:                             ;   in Loop: Header=BB217_10 Depth=1
	s_or_b64 exec, exec, s[2:3]
	s_and_saveexec_b64 s[20:21], s[0:1]
	s_cbranch_execnz .LBB217_20
.LBB217_17:                             ;   in Loop: Header=BB217_10 Depth=1
	s_or_b64 exec, exec, s[20:21]
	s_add_i32 s25, s25, 1
	s_cmp_ge_i32 s25, s8
	s_cbranch_scc1 .LBB217_9
	s_branch .LBB217_21
.LBB217_18:                             ;   in Loop: Header=BB217_10 Depth=1
	v_cmp_eq_f32_e64 s[2:3], v19, v22
	s_waitcnt lgkmcnt(0)
	v_cmp_lt_i32_e64 s[4:5], v21, v17
	s_and_b64 s[2:3], s[2:3], s[4:5]
	s_andn2_b64 s[4:5], s[20:21], exec
	s_and_b64 s[2:3], s[2:3], exec
	s_or_b64 s[20:21], s[4:5], s[2:3]
	s_or_b64 exec, exec, s[22:23]
	s_and_saveexec_b64 s[2:3], s[20:21]
	s_cbranch_execz .LBB217_16
.LBB217_19:                             ;   in Loop: Header=BB217_10 Depth=1
	s_waitcnt lgkmcnt(0)
	v_mov_b32_e32 v17, v21
	v_mov_b32_e32 v18, v20
	s_or_b64 exec, exec, s[2:3]
	s_and_saveexec_b64 s[20:21], s[0:1]
	s_cbranch_execz .LBB217_17
.LBB217_20:                             ;   in Loop: Header=BB217_10 Depth=1
	s_waitcnt lgkmcnt(1)
	v_add_u32_e32 v20, s25, v12
	s_waitcnt lgkmcnt(0)
	v_ashrrev_i32_e32 v21, 31, v20
	v_cmp_le_i32_e64 s[2:3], s9, v17
	v_cmp_gt_i32_e64 s[4:5], s10, v17
	v_lshlrev_b64 v[20:21], 2, v[20:21]
	s_and_b64 s[4:5], s[2:3], s[4:5]
	v_mov_b32_e32 v19, s17
	v_add_co_u32_e64 v22, s[2:3], s16, v20
	v_addc_co_u32_e64 v23, s[2:3], v19, v21, s[2:3]
	v_subrev_u32_e32 v19, s9, v17
	s_and_b64 s[2:3], s[18:19], s[4:5]
	global_store_dword v[22:23], v18, off
	v_cndmask_b32_e64 v19, 16, v19, s[2:3]
	v_mov_b32_e32 v23, s13
	v_add_co_u32_e64 v22, s[2:3], s12, v20
	v_addc_co_u32_e64 v23, s[2:3], v23, v21, s[2:3]
	global_store_dword v[22:23], v19, off
	v_mov_b32_e32 v19, s15
	v_add_co_u32_e64 v20, s[2:3], s14, v20
	v_add_f32_e32 v18, v11, v18
	v_addc_co_u32_e64 v21, s[2:3], v19, v21, s[2:3]
	v_cndmask_b32_e32 v11, v11, v18, vcc
	global_store_dword v[20:21], v16, off
	s_or_b64 exec, exec, s[20:21]
	s_add_i32 s25, s25, 1
	s_cmp_ge_i32 s25, s8
	s_cbranch_scc1 .LBB217_9
.LBB217_21:                             ;   in Loop: Header=BB217_10 Depth=1
	v_ashrrev_i32_e32 v19, 31, v17
	v_lshrrev_b32_e32 v18, 30, v19
	v_add_u32_e32 v18, v17, v18
	v_ashrrev_i32_e32 v18, 2, v18
	s_waitcnt lgkmcnt(1)
	v_lshrrev_b32_e32 v20, 30, v18
	v_add_u32_e32 v20, v18, v20
	v_and_b32_e32 v20, -4, v20
	v_sub_u32_e32 v20, v18, v20
	v_cmp_eq_u32_e64 s[2:3], v9, v20
	s_and_saveexec_b64 s[4:5], s[2:3]
	s_cbranch_execz .LBB217_8
; %bb.22:                               ;   in Loop: Header=BB217_10 Depth=1
	v_lshrrev_b32_e32 v19, 28, v19
	v_add_u32_e32 v19, v17, v19
	v_lshlrev_b32_e32 v18, 2, v18
	v_ashrrev_i32_e32 v19, 4, v19
	v_sub_u32_e32 v17, v17, v18
	v_lshl_add_u32 v17, v19, 2, v17
	v_cmp_ne_u32_e64 s[2:3], 3, v17
	v_cndmask_b32_e64 v7, v15, v7, s[2:3]
	v_cmp_ne_u32_e64 s[2:3], 2, v17
	v_cndmask_b32_e64 v6, v15, v6, s[2:3]
	;; [unrolled: 2-line block ×4, first 2 shown]
	s_branch .LBB217_8
.LBB217_23:
                                        ; implicit-def: $vgpr4_vgpr5_vgpr6_vgpr7
	s_andn2_b64 vcc, exec, s[8:9]
	s_cbranch_vccz .LBB217_5
	s_branch .LBB217_6
.LBB217_24:
	v_mov_b32_e32 v11, 0
.LBB217_25:
	v_cmp_eq_u32_e64 s[0:1], 0, v9
	s_and_b64 s[0:1], s[0:1], vcc
	s_and_b64 exec, exec, s[0:1]
	s_cbranch_execz .LBB217_34
; %bb.26:
	s_andn2_b64 vcc, exec, s[6:7]
	s_cbranch_vccnz .LBB217_34
; %bb.27:
	v_cmp_lt_f32_e32 vcc, 0, v11
	s_mov_b32 s2, 0
	v_cndmask_b32_e32 v0, 1.0, v11, vcc
	v_mul_lo_u32 v4, v8, s8
	s_cmp_eq_u32 s8, 1
	s_mov_b64 s[0:1], -1
	s_cbranch_scc1 .LBB217_31
; %bb.28:
	s_and_b32 s2, s8, 0x7ffffffe
	v_mov_b32_e32 v1, v0
	v_mov_b32_e32 v5, s17
	s_mov_b32 s3, s2
	v_mov_b32_e32 v2, v4
.LBB217_29:                             ; =>This Inner Loop Header: Depth=1
	v_ashrrev_i32_e32 v3, 31, v2
	v_lshlrev_b64 v[6:7], 2, v[2:3]
	v_add_co_u32_e32 v6, vcc, s16, v6
	v_addc_co_u32_e32 v7, vcc, v5, v7, vcc
	global_load_dwordx2 v[8:9], v[6:7], off
	s_add_i32 s3, s3, -2
	s_cmp_lg_u32 s3, 0
	v_add_u32_e32 v2, 2, v2
	s_waitcnt vmcnt(0)
	v_div_scale_f32 v3, s[0:1], v1, v1, v9
	v_div_scale_f32 v11, s[0:1], v0, v0, v8
	v_rcp_f32_e32 v12, v3
	v_rcp_f32_e32 v13, v11
	v_div_scale_f32 v10, vcc, v9, v1, v9
	v_fma_f32 v15, -v3, v12, 1.0
	v_fma_f32 v16, -v11, v13, 1.0
	v_fmac_f32_e32 v12, v15, v12
	v_div_scale_f32 v14, s[0:1], v8, v0, v8
	v_fmac_f32_e32 v13, v16, v13
	v_mul_f32_e32 v15, v10, v12
	v_mul_f32_e32 v16, v14, v13
	v_fma_f32 v17, -v3, v15, v10
	v_fma_f32 v18, -v11, v16, v14
	v_fmac_f32_e32 v15, v17, v12
	v_fmac_f32_e32 v16, v18, v13
	v_fma_f32 v3, -v3, v15, v10
	v_fma_f32 v10, -v11, v16, v14
	v_div_fmas_f32 v3, v3, v12, v15
	s_mov_b64 vcc, s[0:1]
	v_div_fixup_f32 v9, v3, v1, v9
	v_div_fmas_f32 v3, v10, v13, v16
	v_div_fixup_f32 v8, v3, v0, v8
	global_store_dwordx2 v[6:7], v[8:9], off
	s_cbranch_scc1 .LBB217_29
; %bb.30:
	s_cmp_lg_u32 s2, s8
	s_cselect_b64 s[0:1], -1, 0
.LBB217_31:
	s_and_b64 vcc, exec, s[0:1]
	s_cbranch_vccz .LBB217_34
; %bb.32:
	v_ashrrev_i32_e32 v1, 31, v4
	v_add_co_u32_e32 v2, vcc, s2, v4
	v_addc_co_u32_e32 v3, vcc, 0, v1, vcc
	v_lshlrev_b64 v[2:3], 2, v[2:3]
	v_mov_b32_e32 v1, s17
	v_add_co_u32_e32 v2, vcc, s16, v2
	s_sub_i32 s0, s8, s2
	v_addc_co_u32_e32 v3, vcc, v1, v3, vcc
.LBB217_33:                             ; =>This Inner Loop Header: Depth=1
	global_load_dword v1, v[2:3], off
	s_add_i32 s0, s0, -1
	s_cmp_lg_u32 s0, 0
	s_waitcnt vmcnt(0)
	v_div_scale_f32 v4, s[2:3], v0, v0, v1
	v_rcp_f32_e32 v5, v4
	v_div_scale_f32 v6, vcc, v1, v0, v1
	v_fma_f32 v7, -v4, v5, 1.0
	v_fmac_f32_e32 v5, v7, v5
	v_mul_f32_e32 v7, v6, v5
	v_fma_f32 v8, -v4, v7, v6
	v_fmac_f32_e32 v7, v8, v5
	v_fma_f32 v4, -v4, v7, v6
	v_div_fmas_f32 v4, v4, v5, v7
	v_div_fixup_f32 v1, v4, v0, v1
	global_store_dword v[2:3], v1, off
	v_add_co_u32_e32 v2, vcc, 4, v2
	v_addc_co_u32_e32 v3, vcc, 0, v3, vcc
	s_cbranch_scc1 .LBB217_33
.LBB217_34:
	s_endpgm
	.section	.rodata,"a",@progbits
	.p2align	6, 0x0
	.amdhsa_kernel _ZN4vllm3moe10topkGatingILi4ELi16ELi4ELi16ELi64EjfLNS0_11ScoringFuncE1EEEvPKT5_PKbPfiPT4_PiiiibPKf
		.amdhsa_group_segment_fixed_size 0
		.amdhsa_private_segment_fixed_size 0
		.amdhsa_kernarg_size 72
		.amdhsa_user_sgpr_count 6
		.amdhsa_user_sgpr_private_segment_buffer 1
		.amdhsa_user_sgpr_dispatch_ptr 0
		.amdhsa_user_sgpr_queue_ptr 0
		.amdhsa_user_sgpr_kernarg_segment_ptr 1
		.amdhsa_user_sgpr_dispatch_id 0
		.amdhsa_user_sgpr_flat_scratch_init 0
		.amdhsa_user_sgpr_kernarg_preload_length 0
		.amdhsa_user_sgpr_kernarg_preload_offset 0
		.amdhsa_user_sgpr_private_segment_size 0
		.amdhsa_uses_dynamic_stack 0
		.amdhsa_system_sgpr_private_segment_wavefront_offset 0
		.amdhsa_system_sgpr_workgroup_id_x 1
		.amdhsa_system_sgpr_workgroup_id_y 0
		.amdhsa_system_sgpr_workgroup_id_z 0
		.amdhsa_system_sgpr_workgroup_info 0
		.amdhsa_system_vgpr_workitem_id 1
		.amdhsa_next_free_vgpr 28
		.amdhsa_next_free_sgpr 26
		.amdhsa_accum_offset 28
		.amdhsa_reserve_vcc 1
		.amdhsa_reserve_flat_scratch 0
		.amdhsa_float_round_mode_32 0
		.amdhsa_float_round_mode_16_64 0
		.amdhsa_float_denorm_mode_32 3
		.amdhsa_float_denorm_mode_16_64 3
		.amdhsa_dx10_clamp 1
		.amdhsa_ieee_mode 1
		.amdhsa_fp16_overflow 0
		.amdhsa_tg_split 0
		.amdhsa_exception_fp_ieee_invalid_op 0
		.amdhsa_exception_fp_denorm_src 0
		.amdhsa_exception_fp_ieee_div_zero 0
		.amdhsa_exception_fp_ieee_overflow 0
		.amdhsa_exception_fp_ieee_underflow 0
		.amdhsa_exception_fp_ieee_inexact 0
		.amdhsa_exception_int_div_zero 0
	.end_amdhsa_kernel
	.section	.text._ZN4vllm3moe10topkGatingILi4ELi16ELi4ELi16ELi64EjfLNS0_11ScoringFuncE1EEEvPKT5_PKbPfiPT4_PiiiibPKf,"axG",@progbits,_ZN4vllm3moe10topkGatingILi4ELi16ELi4ELi16ELi64EjfLNS0_11ScoringFuncE1EEEvPKT5_PKbPfiPT4_PiiiibPKf,comdat
.Lfunc_end217:
	.size	_ZN4vllm3moe10topkGatingILi4ELi16ELi4ELi16ELi64EjfLNS0_11ScoringFuncE1EEEvPKT5_PKbPfiPT4_PiiiibPKf, .Lfunc_end217-_ZN4vllm3moe10topkGatingILi4ELi16ELi4ELi16ELi64EjfLNS0_11ScoringFuncE1EEEvPKT5_PKbPfiPT4_PiiiibPKf
                                        ; -- End function
	.section	.AMDGPU.csdata,"",@progbits
; Kernel info:
; codeLenInByte = 2032
; NumSgprs: 30
; NumVgprs: 28
; NumAgprs: 0
; TotalNumVgprs: 28
; ScratchSize: 0
; MemoryBound: 0
; FloatMode: 240
; IeeeMode: 1
; LDSByteSize: 0 bytes/workgroup (compile time only)
; SGPRBlocks: 3
; VGPRBlocks: 3
; NumSGPRsForWavesPerEU: 30
; NumVGPRsForWavesPerEU: 28
; AccumOffset: 28
; Occupancy: 8
; WaveLimiterHint : 0
; COMPUTE_PGM_RSRC2:SCRATCH_EN: 0
; COMPUTE_PGM_RSRC2:USER_SGPR: 6
; COMPUTE_PGM_RSRC2:TRAP_HANDLER: 0
; COMPUTE_PGM_RSRC2:TGID_X_EN: 1
; COMPUTE_PGM_RSRC2:TGID_Y_EN: 0
; COMPUTE_PGM_RSRC2:TGID_Z_EN: 0
; COMPUTE_PGM_RSRC2:TIDIG_COMP_CNT: 1
; COMPUTE_PGM_RSRC3_GFX90A:ACCUM_OFFSET: 6
; COMPUTE_PGM_RSRC3_GFX90A:TG_SPLIT: 0
	.section	.text._ZN4vllm3moe10topkGatingILi4ELi16ELi4ELi16ELi32EjfLNS0_11ScoringFuncE1EEEvPKT5_PKbPfiPT4_PiiiibPKf,"axG",@progbits,_ZN4vllm3moe10topkGatingILi4ELi16ELi4ELi16ELi32EjfLNS0_11ScoringFuncE1EEEvPKT5_PKbPfiPT4_PiiiibPKf,comdat
	.protected	_ZN4vllm3moe10topkGatingILi4ELi16ELi4ELi16ELi32EjfLNS0_11ScoringFuncE1EEEvPKT5_PKbPfiPT4_PiiiibPKf ; -- Begin function _ZN4vllm3moe10topkGatingILi4ELi16ELi4ELi16ELi32EjfLNS0_11ScoringFuncE1EEEvPKT5_PKbPfiPT4_PiiiibPKf
	.globl	_ZN4vllm3moe10topkGatingILi4ELi16ELi4ELi16ELi32EjfLNS0_11ScoringFuncE1EEEvPKT5_PKbPfiPT4_PiiiibPKf
	.p2align	8
	.type	_ZN4vllm3moe10topkGatingILi4ELi16ELi4ELi16ELi32EjfLNS0_11ScoringFuncE1EEEvPKT5_PKbPfiPT4_PiiiibPKf,@function
_ZN4vllm3moe10topkGatingILi4ELi16ELi4ELi16ELi32EjfLNS0_11ScoringFuncE1EEEvPKT5_PKbPfiPT4_PiiiibPKf: ; @_ZN4vllm3moe10topkGatingILi4ELi16ELi4ELi16ELi32EjfLNS0_11ScoringFuncE1EEEvPKT5_PKbPfiPT4_PiiiibPKf
; %bb.0:
	s_load_dword s24, s[4:5], 0x18
	v_bfe_u32 v1, v0, 10, 10
	v_and_b32_e32 v0, 0x3ff, v0
	s_lshl_b32 s0, s6, 5
	v_lshlrev_b32_e32 v1, 3, v1
	v_lshrrev_b32_e32 v2, 2, v0
	v_add3_u32 v8, s0, v1, v2
	s_waitcnt lgkmcnt(0)
	v_cmp_gt_i32_e32 vcc, s24, v8
	s_and_saveexec_b64 s[0:1], vcc
	s_cbranch_execz .LBB218_34
; %bb.1:
	s_load_dwordx4 s[0:3], s[4:5], 0x0
	s_load_dwordx2 s[16:17], s[4:5], 0x10
	s_mov_b64 s[8:9], -1
	s_mov_b64 s[18:19], -1
	s_waitcnt lgkmcnt(0)
	s_cmp_eq_u64 s[2:3], 0
	s_cbranch_scc1 .LBB218_3
; %bb.2:
	v_ashrrev_i32_e32 v1, 31, v8
	v_mov_b32_e32 v3, s3
	v_add_co_u32_e32 v2, vcc, s2, v8
	v_addc_co_u32_e32 v3, vcc, v3, v1, vcc
	global_load_ubyte v1, v[2:3], off
	s_waitcnt vmcnt(0)
	v_and_b32_e32 v1, 1, v1
	v_cmp_eq_u32_e32 vcc, 1, v1
	s_xor_b64 s[2:3], vcc, -1
	s_orn2_b64 s[18:19], s[2:3], exec
.LBB218_3:
	v_lshlrev_b32_e32 v2, 4, v8
	v_ashrrev_i32_e32 v3, 31, v2
	v_lshlrev_b64 v[2:3], 2, v[2:3]
	v_mov_b32_e32 v1, s1
	v_add_co_u32_e32 v2, vcc, s0, v2
	v_and_b32_e32 v9, 3, v0
	v_addc_co_u32_e32 v1, vcc, v1, v3, vcc
	v_lshlrev_b32_e32 v0, 4, v9
	v_add_co_u32_e32 v0, vcc, v2, v0
	v_addc_co_u32_e32 v1, vcc, 0, v1, vcc
	global_load_dwordx4 v[0:3], v[0:1], off
	v_mov_b32_e32 v4, 0x207
	s_load_dwordx2 s[10:11], s[4:5], 0x40
	v_lshlrev_b32_e32 v10, 2, v9
	s_waitcnt lgkmcnt(0)
	s_cmp_eq_u64 s[10:11], 0
	s_waitcnt vmcnt(0)
	v_mul_f32_e32 v0, 0xbfb8aa3b, v0
	v_mul_f32_e32 v1, 0xbfb8aa3b, v1
	v_exp_f32_e32 v0, v0
	v_exp_f32_e32 v1, v1
	v_mul_f32_e32 v2, 0xbfb8aa3b, v2
	v_mul_f32_e32 v3, 0xbfb8aa3b, v3
	v_exp_f32_e32 v2, v2
	v_exp_f32_e32 v3, v3
	v_pk_add_f32 v[0:1], v[0:1], 1.0 op_sel_hi:[1,0]
	v_div_scale_f32 v5, s[0:1], v1, v1, 1.0
	v_rcp_f32_e32 v16, v5
	v_div_scale_f32 v7, s[0:1], v0, v0, 1.0
	v_pk_add_f32 v[2:3], v[2:3], 1.0 op_sel_hi:[1,0]
	v_rcp_f32_e32 v17, v7
	v_div_scale_f32 v12, s[2:3], v3, v3, 1.0
	v_rcp_f32_e32 v18, v12
	v_fma_f32 v20, -v5, v16, 1.0
	v_div_scale_f32 v6, vcc, 1.0, v1, 1.0
	v_div_scale_f32 v14, s[6:7], v2, v2, 1.0
	v_fmac_f32_e32 v16, v20, v16
	v_rcp_f32_e32 v19, v14
	v_fma_f32 v21, -v7, v17, 1.0
	v_mul_f32_e32 v20, v6, v16
	v_div_scale_f32 v11, s[0:1], 1.0, v0, 1.0
	v_fmac_f32_e32 v17, v21, v17
	v_fma_f32 v24, -v5, v20, v6
	v_fma_f32 v22, -v12, v18, 1.0
	v_mul_f32_e32 v21, v11, v17
	v_fmac_f32_e32 v20, v24, v16
	v_div_scale_f32 v13, s[2:3], 1.0, v3, 1.0
	v_fmac_f32_e32 v18, v22, v18
	v_fma_f32 v25, -v7, v21, v11
	v_fma_f32 v5, -v5, v20, v6
	v_fma_f32 v23, -v14, v19, 1.0
	v_mul_f32_e32 v22, v13, v18
	v_fmac_f32_e32 v21, v25, v17
	v_div_fmas_f32 v5, v5, v16, v20
	v_div_scale_f32 v15, s[6:7], 1.0, v2, 1.0
	v_fmac_f32_e32 v19, v23, v19
	v_fma_f32 v26, -v12, v22, v13
	v_fma_f32 v6, -v7, v21, v11
	v_div_fixup_f32 v1, v5, v1, 1.0
	s_mov_b64 vcc, s[0:1]
	v_mul_f32_e32 v23, v15, v19
	v_fmac_f32_e32 v22, v26, v18
	v_div_fmas_f32 v5, v6, v17, v21
	v_cmp_class_f32_e32 vcc, v1, v4
	v_fma_f32 v27, -v14, v23, v15
	v_fma_f32 v7, -v12, v22, v13
	v_div_fixup_f32 v0, v5, v0, 1.0
	v_cndmask_b32_e64 v1, v1, 0, vcc
	s_mov_b64 vcc, s[2:3]
	v_fmac_f32_e32 v23, v27, v19
	v_div_fmas_f32 v5, v7, v18, v22
	v_cmp_class_f32_e32 vcc, v0, v4
	v_fma_f32 v11, -v14, v23, v15
	v_cndmask_b32_e64 v0, v0, 0, vcc
	s_mov_b64 vcc, s[6:7]
	v_div_fixup_f32 v3, v5, v3, 1.0
	v_div_fmas_f32 v5, v11, v19, v23
	v_div_fixup_f32 v2, v5, v2, 1.0
	v_cmp_class_f32_e32 vcc, v3, v4
	v_cndmask_b32_e64 v3, v3, 0, vcc
	v_cmp_class_f32_e32 vcc, v2, v4
	v_cndmask_b32_e64 v2, v2, 0, vcc
	s_cbranch_scc1 .LBB218_23
; %bb.4:
	v_lshlrev_b32_e32 v4, 2, v10
	global_load_dwordx4 v[4:7], v4, s[10:11]
	s_waitcnt vmcnt(0)
	v_pk_add_f32 v[4:5], v[4:5], v[0:1]
	v_pk_add_f32 v[6:7], v[6:7], v[2:3]
	s_cbranch_execnz .LBB218_6
.LBB218_5:
	v_pk_mov_b32 v[6:7], v[2:3], v[2:3] op_sel:[0,1]
	v_pk_mov_b32 v[4:5], v[0:1], v[0:1] op_sel:[0,1]
.LBB218_6:
	s_load_dwordx4 s[8:11], s[4:5], 0x30
	s_mov_b32 s25, 0
	v_cmp_eq_u32_e64 s[0:1], 0, v9
	s_waitcnt lgkmcnt(0)
	s_bitcmp1_b32 s11, 0
	s_cselect_b64 vcc, -1, 0
	s_cmp_gt_i32 s8, 0
	s_cselect_b64 s[6:7], -1, 0
	s_cmp_lt_i32 s8, 1
	s_cbranch_scc1 .LBB218_24
; %bb.7:
	v_mbcnt_lo_u32_b32 v11, -1, 0
	v_mbcnt_hi_u32_b32 v11, -1, v11
	v_and_b32_e32 v12, 0x7c, v11
	s_load_dwordx4 s[12:15], s[4:5], 0x20
	v_add_u32_e32 v14, 4, v12
	v_xor_b32_e32 v13, 2, v11
	v_cmp_lt_i32_e64 s[2:3], v13, v14
	v_xor_b32_e32 v15, 1, v11
	v_cndmask_b32_e64 v13, v11, v13, s[2:3]
	v_cmp_lt_i32_e64 s[2:3], v15, v14
	v_cndmask_b32_e64 v11, v11, v15, s[2:3]
	v_mul_lo_u32 v12, v8, s8
	v_lshlrev_b32_e32 v13, 2, v13
	v_lshlrev_b32_e32 v14, 2, v11
	v_mov_b32_e32 v11, 0
	v_mov_b32_e32 v15, 0xc61c4000
	;; [unrolled: 1-line block ×3, first 2 shown]
	s_branch .LBB218_10
.LBB218_8:                              ;   in Loop: Header=BB218_10 Depth=1
	s_or_b64 exec, exec, s[4:5]
.LBB218_9:                              ;   in Loop: Header=BB218_10 Depth=1
	s_cmp_eq_u32 s8, s25
	v_add_u32_e32 v16, s24, v16
	s_cbranch_scc1 .LBB218_25
.LBB218_10:                             ; =>This Inner Loop Header: Depth=1
	v_cmp_gt_f32_e64 s[2:3], v5, v4
	v_cndmask_b32_e64 v19, v4, v5, s[2:3]
	v_cndmask_b32_e64 v17, 0, 1, s[2:3]
	;; [unrolled: 1-line block ×3, first 2 shown]
	v_cmp_gt_f32_e64 s[2:3], v6, v19
	v_cndmask_b32_e64 v19, v19, v6, s[2:3]
	v_cndmask_b32_e64 v17, v17, 2, s[2:3]
	;; [unrolled: 1-line block ×3, first 2 shown]
	v_cmp_gt_f32_e64 s[2:3], v7, v19
	v_cndmask_b32_e64 v17, v17, 3, s[2:3]
	v_cndmask_b32_e64 v19, v19, v7, s[2:3]
	v_or_b32_e32 v17, v10, v17
	v_cndmask_b32_e64 v18, v18, v3, s[2:3]
	s_waitcnt lgkmcnt(0)
	ds_bpermute_b32 v20, v13, v19
	ds_bpermute_b32 v22, v13, v18
	;; [unrolled: 1-line block ×3, first 2 shown]
	s_waitcnt lgkmcnt(0)
	v_cmp_lt_f32_e64 s[20:21], v19, v20
	v_cmp_nlt_f32_e64 s[2:3], v19, v20
	s_and_saveexec_b64 s[22:23], s[2:3]
; %bb.11:                               ;   in Loop: Header=BB218_10 Depth=1
	v_cmp_eq_f32_e64 s[2:3], v19, v20
	v_cmp_lt_i32_e64 s[4:5], v21, v17
	s_and_b64 s[2:3], s[2:3], s[4:5]
	s_andn2_b64 s[4:5], s[20:21], exec
	s_and_b64 s[2:3], s[2:3], exec
	s_or_b64 s[20:21], s[4:5], s[2:3]
; %bb.12:                               ;   in Loop: Header=BB218_10 Depth=1
	s_or_b64 exec, exec, s[22:23]
	s_and_saveexec_b64 s[2:3], s[20:21]
; %bb.13:                               ;   in Loop: Header=BB218_10 Depth=1
	v_mov_b32_e32 v18, v22
	v_mov_b32_e32 v19, v20
	;; [unrolled: 1-line block ×3, first 2 shown]
; %bb.14:                               ;   in Loop: Header=BB218_10 Depth=1
	s_or_b64 exec, exec, s[2:3]
	ds_bpermute_b32 v22, v14, v19
	ds_bpermute_b32 v20, v14, v18
	;; [unrolled: 1-line block ×3, first 2 shown]
	s_waitcnt lgkmcnt(2)
	v_cmp_lt_f32_e64 s[20:21], v19, v22
	v_cmp_nlt_f32_e64 s[2:3], v19, v22
	s_and_saveexec_b64 s[22:23], s[2:3]
	s_cbranch_execnz .LBB218_18
; %bb.15:                               ;   in Loop: Header=BB218_10 Depth=1
	s_or_b64 exec, exec, s[22:23]
	s_and_saveexec_b64 s[2:3], s[20:21]
	s_cbranch_execnz .LBB218_19
.LBB218_16:                             ;   in Loop: Header=BB218_10 Depth=1
	s_or_b64 exec, exec, s[2:3]
	s_and_saveexec_b64 s[20:21], s[0:1]
	s_cbranch_execnz .LBB218_20
.LBB218_17:                             ;   in Loop: Header=BB218_10 Depth=1
	s_or_b64 exec, exec, s[20:21]
	s_add_i32 s25, s25, 1
	s_cmp_ge_i32 s25, s8
	s_cbranch_scc1 .LBB218_9
	s_branch .LBB218_21
.LBB218_18:                             ;   in Loop: Header=BB218_10 Depth=1
	v_cmp_eq_f32_e64 s[2:3], v19, v22
	s_waitcnt lgkmcnt(0)
	v_cmp_lt_i32_e64 s[4:5], v21, v17
	s_and_b64 s[2:3], s[2:3], s[4:5]
	s_andn2_b64 s[4:5], s[20:21], exec
	s_and_b64 s[2:3], s[2:3], exec
	s_or_b64 s[20:21], s[4:5], s[2:3]
	s_or_b64 exec, exec, s[22:23]
	s_and_saveexec_b64 s[2:3], s[20:21]
	s_cbranch_execz .LBB218_16
.LBB218_19:                             ;   in Loop: Header=BB218_10 Depth=1
	s_waitcnt lgkmcnt(0)
	v_mov_b32_e32 v17, v21
	v_mov_b32_e32 v18, v20
	s_or_b64 exec, exec, s[2:3]
	s_and_saveexec_b64 s[20:21], s[0:1]
	s_cbranch_execz .LBB218_17
.LBB218_20:                             ;   in Loop: Header=BB218_10 Depth=1
	s_waitcnt lgkmcnt(1)
	v_add_u32_e32 v20, s25, v12
	s_waitcnt lgkmcnt(0)
	v_ashrrev_i32_e32 v21, 31, v20
	v_cmp_le_i32_e64 s[2:3], s9, v17
	v_cmp_gt_i32_e64 s[4:5], s10, v17
	v_lshlrev_b64 v[20:21], 2, v[20:21]
	s_and_b64 s[4:5], s[2:3], s[4:5]
	v_mov_b32_e32 v19, s17
	v_add_co_u32_e64 v22, s[2:3], s16, v20
	v_addc_co_u32_e64 v23, s[2:3], v19, v21, s[2:3]
	v_subrev_u32_e32 v19, s9, v17
	s_and_b64 s[2:3], s[18:19], s[4:5]
	global_store_dword v[22:23], v18, off
	v_cndmask_b32_e64 v19, 16, v19, s[2:3]
	v_mov_b32_e32 v23, s13
	v_add_co_u32_e64 v22, s[2:3], s12, v20
	v_addc_co_u32_e64 v23, s[2:3], v23, v21, s[2:3]
	global_store_dword v[22:23], v19, off
	v_mov_b32_e32 v19, s15
	v_add_co_u32_e64 v20, s[2:3], s14, v20
	v_add_f32_e32 v18, v11, v18
	v_addc_co_u32_e64 v21, s[2:3], v19, v21, s[2:3]
	v_cndmask_b32_e32 v11, v11, v18, vcc
	global_store_dword v[20:21], v16, off
	s_or_b64 exec, exec, s[20:21]
	s_add_i32 s25, s25, 1
	s_cmp_ge_i32 s25, s8
	s_cbranch_scc1 .LBB218_9
.LBB218_21:                             ;   in Loop: Header=BB218_10 Depth=1
	v_ashrrev_i32_e32 v19, 31, v17
	v_lshrrev_b32_e32 v18, 30, v19
	v_add_u32_e32 v18, v17, v18
	v_ashrrev_i32_e32 v18, 2, v18
	s_waitcnt lgkmcnt(1)
	v_lshrrev_b32_e32 v20, 30, v18
	v_add_u32_e32 v20, v18, v20
	v_and_b32_e32 v20, -4, v20
	v_sub_u32_e32 v20, v18, v20
	v_cmp_eq_u32_e64 s[2:3], v9, v20
	s_and_saveexec_b64 s[4:5], s[2:3]
	s_cbranch_execz .LBB218_8
; %bb.22:                               ;   in Loop: Header=BB218_10 Depth=1
	v_lshrrev_b32_e32 v19, 28, v19
	v_add_u32_e32 v19, v17, v19
	v_lshlrev_b32_e32 v18, 2, v18
	v_ashrrev_i32_e32 v19, 4, v19
	v_sub_u32_e32 v17, v17, v18
	v_lshl_add_u32 v17, v19, 2, v17
	v_cmp_ne_u32_e64 s[2:3], 3, v17
	v_cndmask_b32_e64 v7, v15, v7, s[2:3]
	v_cmp_ne_u32_e64 s[2:3], 2, v17
	v_cndmask_b32_e64 v6, v15, v6, s[2:3]
	;; [unrolled: 2-line block ×4, first 2 shown]
	s_branch .LBB218_8
.LBB218_23:
                                        ; implicit-def: $vgpr4_vgpr5_vgpr6_vgpr7
	s_andn2_b64 vcc, exec, s[8:9]
	s_cbranch_vccz .LBB218_5
	s_branch .LBB218_6
.LBB218_24:
	v_mov_b32_e32 v11, 0
.LBB218_25:
	v_cmp_eq_u32_e64 s[0:1], 0, v9
	s_and_b64 s[0:1], s[0:1], vcc
	s_and_b64 exec, exec, s[0:1]
	s_cbranch_execz .LBB218_34
; %bb.26:
	s_andn2_b64 vcc, exec, s[6:7]
	s_cbranch_vccnz .LBB218_34
; %bb.27:
	v_cmp_lt_f32_e32 vcc, 0, v11
	s_mov_b32 s2, 0
	v_cndmask_b32_e32 v0, 1.0, v11, vcc
	v_mul_lo_u32 v4, v8, s8
	s_cmp_eq_u32 s8, 1
	s_mov_b64 s[0:1], -1
	s_cbranch_scc1 .LBB218_31
; %bb.28:
	s_and_b32 s2, s8, 0x7ffffffe
	v_mov_b32_e32 v1, v0
	v_mov_b32_e32 v5, s17
	s_mov_b32 s3, s2
	v_mov_b32_e32 v2, v4
.LBB218_29:                             ; =>This Inner Loop Header: Depth=1
	v_ashrrev_i32_e32 v3, 31, v2
	v_lshlrev_b64 v[6:7], 2, v[2:3]
	v_add_co_u32_e32 v6, vcc, s16, v6
	v_addc_co_u32_e32 v7, vcc, v5, v7, vcc
	global_load_dwordx2 v[8:9], v[6:7], off
	s_add_i32 s3, s3, -2
	s_cmp_lg_u32 s3, 0
	v_add_u32_e32 v2, 2, v2
	s_waitcnt vmcnt(0)
	v_div_scale_f32 v3, s[0:1], v1, v1, v9
	v_div_scale_f32 v11, s[0:1], v0, v0, v8
	v_rcp_f32_e32 v12, v3
	v_rcp_f32_e32 v13, v11
	v_div_scale_f32 v10, vcc, v9, v1, v9
	v_fma_f32 v15, -v3, v12, 1.0
	v_fma_f32 v16, -v11, v13, 1.0
	v_fmac_f32_e32 v12, v15, v12
	v_div_scale_f32 v14, s[0:1], v8, v0, v8
	v_fmac_f32_e32 v13, v16, v13
	v_mul_f32_e32 v15, v10, v12
	v_mul_f32_e32 v16, v14, v13
	v_fma_f32 v17, -v3, v15, v10
	v_fma_f32 v18, -v11, v16, v14
	v_fmac_f32_e32 v15, v17, v12
	v_fmac_f32_e32 v16, v18, v13
	v_fma_f32 v3, -v3, v15, v10
	v_fma_f32 v10, -v11, v16, v14
	v_div_fmas_f32 v3, v3, v12, v15
	s_mov_b64 vcc, s[0:1]
	v_div_fixup_f32 v9, v3, v1, v9
	v_div_fmas_f32 v3, v10, v13, v16
	v_div_fixup_f32 v8, v3, v0, v8
	global_store_dwordx2 v[6:7], v[8:9], off
	s_cbranch_scc1 .LBB218_29
; %bb.30:
	s_cmp_lg_u32 s2, s8
	s_cselect_b64 s[0:1], -1, 0
.LBB218_31:
	s_and_b64 vcc, exec, s[0:1]
	s_cbranch_vccz .LBB218_34
; %bb.32:
	v_ashrrev_i32_e32 v1, 31, v4
	v_add_co_u32_e32 v2, vcc, s2, v4
	v_addc_co_u32_e32 v3, vcc, 0, v1, vcc
	v_lshlrev_b64 v[2:3], 2, v[2:3]
	v_mov_b32_e32 v1, s17
	v_add_co_u32_e32 v2, vcc, s16, v2
	s_sub_i32 s0, s8, s2
	v_addc_co_u32_e32 v3, vcc, v1, v3, vcc
.LBB218_33:                             ; =>This Inner Loop Header: Depth=1
	global_load_dword v1, v[2:3], off
	s_add_i32 s0, s0, -1
	s_cmp_lg_u32 s0, 0
	s_waitcnt vmcnt(0)
	v_div_scale_f32 v4, s[2:3], v0, v0, v1
	v_rcp_f32_e32 v5, v4
	v_div_scale_f32 v6, vcc, v1, v0, v1
	v_fma_f32 v7, -v4, v5, 1.0
	v_fmac_f32_e32 v5, v7, v5
	v_mul_f32_e32 v7, v6, v5
	v_fma_f32 v8, -v4, v7, v6
	v_fmac_f32_e32 v7, v8, v5
	v_fma_f32 v4, -v4, v7, v6
	v_div_fmas_f32 v4, v4, v5, v7
	v_div_fixup_f32 v1, v4, v0, v1
	global_store_dword v[2:3], v1, off
	v_add_co_u32_e32 v2, vcc, 4, v2
	v_addc_co_u32_e32 v3, vcc, 0, v3, vcc
	s_cbranch_scc1 .LBB218_33
.LBB218_34:
	s_endpgm
	.section	.rodata,"a",@progbits
	.p2align	6, 0x0
	.amdhsa_kernel _ZN4vllm3moe10topkGatingILi4ELi16ELi4ELi16ELi32EjfLNS0_11ScoringFuncE1EEEvPKT5_PKbPfiPT4_PiiiibPKf
		.amdhsa_group_segment_fixed_size 0
		.amdhsa_private_segment_fixed_size 0
		.amdhsa_kernarg_size 72
		.amdhsa_user_sgpr_count 6
		.amdhsa_user_sgpr_private_segment_buffer 1
		.amdhsa_user_sgpr_dispatch_ptr 0
		.amdhsa_user_sgpr_queue_ptr 0
		.amdhsa_user_sgpr_kernarg_segment_ptr 1
		.amdhsa_user_sgpr_dispatch_id 0
		.amdhsa_user_sgpr_flat_scratch_init 0
		.amdhsa_user_sgpr_kernarg_preload_length 0
		.amdhsa_user_sgpr_kernarg_preload_offset 0
		.amdhsa_user_sgpr_private_segment_size 0
		.amdhsa_uses_dynamic_stack 0
		.amdhsa_system_sgpr_private_segment_wavefront_offset 0
		.amdhsa_system_sgpr_workgroup_id_x 1
		.amdhsa_system_sgpr_workgroup_id_y 0
		.amdhsa_system_sgpr_workgroup_id_z 0
		.amdhsa_system_sgpr_workgroup_info 0
		.amdhsa_system_vgpr_workitem_id 1
		.amdhsa_next_free_vgpr 28
		.amdhsa_next_free_sgpr 26
		.amdhsa_accum_offset 28
		.amdhsa_reserve_vcc 1
		.amdhsa_reserve_flat_scratch 0
		.amdhsa_float_round_mode_32 0
		.amdhsa_float_round_mode_16_64 0
		.amdhsa_float_denorm_mode_32 3
		.amdhsa_float_denorm_mode_16_64 3
		.amdhsa_dx10_clamp 1
		.amdhsa_ieee_mode 1
		.amdhsa_fp16_overflow 0
		.amdhsa_tg_split 0
		.amdhsa_exception_fp_ieee_invalid_op 0
		.amdhsa_exception_fp_denorm_src 0
		.amdhsa_exception_fp_ieee_div_zero 0
		.amdhsa_exception_fp_ieee_overflow 0
		.amdhsa_exception_fp_ieee_underflow 0
		.amdhsa_exception_fp_ieee_inexact 0
		.amdhsa_exception_int_div_zero 0
	.end_amdhsa_kernel
	.section	.text._ZN4vllm3moe10topkGatingILi4ELi16ELi4ELi16ELi32EjfLNS0_11ScoringFuncE1EEEvPKT5_PKbPfiPT4_PiiiibPKf,"axG",@progbits,_ZN4vllm3moe10topkGatingILi4ELi16ELi4ELi16ELi32EjfLNS0_11ScoringFuncE1EEEvPKT5_PKbPfiPT4_PiiiibPKf,comdat
.Lfunc_end218:
	.size	_ZN4vllm3moe10topkGatingILi4ELi16ELi4ELi16ELi32EjfLNS0_11ScoringFuncE1EEEvPKT5_PKbPfiPT4_PiiiibPKf, .Lfunc_end218-_ZN4vllm3moe10topkGatingILi4ELi16ELi4ELi16ELi32EjfLNS0_11ScoringFuncE1EEEvPKT5_PKbPfiPT4_PiiiibPKf
                                        ; -- End function
	.section	.AMDGPU.csdata,"",@progbits
; Kernel info:
; codeLenInByte = 2032
; NumSgprs: 30
; NumVgprs: 28
; NumAgprs: 0
; TotalNumVgprs: 28
; ScratchSize: 0
; MemoryBound: 0
; FloatMode: 240
; IeeeMode: 1
; LDSByteSize: 0 bytes/workgroup (compile time only)
; SGPRBlocks: 3
; VGPRBlocks: 3
; NumSGPRsForWavesPerEU: 30
; NumVGPRsForWavesPerEU: 28
; AccumOffset: 28
; Occupancy: 8
; WaveLimiterHint : 0
; COMPUTE_PGM_RSRC2:SCRATCH_EN: 0
; COMPUTE_PGM_RSRC2:USER_SGPR: 6
; COMPUTE_PGM_RSRC2:TRAP_HANDLER: 0
; COMPUTE_PGM_RSRC2:TGID_X_EN: 1
; COMPUTE_PGM_RSRC2:TGID_Y_EN: 0
; COMPUTE_PGM_RSRC2:TGID_Z_EN: 0
; COMPUTE_PGM_RSRC2:TIDIG_COMP_CNT: 1
; COMPUTE_PGM_RSRC3_GFX90A:ACCUM_OFFSET: 6
; COMPUTE_PGM_RSRC3_GFX90A:TG_SPLIT: 0
	.section	.text._ZN4vllm3moe10topkGatingILi4ELi32ELi4ELi16ELi64EjfLNS0_11ScoringFuncE1EEEvPKT5_PKbPfiPT4_PiiiibPKf,"axG",@progbits,_ZN4vllm3moe10topkGatingILi4ELi32ELi4ELi16ELi64EjfLNS0_11ScoringFuncE1EEEvPKT5_PKbPfiPT4_PiiiibPKf,comdat
	.protected	_ZN4vllm3moe10topkGatingILi4ELi32ELi4ELi16ELi64EjfLNS0_11ScoringFuncE1EEEvPKT5_PKbPfiPT4_PiiiibPKf ; -- Begin function _ZN4vllm3moe10topkGatingILi4ELi32ELi4ELi16ELi64EjfLNS0_11ScoringFuncE1EEEvPKT5_PKbPfiPT4_PiiiibPKf
	.globl	_ZN4vllm3moe10topkGatingILi4ELi32ELi4ELi16ELi64EjfLNS0_11ScoringFuncE1EEEvPKT5_PKbPfiPT4_PiiiibPKf
	.p2align	8
	.type	_ZN4vllm3moe10topkGatingILi4ELi32ELi4ELi16ELi64EjfLNS0_11ScoringFuncE1EEEvPKT5_PKbPfiPT4_PiiiibPKf,@function
_ZN4vllm3moe10topkGatingILi4ELi32ELi4ELi16ELi64EjfLNS0_11ScoringFuncE1EEEvPKT5_PKbPfiPT4_PiiiibPKf: ; @_ZN4vllm3moe10topkGatingILi4ELi32ELi4ELi16ELi64EjfLNS0_11ScoringFuncE1EEEvPKT5_PKbPfiPT4_PiiiibPKf
; %bb.0:
	s_load_dword s24, s[4:5], 0x18
	v_bfe_u32 v1, v0, 10, 10
	v_and_b32_e32 v0, 0x3ff, v0
	s_lshl_b32 s0, s6, 5
	v_lshlrev_b32_e32 v1, 3, v1
	v_lshrrev_b32_e32 v2, 3, v0
	v_add3_u32 v8, s0, v1, v2
	s_waitcnt lgkmcnt(0)
	v_cmp_gt_i32_e32 vcc, s24, v8
	s_and_saveexec_b64 s[0:1], vcc
	s_cbranch_execz .LBB219_38
; %bb.1:
	s_load_dwordx4 s[0:3], s[4:5], 0x0
	s_load_dwordx2 s[16:17], s[4:5], 0x10
	s_mov_b64 s[8:9], -1
	s_mov_b64 s[18:19], -1
	s_waitcnt lgkmcnt(0)
	s_cmp_eq_u64 s[2:3], 0
	s_cbranch_scc1 .LBB219_3
; %bb.2:
	v_ashrrev_i32_e32 v1, 31, v8
	v_mov_b32_e32 v3, s3
	v_add_co_u32_e32 v2, vcc, s2, v8
	v_addc_co_u32_e32 v3, vcc, v3, v1, vcc
	global_load_ubyte v1, v[2:3], off
	s_waitcnt vmcnt(0)
	v_and_b32_e32 v1, 1, v1
	v_cmp_eq_u32_e32 vcc, 1, v1
	s_xor_b64 s[2:3], vcc, -1
	s_orn2_b64 s[18:19], s[2:3], exec
.LBB219_3:
	v_lshlrev_b32_e32 v2, 5, v8
	v_ashrrev_i32_e32 v3, 31, v2
	v_lshlrev_b64 v[2:3], 2, v[2:3]
	v_mov_b32_e32 v1, s1
	v_add_co_u32_e32 v2, vcc, s0, v2
	v_and_b32_e32 v9, 7, v0
	v_addc_co_u32_e32 v1, vcc, v1, v3, vcc
	v_lshlrev_b32_e32 v0, 4, v9
	v_add_co_u32_e32 v0, vcc, v2, v0
	v_addc_co_u32_e32 v1, vcc, 0, v1, vcc
	global_load_dwordx4 v[0:3], v[0:1], off
	v_mov_b32_e32 v4, 0x207
	s_load_dwordx2 s[10:11], s[4:5], 0x40
	v_lshlrev_b32_e32 v10, 2, v9
	s_waitcnt lgkmcnt(0)
	s_cmp_eq_u64 s[10:11], 0
	s_waitcnt vmcnt(0)
	v_mul_f32_e32 v0, 0xbfb8aa3b, v0
	v_mul_f32_e32 v1, 0xbfb8aa3b, v1
	v_exp_f32_e32 v0, v0
	v_exp_f32_e32 v1, v1
	v_mul_f32_e32 v2, 0xbfb8aa3b, v2
	v_mul_f32_e32 v3, 0xbfb8aa3b, v3
	v_exp_f32_e32 v2, v2
	v_exp_f32_e32 v3, v3
	v_pk_add_f32 v[0:1], v[0:1], 1.0 op_sel_hi:[1,0]
	v_div_scale_f32 v5, s[0:1], v1, v1, 1.0
	v_rcp_f32_e32 v16, v5
	v_div_scale_f32 v7, s[0:1], v0, v0, 1.0
	v_pk_add_f32 v[2:3], v[2:3], 1.0 op_sel_hi:[1,0]
	v_rcp_f32_e32 v17, v7
	v_div_scale_f32 v12, s[2:3], v3, v3, 1.0
	v_rcp_f32_e32 v18, v12
	v_fma_f32 v20, -v5, v16, 1.0
	v_div_scale_f32 v6, vcc, 1.0, v1, 1.0
	v_div_scale_f32 v14, s[6:7], v2, v2, 1.0
	v_fmac_f32_e32 v16, v20, v16
	v_rcp_f32_e32 v19, v14
	v_fma_f32 v21, -v7, v17, 1.0
	v_mul_f32_e32 v20, v6, v16
	v_div_scale_f32 v11, s[0:1], 1.0, v0, 1.0
	v_fmac_f32_e32 v17, v21, v17
	v_fma_f32 v24, -v5, v20, v6
	v_fma_f32 v22, -v12, v18, 1.0
	v_mul_f32_e32 v21, v11, v17
	v_fmac_f32_e32 v20, v24, v16
	v_div_scale_f32 v13, s[2:3], 1.0, v3, 1.0
	v_fmac_f32_e32 v18, v22, v18
	v_fma_f32 v25, -v7, v21, v11
	v_fma_f32 v5, -v5, v20, v6
	v_fma_f32 v23, -v14, v19, 1.0
	v_mul_f32_e32 v22, v13, v18
	v_fmac_f32_e32 v21, v25, v17
	v_div_fmas_f32 v5, v5, v16, v20
	v_div_scale_f32 v15, s[6:7], 1.0, v2, 1.0
	v_fmac_f32_e32 v19, v23, v19
	v_fma_f32 v26, -v12, v22, v13
	v_fma_f32 v6, -v7, v21, v11
	v_div_fixup_f32 v1, v5, v1, 1.0
	s_mov_b64 vcc, s[0:1]
	v_mul_f32_e32 v23, v15, v19
	v_fmac_f32_e32 v22, v26, v18
	v_div_fmas_f32 v5, v6, v17, v21
	v_cmp_class_f32_e32 vcc, v1, v4
	v_fma_f32 v27, -v14, v23, v15
	v_fma_f32 v7, -v12, v22, v13
	v_div_fixup_f32 v0, v5, v0, 1.0
	v_cndmask_b32_e64 v1, v1, 0, vcc
	s_mov_b64 vcc, s[2:3]
	v_fmac_f32_e32 v23, v27, v19
	v_div_fmas_f32 v5, v7, v18, v22
	v_cmp_class_f32_e32 vcc, v0, v4
	v_fma_f32 v11, -v14, v23, v15
	v_cndmask_b32_e64 v0, v0, 0, vcc
	s_mov_b64 vcc, s[6:7]
	v_div_fixup_f32 v3, v5, v3, 1.0
	v_div_fmas_f32 v5, v11, v19, v23
	v_div_fixup_f32 v2, v5, v2, 1.0
	v_cmp_class_f32_e32 vcc, v3, v4
	v_cndmask_b32_e64 v3, v3, 0, vcc
	v_cmp_class_f32_e32 vcc, v2, v4
	v_cndmask_b32_e64 v2, v2, 0, vcc
	s_cbranch_scc1 .LBB219_27
; %bb.4:
	v_lshlrev_b32_e32 v4, 2, v10
	global_load_dwordx4 v[4:7], v4, s[10:11]
	s_waitcnt vmcnt(0)
	v_pk_add_f32 v[4:5], v[4:5], v[0:1]
	v_pk_add_f32 v[6:7], v[6:7], v[2:3]
	s_cbranch_execnz .LBB219_6
.LBB219_5:
	v_pk_mov_b32 v[6:7], v[2:3], v[2:3] op_sel:[0,1]
	v_pk_mov_b32 v[4:5], v[0:1], v[0:1] op_sel:[0,1]
.LBB219_6:
	s_load_dwordx4 s[8:11], s[4:5], 0x30
	s_mov_b32 s25, 0
	v_cmp_eq_u32_e64 s[0:1], 0, v9
	s_waitcnt lgkmcnt(0)
	s_bitcmp1_b32 s11, 0
	s_cselect_b64 vcc, -1, 0
	s_cmp_gt_i32 s8, 0
	s_cselect_b64 s[6:7], -1, 0
	s_cmp_lt_i32 s8, 1
	s_cbranch_scc1 .LBB219_28
; %bb.7:
	v_mbcnt_lo_u32_b32 v11, -1, 0
	v_mbcnt_hi_u32_b32 v11, -1, v11
	v_and_b32_e32 v12, 0x78, v11
	v_add_u32_e32 v15, 8, v12
	v_xor_b32_e32 v13, 4, v11
	s_load_dwordx4 s[12:15], s[4:5], 0x20
	v_cmp_lt_i32_e64 s[2:3], v13, v15
	v_xor_b32_e32 v14, 2, v11
	v_cndmask_b32_e64 v13, v11, v13, s[2:3]
	v_cmp_lt_i32_e64 s[2:3], v14, v15
	v_xor_b32_e32 v16, 1, v11
	v_cndmask_b32_e64 v14, v11, v14, s[2:3]
	v_cmp_lt_i32_e64 s[2:3], v16, v15
	v_cndmask_b32_e64 v11, v11, v16, s[2:3]
	v_mul_lo_u32 v12, v8, s8
	v_lshlrev_b32_e32 v13, 2, v13
	v_lshlrev_b32_e32 v14, 2, v14
	;; [unrolled: 1-line block ×3, first 2 shown]
	v_mov_b32_e32 v11, 0
	v_mov_b32_e32 v16, 0xc61c4000
	;; [unrolled: 1-line block ×3, first 2 shown]
	s_branch .LBB219_10
.LBB219_8:                              ;   in Loop: Header=BB219_10 Depth=1
	s_or_b64 exec, exec, s[4:5]
.LBB219_9:                              ;   in Loop: Header=BB219_10 Depth=1
	s_cmp_eq_u32 s8, s25
	v_add_u32_e32 v17, s24, v17
	s_cbranch_scc1 .LBB219_29
.LBB219_10:                             ; =>This Inner Loop Header: Depth=1
	v_cmp_gt_f32_e64 s[2:3], v5, v4
	v_cndmask_b32_e64 v20, v4, v5, s[2:3]
	v_cndmask_b32_e64 v18, 0, 1, s[2:3]
	;; [unrolled: 1-line block ×3, first 2 shown]
	v_cmp_gt_f32_e64 s[2:3], v6, v20
	v_cndmask_b32_e64 v20, v20, v6, s[2:3]
	v_cndmask_b32_e64 v18, v18, 2, s[2:3]
	;; [unrolled: 1-line block ×3, first 2 shown]
	v_cmp_gt_f32_e64 s[2:3], v7, v20
	v_cndmask_b32_e64 v18, v18, 3, s[2:3]
	v_cndmask_b32_e64 v20, v20, v7, s[2:3]
	v_or_b32_e32 v18, v10, v18
	v_cndmask_b32_e64 v19, v19, v3, s[2:3]
	s_waitcnt lgkmcnt(0)
	ds_bpermute_b32 v21, v13, v20
	ds_bpermute_b32 v23, v13, v19
	;; [unrolled: 1-line block ×3, first 2 shown]
	s_waitcnt lgkmcnt(0)
	v_cmp_lt_f32_e64 s[20:21], v20, v21
	v_cmp_nlt_f32_e64 s[2:3], v20, v21
	s_and_saveexec_b64 s[22:23], s[2:3]
; %bb.11:                               ;   in Loop: Header=BB219_10 Depth=1
	v_cmp_eq_f32_e64 s[2:3], v20, v21
	v_cmp_lt_i32_e64 s[4:5], v22, v18
	s_and_b64 s[2:3], s[2:3], s[4:5]
	s_andn2_b64 s[4:5], s[20:21], exec
	s_and_b64 s[2:3], s[2:3], exec
	s_or_b64 s[20:21], s[4:5], s[2:3]
; %bb.12:                               ;   in Loop: Header=BB219_10 Depth=1
	s_or_b64 exec, exec, s[22:23]
	s_and_saveexec_b64 s[2:3], s[20:21]
; %bb.13:                               ;   in Loop: Header=BB219_10 Depth=1
	v_mov_b32_e32 v19, v23
	v_mov_b32_e32 v20, v21
	;; [unrolled: 1-line block ×3, first 2 shown]
; %bb.14:                               ;   in Loop: Header=BB219_10 Depth=1
	s_or_b64 exec, exec, s[2:3]
	ds_bpermute_b32 v21, v14, v20
	ds_bpermute_b32 v23, v14, v19
	;; [unrolled: 1-line block ×3, first 2 shown]
	s_waitcnt lgkmcnt(2)
	v_cmp_lt_f32_e64 s[20:21], v20, v21
	v_cmp_nlt_f32_e64 s[2:3], v20, v21
	s_and_saveexec_b64 s[22:23], s[2:3]
	s_cbranch_execz .LBB219_16
; %bb.15:                               ;   in Loop: Header=BB219_10 Depth=1
	v_cmp_eq_f32_e64 s[2:3], v20, v21
	s_waitcnt lgkmcnt(0)
	v_cmp_lt_i32_e64 s[4:5], v22, v18
	s_and_b64 s[2:3], s[2:3], s[4:5]
	s_andn2_b64 s[4:5], s[20:21], exec
	s_and_b64 s[2:3], s[2:3], exec
	s_or_b64 s[20:21], s[4:5], s[2:3]
.LBB219_16:                             ;   in Loop: Header=BB219_10 Depth=1
	s_or_b64 exec, exec, s[22:23]
	s_and_saveexec_b64 s[2:3], s[20:21]
	s_cbranch_execz .LBB219_18
; %bb.17:                               ;   in Loop: Header=BB219_10 Depth=1
	s_waitcnt lgkmcnt(1)
	v_mov_b32_e32 v19, v23
	v_mov_b32_e32 v20, v21
	s_waitcnt lgkmcnt(0)
	v_mov_b32_e32 v18, v22
.LBB219_18:                             ;   in Loop: Header=BB219_10 Depth=1
	s_or_b64 exec, exec, s[2:3]
	s_waitcnt lgkmcnt(1)
	ds_bpermute_b32 v23, v15, v20
	ds_bpermute_b32 v21, v15, v19
	s_waitcnt lgkmcnt(2)
	ds_bpermute_b32 v22, v15, v18
	s_waitcnt lgkmcnt(2)
	v_cmp_lt_f32_e64 s[20:21], v20, v23
	v_cmp_nlt_f32_e64 s[2:3], v20, v23
	s_and_saveexec_b64 s[22:23], s[2:3]
	s_cbranch_execnz .LBB219_22
; %bb.19:                               ;   in Loop: Header=BB219_10 Depth=1
	s_or_b64 exec, exec, s[22:23]
	s_and_saveexec_b64 s[2:3], s[20:21]
	s_cbranch_execnz .LBB219_23
.LBB219_20:                             ;   in Loop: Header=BB219_10 Depth=1
	s_or_b64 exec, exec, s[2:3]
	s_and_saveexec_b64 s[20:21], s[0:1]
	s_cbranch_execnz .LBB219_24
.LBB219_21:                             ;   in Loop: Header=BB219_10 Depth=1
	s_or_b64 exec, exec, s[20:21]
	s_add_i32 s25, s25, 1
	s_cmp_ge_i32 s25, s8
	s_cbranch_scc1 .LBB219_9
	s_branch .LBB219_25
.LBB219_22:                             ;   in Loop: Header=BB219_10 Depth=1
	v_cmp_eq_f32_e64 s[2:3], v20, v23
	s_waitcnt lgkmcnt(0)
	v_cmp_lt_i32_e64 s[4:5], v22, v18
	s_and_b64 s[2:3], s[2:3], s[4:5]
	s_andn2_b64 s[4:5], s[20:21], exec
	s_and_b64 s[2:3], s[2:3], exec
	s_or_b64 s[20:21], s[4:5], s[2:3]
	s_or_b64 exec, exec, s[22:23]
	s_and_saveexec_b64 s[2:3], s[20:21]
	s_cbranch_execz .LBB219_20
.LBB219_23:                             ;   in Loop: Header=BB219_10 Depth=1
	s_waitcnt lgkmcnt(0)
	v_mov_b32_e32 v18, v22
	v_mov_b32_e32 v19, v21
	s_or_b64 exec, exec, s[2:3]
	s_and_saveexec_b64 s[20:21], s[0:1]
	s_cbranch_execz .LBB219_21
.LBB219_24:                             ;   in Loop: Header=BB219_10 Depth=1
	v_add_u32_e32 v20, s25, v12
	s_waitcnt lgkmcnt(1)
	v_ashrrev_i32_e32 v21, 31, v20
	v_cmp_le_i32_e64 s[2:3], s9, v18
	v_cmp_gt_i32_e64 s[4:5], s10, v18
	v_lshlrev_b64 v[20:21], 2, v[20:21]
	s_and_b64 s[4:5], s[2:3], s[4:5]
	v_mov_b32_e32 v23, s17
	s_waitcnt lgkmcnt(0)
	v_add_co_u32_e64 v22, s[2:3], s16, v20
	v_addc_co_u32_e64 v23, s[2:3], v23, v21, s[2:3]
	global_store_dword v[22:23], v19, off
	v_subrev_u32_e32 v22, s9, v18
	s_and_b64 s[2:3], s[18:19], s[4:5]
	v_cndmask_b32_e64 v24, 32, v22, s[2:3]
	v_mov_b32_e32 v23, s13
	v_add_co_u32_e64 v22, s[2:3], s12, v20
	v_addc_co_u32_e64 v23, s[2:3], v23, v21, s[2:3]
	global_store_dword v[22:23], v24, off
	v_mov_b32_e32 v22, s15
	v_add_co_u32_e64 v20, s[2:3], s14, v20
	v_add_f32_e32 v19, v11, v19
	v_addc_co_u32_e64 v21, s[2:3], v22, v21, s[2:3]
	v_cndmask_b32_e32 v11, v11, v19, vcc
	global_store_dword v[20:21], v17, off
	s_or_b64 exec, exec, s[20:21]
	s_add_i32 s25, s25, 1
	s_cmp_ge_i32 s25, s8
	s_cbranch_scc1 .LBB219_9
.LBB219_25:                             ;   in Loop: Header=BB219_10 Depth=1
	v_ashrrev_i32_e32 v20, 31, v18
	v_lshrrev_b32_e32 v19, 30, v20
	v_add_u32_e32 v19, v18, v19
	v_ashrrev_i32_e32 v19, 2, v19
	s_waitcnt lgkmcnt(1)
	v_lshrrev_b32_e32 v21, 29, v19
	v_add_u32_e32 v21, v19, v21
	v_and_b32_e32 v21, -8, v21
	v_sub_u32_e32 v21, v19, v21
	v_cmp_eq_u32_e64 s[2:3], v9, v21
	s_and_saveexec_b64 s[4:5], s[2:3]
	s_cbranch_execz .LBB219_8
; %bb.26:                               ;   in Loop: Header=BB219_10 Depth=1
	v_lshrrev_b32_e32 v20, 27, v20
	v_add_u32_e32 v20, v18, v20
	v_lshlrev_b32_e32 v19, 2, v19
	v_ashrrev_i32_e32 v20, 5, v20
	v_sub_u32_e32 v18, v18, v19
	v_lshl_add_u32 v18, v20, 2, v18
	v_cmp_ne_u32_e64 s[2:3], 3, v18
	v_cndmask_b32_e64 v7, v16, v7, s[2:3]
	v_cmp_ne_u32_e64 s[2:3], 2, v18
	v_cndmask_b32_e64 v6, v16, v6, s[2:3]
	;; [unrolled: 2-line block ×4, first 2 shown]
	s_branch .LBB219_8
.LBB219_27:
                                        ; implicit-def: $vgpr4_vgpr5_vgpr6_vgpr7
	s_andn2_b64 vcc, exec, s[8:9]
	s_cbranch_vccz .LBB219_5
	s_branch .LBB219_6
.LBB219_28:
	v_mov_b32_e32 v11, 0
.LBB219_29:
	v_cmp_eq_u32_e64 s[0:1], 0, v9
	s_and_b64 s[0:1], s[0:1], vcc
	s_and_b64 exec, exec, s[0:1]
	s_cbranch_execz .LBB219_38
; %bb.30:
	s_andn2_b64 vcc, exec, s[6:7]
	s_cbranch_vccnz .LBB219_38
; %bb.31:
	v_cmp_lt_f32_e32 vcc, 0, v11
	s_mov_b32 s2, 0
	v_cndmask_b32_e32 v0, 1.0, v11, vcc
	v_mul_lo_u32 v4, v8, s8
	s_cmp_eq_u32 s8, 1
	s_mov_b64 s[0:1], -1
	s_cbranch_scc1 .LBB219_35
; %bb.32:
	s_and_b32 s2, s8, 0x7ffffffe
	v_mov_b32_e32 v1, v0
	v_mov_b32_e32 v5, s17
	s_mov_b32 s3, s2
	v_mov_b32_e32 v2, v4
.LBB219_33:                             ; =>This Inner Loop Header: Depth=1
	v_ashrrev_i32_e32 v3, 31, v2
	v_lshlrev_b64 v[6:7], 2, v[2:3]
	v_add_co_u32_e32 v6, vcc, s16, v6
	v_addc_co_u32_e32 v7, vcc, v5, v7, vcc
	global_load_dwordx2 v[8:9], v[6:7], off
	s_add_i32 s3, s3, -2
	s_cmp_lg_u32 s3, 0
	v_add_u32_e32 v2, 2, v2
	s_waitcnt vmcnt(0)
	v_div_scale_f32 v3, s[0:1], v1, v1, v9
	v_div_scale_f32 v11, s[0:1], v0, v0, v8
	v_rcp_f32_e32 v12, v3
	v_rcp_f32_e32 v13, v11
	v_div_scale_f32 v10, vcc, v9, v1, v9
	v_fma_f32 v15, -v3, v12, 1.0
	v_fma_f32 v16, -v11, v13, 1.0
	v_fmac_f32_e32 v12, v15, v12
	v_div_scale_f32 v14, s[0:1], v8, v0, v8
	v_fmac_f32_e32 v13, v16, v13
	v_mul_f32_e32 v15, v10, v12
	v_mul_f32_e32 v16, v14, v13
	v_fma_f32 v17, -v3, v15, v10
	v_fma_f32 v18, -v11, v16, v14
	v_fmac_f32_e32 v15, v17, v12
	v_fmac_f32_e32 v16, v18, v13
	v_fma_f32 v3, -v3, v15, v10
	v_fma_f32 v10, -v11, v16, v14
	v_div_fmas_f32 v3, v3, v12, v15
	s_mov_b64 vcc, s[0:1]
	v_div_fixup_f32 v9, v3, v1, v9
	v_div_fmas_f32 v3, v10, v13, v16
	v_div_fixup_f32 v8, v3, v0, v8
	global_store_dwordx2 v[6:7], v[8:9], off
	s_cbranch_scc1 .LBB219_33
; %bb.34:
	s_cmp_lg_u32 s2, s8
	s_cselect_b64 s[0:1], -1, 0
.LBB219_35:
	s_and_b64 vcc, exec, s[0:1]
	s_cbranch_vccz .LBB219_38
; %bb.36:
	v_ashrrev_i32_e32 v1, 31, v4
	v_add_co_u32_e32 v2, vcc, s2, v4
	v_addc_co_u32_e32 v3, vcc, 0, v1, vcc
	v_lshlrev_b64 v[2:3], 2, v[2:3]
	v_mov_b32_e32 v1, s17
	v_add_co_u32_e32 v2, vcc, s16, v2
	s_sub_i32 s0, s8, s2
	v_addc_co_u32_e32 v3, vcc, v1, v3, vcc
.LBB219_37:                             ; =>This Inner Loop Header: Depth=1
	global_load_dword v1, v[2:3], off
	s_add_i32 s0, s0, -1
	s_cmp_lg_u32 s0, 0
	s_waitcnt vmcnt(0)
	v_div_scale_f32 v4, s[2:3], v0, v0, v1
	v_rcp_f32_e32 v5, v4
	v_div_scale_f32 v6, vcc, v1, v0, v1
	v_fma_f32 v7, -v4, v5, 1.0
	v_fmac_f32_e32 v5, v7, v5
	v_mul_f32_e32 v7, v6, v5
	v_fma_f32 v8, -v4, v7, v6
	v_fmac_f32_e32 v7, v8, v5
	v_fma_f32 v4, -v4, v7, v6
	v_div_fmas_f32 v4, v4, v5, v7
	v_div_fixup_f32 v1, v4, v0, v1
	global_store_dword v[2:3], v1, off
	v_add_co_u32_e32 v2, vcc, 4, v2
	v_addc_co_u32_e32 v3, vcc, 0, v3, vcc
	s_cbranch_scc1 .LBB219_37
.LBB219_38:
	s_endpgm
	.section	.rodata,"a",@progbits
	.p2align	6, 0x0
	.amdhsa_kernel _ZN4vllm3moe10topkGatingILi4ELi32ELi4ELi16ELi64EjfLNS0_11ScoringFuncE1EEEvPKT5_PKbPfiPT4_PiiiibPKf
		.amdhsa_group_segment_fixed_size 0
		.amdhsa_private_segment_fixed_size 0
		.amdhsa_kernarg_size 72
		.amdhsa_user_sgpr_count 6
		.amdhsa_user_sgpr_private_segment_buffer 1
		.amdhsa_user_sgpr_dispatch_ptr 0
		.amdhsa_user_sgpr_queue_ptr 0
		.amdhsa_user_sgpr_kernarg_segment_ptr 1
		.amdhsa_user_sgpr_dispatch_id 0
		.amdhsa_user_sgpr_flat_scratch_init 0
		.amdhsa_user_sgpr_kernarg_preload_length 0
		.amdhsa_user_sgpr_kernarg_preload_offset 0
		.amdhsa_user_sgpr_private_segment_size 0
		.amdhsa_uses_dynamic_stack 0
		.amdhsa_system_sgpr_private_segment_wavefront_offset 0
		.amdhsa_system_sgpr_workgroup_id_x 1
		.amdhsa_system_sgpr_workgroup_id_y 0
		.amdhsa_system_sgpr_workgroup_id_z 0
		.amdhsa_system_sgpr_workgroup_info 0
		.amdhsa_system_vgpr_workitem_id 1
		.amdhsa_next_free_vgpr 28
		.amdhsa_next_free_sgpr 26
		.amdhsa_accum_offset 28
		.amdhsa_reserve_vcc 1
		.amdhsa_reserve_flat_scratch 0
		.amdhsa_float_round_mode_32 0
		.amdhsa_float_round_mode_16_64 0
		.amdhsa_float_denorm_mode_32 3
		.amdhsa_float_denorm_mode_16_64 3
		.amdhsa_dx10_clamp 1
		.amdhsa_ieee_mode 1
		.amdhsa_fp16_overflow 0
		.amdhsa_tg_split 0
		.amdhsa_exception_fp_ieee_invalid_op 0
		.amdhsa_exception_fp_denorm_src 0
		.amdhsa_exception_fp_ieee_div_zero 0
		.amdhsa_exception_fp_ieee_overflow 0
		.amdhsa_exception_fp_ieee_underflow 0
		.amdhsa_exception_fp_ieee_inexact 0
		.amdhsa_exception_int_div_zero 0
	.end_amdhsa_kernel
	.section	.text._ZN4vllm3moe10topkGatingILi4ELi32ELi4ELi16ELi64EjfLNS0_11ScoringFuncE1EEEvPKT5_PKbPfiPT4_PiiiibPKf,"axG",@progbits,_ZN4vllm3moe10topkGatingILi4ELi32ELi4ELi16ELi64EjfLNS0_11ScoringFuncE1EEEvPKT5_PKbPfiPT4_PiiiibPKf,comdat
.Lfunc_end219:
	.size	_ZN4vllm3moe10topkGatingILi4ELi32ELi4ELi16ELi64EjfLNS0_11ScoringFuncE1EEEvPKT5_PKbPfiPT4_PiiiibPKf, .Lfunc_end219-_ZN4vllm3moe10topkGatingILi4ELi32ELi4ELi16ELi64EjfLNS0_11ScoringFuncE1EEEvPKT5_PKbPfiPT4_PiiiibPKf
                                        ; -- End function
	.section	.AMDGPU.csdata,"",@progbits
; Kernel info:
; codeLenInByte = 2188
; NumSgprs: 30
; NumVgprs: 28
; NumAgprs: 0
; TotalNumVgprs: 28
; ScratchSize: 0
; MemoryBound: 0
; FloatMode: 240
; IeeeMode: 1
; LDSByteSize: 0 bytes/workgroup (compile time only)
; SGPRBlocks: 3
; VGPRBlocks: 3
; NumSGPRsForWavesPerEU: 30
; NumVGPRsForWavesPerEU: 28
; AccumOffset: 28
; Occupancy: 8
; WaveLimiterHint : 0
; COMPUTE_PGM_RSRC2:SCRATCH_EN: 0
; COMPUTE_PGM_RSRC2:USER_SGPR: 6
; COMPUTE_PGM_RSRC2:TRAP_HANDLER: 0
; COMPUTE_PGM_RSRC2:TGID_X_EN: 1
; COMPUTE_PGM_RSRC2:TGID_Y_EN: 0
; COMPUTE_PGM_RSRC2:TGID_Z_EN: 0
; COMPUTE_PGM_RSRC2:TIDIG_COMP_CNT: 1
; COMPUTE_PGM_RSRC3_GFX90A:ACCUM_OFFSET: 6
; COMPUTE_PGM_RSRC3_GFX90A:TG_SPLIT: 0
	.section	.text._ZN4vllm3moe10topkGatingILi4ELi32ELi4ELi16ELi32EjfLNS0_11ScoringFuncE1EEEvPKT5_PKbPfiPT4_PiiiibPKf,"axG",@progbits,_ZN4vllm3moe10topkGatingILi4ELi32ELi4ELi16ELi32EjfLNS0_11ScoringFuncE1EEEvPKT5_PKbPfiPT4_PiiiibPKf,comdat
	.protected	_ZN4vllm3moe10topkGatingILi4ELi32ELi4ELi16ELi32EjfLNS0_11ScoringFuncE1EEEvPKT5_PKbPfiPT4_PiiiibPKf ; -- Begin function _ZN4vllm3moe10topkGatingILi4ELi32ELi4ELi16ELi32EjfLNS0_11ScoringFuncE1EEEvPKT5_PKbPfiPT4_PiiiibPKf
	.globl	_ZN4vllm3moe10topkGatingILi4ELi32ELi4ELi16ELi32EjfLNS0_11ScoringFuncE1EEEvPKT5_PKbPfiPT4_PiiiibPKf
	.p2align	8
	.type	_ZN4vllm3moe10topkGatingILi4ELi32ELi4ELi16ELi32EjfLNS0_11ScoringFuncE1EEEvPKT5_PKbPfiPT4_PiiiibPKf,@function
_ZN4vllm3moe10topkGatingILi4ELi32ELi4ELi16ELi32EjfLNS0_11ScoringFuncE1EEEvPKT5_PKbPfiPT4_PiiiibPKf: ; @_ZN4vllm3moe10topkGatingILi4ELi32ELi4ELi16ELi32EjfLNS0_11ScoringFuncE1EEEvPKT5_PKbPfiPT4_PiiiibPKf
; %bb.0:
	s_load_dword s24, s[4:5], 0x18
	v_bfe_u32 v1, v0, 10, 10
	v_and_b32_e32 v0, 0x3ff, v0
	s_lshl_b32 s0, s6, 4
	v_lshlrev_b32_e32 v1, 2, v1
	v_lshrrev_b32_e32 v2, 3, v0
	v_add3_u32 v8, s0, v1, v2
	s_waitcnt lgkmcnt(0)
	v_cmp_gt_i32_e32 vcc, s24, v8
	s_and_saveexec_b64 s[0:1], vcc
	s_cbranch_execz .LBB220_38
; %bb.1:
	s_load_dwordx4 s[0:3], s[4:5], 0x0
	s_load_dwordx2 s[16:17], s[4:5], 0x10
	s_mov_b64 s[8:9], -1
	s_mov_b64 s[18:19], -1
	s_waitcnt lgkmcnt(0)
	s_cmp_eq_u64 s[2:3], 0
	s_cbranch_scc1 .LBB220_3
; %bb.2:
	v_ashrrev_i32_e32 v1, 31, v8
	v_mov_b32_e32 v3, s3
	v_add_co_u32_e32 v2, vcc, s2, v8
	v_addc_co_u32_e32 v3, vcc, v3, v1, vcc
	global_load_ubyte v1, v[2:3], off
	s_waitcnt vmcnt(0)
	v_and_b32_e32 v1, 1, v1
	v_cmp_eq_u32_e32 vcc, 1, v1
	s_xor_b64 s[2:3], vcc, -1
	s_orn2_b64 s[18:19], s[2:3], exec
.LBB220_3:
	v_lshlrev_b32_e32 v2, 5, v8
	v_ashrrev_i32_e32 v3, 31, v2
	v_lshlrev_b64 v[2:3], 2, v[2:3]
	v_mov_b32_e32 v1, s1
	v_add_co_u32_e32 v2, vcc, s0, v2
	v_and_b32_e32 v9, 7, v0
	v_addc_co_u32_e32 v1, vcc, v1, v3, vcc
	v_lshlrev_b32_e32 v0, 4, v9
	v_add_co_u32_e32 v0, vcc, v2, v0
	v_addc_co_u32_e32 v1, vcc, 0, v1, vcc
	global_load_dwordx4 v[0:3], v[0:1], off
	v_mov_b32_e32 v4, 0x207
	s_load_dwordx2 s[10:11], s[4:5], 0x40
	v_lshlrev_b32_e32 v10, 2, v9
	s_waitcnt lgkmcnt(0)
	s_cmp_eq_u64 s[10:11], 0
	s_waitcnt vmcnt(0)
	v_mul_f32_e32 v0, 0xbfb8aa3b, v0
	v_mul_f32_e32 v1, 0xbfb8aa3b, v1
	v_exp_f32_e32 v0, v0
	v_exp_f32_e32 v1, v1
	v_mul_f32_e32 v2, 0xbfb8aa3b, v2
	v_mul_f32_e32 v3, 0xbfb8aa3b, v3
	v_exp_f32_e32 v2, v2
	v_exp_f32_e32 v3, v3
	v_pk_add_f32 v[0:1], v[0:1], 1.0 op_sel_hi:[1,0]
	v_div_scale_f32 v5, s[0:1], v1, v1, 1.0
	v_rcp_f32_e32 v16, v5
	v_div_scale_f32 v7, s[0:1], v0, v0, 1.0
	v_pk_add_f32 v[2:3], v[2:3], 1.0 op_sel_hi:[1,0]
	v_rcp_f32_e32 v17, v7
	v_div_scale_f32 v12, s[2:3], v3, v3, 1.0
	v_rcp_f32_e32 v18, v12
	v_fma_f32 v20, -v5, v16, 1.0
	v_div_scale_f32 v6, vcc, 1.0, v1, 1.0
	v_div_scale_f32 v14, s[6:7], v2, v2, 1.0
	v_fmac_f32_e32 v16, v20, v16
	v_rcp_f32_e32 v19, v14
	v_fma_f32 v21, -v7, v17, 1.0
	v_mul_f32_e32 v20, v6, v16
	v_div_scale_f32 v11, s[0:1], 1.0, v0, 1.0
	v_fmac_f32_e32 v17, v21, v17
	v_fma_f32 v24, -v5, v20, v6
	v_fma_f32 v22, -v12, v18, 1.0
	v_mul_f32_e32 v21, v11, v17
	v_fmac_f32_e32 v20, v24, v16
	v_div_scale_f32 v13, s[2:3], 1.0, v3, 1.0
	v_fmac_f32_e32 v18, v22, v18
	v_fma_f32 v25, -v7, v21, v11
	v_fma_f32 v5, -v5, v20, v6
	v_fma_f32 v23, -v14, v19, 1.0
	v_mul_f32_e32 v22, v13, v18
	v_fmac_f32_e32 v21, v25, v17
	v_div_fmas_f32 v5, v5, v16, v20
	v_div_scale_f32 v15, s[6:7], 1.0, v2, 1.0
	v_fmac_f32_e32 v19, v23, v19
	v_fma_f32 v26, -v12, v22, v13
	v_fma_f32 v6, -v7, v21, v11
	v_div_fixup_f32 v1, v5, v1, 1.0
	s_mov_b64 vcc, s[0:1]
	v_mul_f32_e32 v23, v15, v19
	v_fmac_f32_e32 v22, v26, v18
	v_div_fmas_f32 v5, v6, v17, v21
	v_cmp_class_f32_e32 vcc, v1, v4
	v_fma_f32 v27, -v14, v23, v15
	v_fma_f32 v7, -v12, v22, v13
	v_div_fixup_f32 v0, v5, v0, 1.0
	v_cndmask_b32_e64 v1, v1, 0, vcc
	s_mov_b64 vcc, s[2:3]
	v_fmac_f32_e32 v23, v27, v19
	v_div_fmas_f32 v5, v7, v18, v22
	v_cmp_class_f32_e32 vcc, v0, v4
	v_fma_f32 v11, -v14, v23, v15
	v_cndmask_b32_e64 v0, v0, 0, vcc
	s_mov_b64 vcc, s[6:7]
	v_div_fixup_f32 v3, v5, v3, 1.0
	v_div_fmas_f32 v5, v11, v19, v23
	v_div_fixup_f32 v2, v5, v2, 1.0
	v_cmp_class_f32_e32 vcc, v3, v4
	v_cndmask_b32_e64 v3, v3, 0, vcc
	v_cmp_class_f32_e32 vcc, v2, v4
	v_cndmask_b32_e64 v2, v2, 0, vcc
	s_cbranch_scc1 .LBB220_27
; %bb.4:
	v_lshlrev_b32_e32 v4, 2, v10
	global_load_dwordx4 v[4:7], v4, s[10:11]
	s_waitcnt vmcnt(0)
	v_pk_add_f32 v[4:5], v[4:5], v[0:1]
	v_pk_add_f32 v[6:7], v[6:7], v[2:3]
	s_cbranch_execnz .LBB220_6
.LBB220_5:
	v_pk_mov_b32 v[6:7], v[2:3], v[2:3] op_sel:[0,1]
	v_pk_mov_b32 v[4:5], v[0:1], v[0:1] op_sel:[0,1]
.LBB220_6:
	s_load_dwordx4 s[8:11], s[4:5], 0x30
	s_mov_b32 s25, 0
	v_cmp_eq_u32_e64 s[0:1], 0, v9
	s_waitcnt lgkmcnt(0)
	s_bitcmp1_b32 s11, 0
	s_cselect_b64 vcc, -1, 0
	s_cmp_gt_i32 s8, 0
	s_cselect_b64 s[6:7], -1, 0
	s_cmp_lt_i32 s8, 1
	s_cbranch_scc1 .LBB220_28
; %bb.7:
	v_mbcnt_lo_u32_b32 v11, -1, 0
	v_mbcnt_hi_u32_b32 v11, -1, v11
	v_and_b32_e32 v12, 0x78, v11
	v_add_u32_e32 v15, 8, v12
	v_xor_b32_e32 v13, 4, v11
	s_load_dwordx4 s[12:15], s[4:5], 0x20
	v_cmp_lt_i32_e64 s[2:3], v13, v15
	v_xor_b32_e32 v14, 2, v11
	v_cndmask_b32_e64 v13, v11, v13, s[2:3]
	v_cmp_lt_i32_e64 s[2:3], v14, v15
	v_xor_b32_e32 v16, 1, v11
	v_cndmask_b32_e64 v14, v11, v14, s[2:3]
	v_cmp_lt_i32_e64 s[2:3], v16, v15
	v_cndmask_b32_e64 v11, v11, v16, s[2:3]
	v_mul_lo_u32 v12, v8, s8
	v_lshlrev_b32_e32 v13, 2, v13
	v_lshlrev_b32_e32 v14, 2, v14
	;; [unrolled: 1-line block ×3, first 2 shown]
	v_mov_b32_e32 v11, 0
	v_mov_b32_e32 v16, 0xc61c4000
	;; [unrolled: 1-line block ×3, first 2 shown]
	s_branch .LBB220_10
.LBB220_8:                              ;   in Loop: Header=BB220_10 Depth=1
	s_or_b64 exec, exec, s[4:5]
.LBB220_9:                              ;   in Loop: Header=BB220_10 Depth=1
	s_cmp_eq_u32 s8, s25
	v_add_u32_e32 v17, s24, v17
	s_cbranch_scc1 .LBB220_29
.LBB220_10:                             ; =>This Inner Loop Header: Depth=1
	v_cmp_gt_f32_e64 s[2:3], v5, v4
	v_cndmask_b32_e64 v20, v4, v5, s[2:3]
	v_cndmask_b32_e64 v18, 0, 1, s[2:3]
	;; [unrolled: 1-line block ×3, first 2 shown]
	v_cmp_gt_f32_e64 s[2:3], v6, v20
	v_cndmask_b32_e64 v20, v20, v6, s[2:3]
	v_cndmask_b32_e64 v18, v18, 2, s[2:3]
	;; [unrolled: 1-line block ×3, first 2 shown]
	v_cmp_gt_f32_e64 s[2:3], v7, v20
	v_cndmask_b32_e64 v18, v18, 3, s[2:3]
	v_cndmask_b32_e64 v20, v20, v7, s[2:3]
	v_or_b32_e32 v18, v10, v18
	v_cndmask_b32_e64 v19, v19, v3, s[2:3]
	s_waitcnt lgkmcnt(0)
	ds_bpermute_b32 v21, v13, v20
	ds_bpermute_b32 v23, v13, v19
	;; [unrolled: 1-line block ×3, first 2 shown]
	s_waitcnt lgkmcnt(0)
	v_cmp_lt_f32_e64 s[20:21], v20, v21
	v_cmp_nlt_f32_e64 s[2:3], v20, v21
	s_and_saveexec_b64 s[22:23], s[2:3]
; %bb.11:                               ;   in Loop: Header=BB220_10 Depth=1
	v_cmp_eq_f32_e64 s[2:3], v20, v21
	v_cmp_lt_i32_e64 s[4:5], v22, v18
	s_and_b64 s[2:3], s[2:3], s[4:5]
	s_andn2_b64 s[4:5], s[20:21], exec
	s_and_b64 s[2:3], s[2:3], exec
	s_or_b64 s[20:21], s[4:5], s[2:3]
; %bb.12:                               ;   in Loop: Header=BB220_10 Depth=1
	s_or_b64 exec, exec, s[22:23]
	s_and_saveexec_b64 s[2:3], s[20:21]
; %bb.13:                               ;   in Loop: Header=BB220_10 Depth=1
	v_mov_b32_e32 v19, v23
	v_mov_b32_e32 v20, v21
	;; [unrolled: 1-line block ×3, first 2 shown]
; %bb.14:                               ;   in Loop: Header=BB220_10 Depth=1
	s_or_b64 exec, exec, s[2:3]
	ds_bpermute_b32 v21, v14, v20
	ds_bpermute_b32 v23, v14, v19
	;; [unrolled: 1-line block ×3, first 2 shown]
	s_waitcnt lgkmcnt(2)
	v_cmp_lt_f32_e64 s[20:21], v20, v21
	v_cmp_nlt_f32_e64 s[2:3], v20, v21
	s_and_saveexec_b64 s[22:23], s[2:3]
	s_cbranch_execz .LBB220_16
; %bb.15:                               ;   in Loop: Header=BB220_10 Depth=1
	v_cmp_eq_f32_e64 s[2:3], v20, v21
	s_waitcnt lgkmcnt(0)
	v_cmp_lt_i32_e64 s[4:5], v22, v18
	s_and_b64 s[2:3], s[2:3], s[4:5]
	s_andn2_b64 s[4:5], s[20:21], exec
	s_and_b64 s[2:3], s[2:3], exec
	s_or_b64 s[20:21], s[4:5], s[2:3]
.LBB220_16:                             ;   in Loop: Header=BB220_10 Depth=1
	s_or_b64 exec, exec, s[22:23]
	s_and_saveexec_b64 s[2:3], s[20:21]
	s_cbranch_execz .LBB220_18
; %bb.17:                               ;   in Loop: Header=BB220_10 Depth=1
	s_waitcnt lgkmcnt(1)
	v_mov_b32_e32 v19, v23
	v_mov_b32_e32 v20, v21
	s_waitcnt lgkmcnt(0)
	v_mov_b32_e32 v18, v22
.LBB220_18:                             ;   in Loop: Header=BB220_10 Depth=1
	s_or_b64 exec, exec, s[2:3]
	s_waitcnt lgkmcnt(1)
	ds_bpermute_b32 v23, v15, v20
	ds_bpermute_b32 v21, v15, v19
	s_waitcnt lgkmcnt(2)
	ds_bpermute_b32 v22, v15, v18
	s_waitcnt lgkmcnt(2)
	v_cmp_lt_f32_e64 s[20:21], v20, v23
	v_cmp_nlt_f32_e64 s[2:3], v20, v23
	s_and_saveexec_b64 s[22:23], s[2:3]
	s_cbranch_execnz .LBB220_22
; %bb.19:                               ;   in Loop: Header=BB220_10 Depth=1
	s_or_b64 exec, exec, s[22:23]
	s_and_saveexec_b64 s[2:3], s[20:21]
	s_cbranch_execnz .LBB220_23
.LBB220_20:                             ;   in Loop: Header=BB220_10 Depth=1
	s_or_b64 exec, exec, s[2:3]
	s_and_saveexec_b64 s[20:21], s[0:1]
	s_cbranch_execnz .LBB220_24
.LBB220_21:                             ;   in Loop: Header=BB220_10 Depth=1
	s_or_b64 exec, exec, s[20:21]
	s_add_i32 s25, s25, 1
	s_cmp_ge_i32 s25, s8
	s_cbranch_scc1 .LBB220_9
	s_branch .LBB220_25
.LBB220_22:                             ;   in Loop: Header=BB220_10 Depth=1
	v_cmp_eq_f32_e64 s[2:3], v20, v23
	s_waitcnt lgkmcnt(0)
	v_cmp_lt_i32_e64 s[4:5], v22, v18
	s_and_b64 s[2:3], s[2:3], s[4:5]
	s_andn2_b64 s[4:5], s[20:21], exec
	s_and_b64 s[2:3], s[2:3], exec
	s_or_b64 s[20:21], s[4:5], s[2:3]
	s_or_b64 exec, exec, s[22:23]
	s_and_saveexec_b64 s[2:3], s[20:21]
	s_cbranch_execz .LBB220_20
.LBB220_23:                             ;   in Loop: Header=BB220_10 Depth=1
	s_waitcnt lgkmcnt(0)
	v_mov_b32_e32 v18, v22
	v_mov_b32_e32 v19, v21
	s_or_b64 exec, exec, s[2:3]
	s_and_saveexec_b64 s[20:21], s[0:1]
	s_cbranch_execz .LBB220_21
.LBB220_24:                             ;   in Loop: Header=BB220_10 Depth=1
	v_add_u32_e32 v20, s25, v12
	s_waitcnt lgkmcnt(1)
	v_ashrrev_i32_e32 v21, 31, v20
	v_cmp_le_i32_e64 s[2:3], s9, v18
	v_cmp_gt_i32_e64 s[4:5], s10, v18
	v_lshlrev_b64 v[20:21], 2, v[20:21]
	s_and_b64 s[4:5], s[2:3], s[4:5]
	v_mov_b32_e32 v23, s17
	s_waitcnt lgkmcnt(0)
	v_add_co_u32_e64 v22, s[2:3], s16, v20
	v_addc_co_u32_e64 v23, s[2:3], v23, v21, s[2:3]
	global_store_dword v[22:23], v19, off
	v_subrev_u32_e32 v22, s9, v18
	s_and_b64 s[2:3], s[18:19], s[4:5]
	v_cndmask_b32_e64 v24, 32, v22, s[2:3]
	v_mov_b32_e32 v23, s13
	v_add_co_u32_e64 v22, s[2:3], s12, v20
	v_addc_co_u32_e64 v23, s[2:3], v23, v21, s[2:3]
	global_store_dword v[22:23], v24, off
	v_mov_b32_e32 v22, s15
	v_add_co_u32_e64 v20, s[2:3], s14, v20
	v_add_f32_e32 v19, v11, v19
	v_addc_co_u32_e64 v21, s[2:3], v22, v21, s[2:3]
	v_cndmask_b32_e32 v11, v11, v19, vcc
	global_store_dword v[20:21], v17, off
	s_or_b64 exec, exec, s[20:21]
	s_add_i32 s25, s25, 1
	s_cmp_ge_i32 s25, s8
	s_cbranch_scc1 .LBB220_9
.LBB220_25:                             ;   in Loop: Header=BB220_10 Depth=1
	v_ashrrev_i32_e32 v20, 31, v18
	v_lshrrev_b32_e32 v19, 30, v20
	v_add_u32_e32 v19, v18, v19
	v_ashrrev_i32_e32 v19, 2, v19
	s_waitcnt lgkmcnt(1)
	v_lshrrev_b32_e32 v21, 29, v19
	v_add_u32_e32 v21, v19, v21
	v_and_b32_e32 v21, -8, v21
	v_sub_u32_e32 v21, v19, v21
	v_cmp_eq_u32_e64 s[2:3], v9, v21
	s_and_saveexec_b64 s[4:5], s[2:3]
	s_cbranch_execz .LBB220_8
; %bb.26:                               ;   in Loop: Header=BB220_10 Depth=1
	v_lshrrev_b32_e32 v20, 27, v20
	v_add_u32_e32 v20, v18, v20
	v_lshlrev_b32_e32 v19, 2, v19
	v_ashrrev_i32_e32 v20, 5, v20
	v_sub_u32_e32 v18, v18, v19
	v_lshl_add_u32 v18, v20, 2, v18
	v_cmp_ne_u32_e64 s[2:3], 3, v18
	v_cndmask_b32_e64 v7, v16, v7, s[2:3]
	v_cmp_ne_u32_e64 s[2:3], 2, v18
	v_cndmask_b32_e64 v6, v16, v6, s[2:3]
	;; [unrolled: 2-line block ×4, first 2 shown]
	s_branch .LBB220_8
.LBB220_27:
                                        ; implicit-def: $vgpr4_vgpr5_vgpr6_vgpr7
	s_andn2_b64 vcc, exec, s[8:9]
	s_cbranch_vccz .LBB220_5
	s_branch .LBB220_6
.LBB220_28:
	v_mov_b32_e32 v11, 0
.LBB220_29:
	v_cmp_eq_u32_e64 s[0:1], 0, v9
	s_and_b64 s[0:1], s[0:1], vcc
	s_and_b64 exec, exec, s[0:1]
	s_cbranch_execz .LBB220_38
; %bb.30:
	s_andn2_b64 vcc, exec, s[6:7]
	s_cbranch_vccnz .LBB220_38
; %bb.31:
	v_cmp_lt_f32_e32 vcc, 0, v11
	s_mov_b32 s2, 0
	v_cndmask_b32_e32 v0, 1.0, v11, vcc
	v_mul_lo_u32 v4, v8, s8
	s_cmp_eq_u32 s8, 1
	s_mov_b64 s[0:1], -1
	s_cbranch_scc1 .LBB220_35
; %bb.32:
	s_and_b32 s2, s8, 0x7ffffffe
	v_mov_b32_e32 v1, v0
	v_mov_b32_e32 v5, s17
	s_mov_b32 s3, s2
	v_mov_b32_e32 v2, v4
.LBB220_33:                             ; =>This Inner Loop Header: Depth=1
	v_ashrrev_i32_e32 v3, 31, v2
	v_lshlrev_b64 v[6:7], 2, v[2:3]
	v_add_co_u32_e32 v6, vcc, s16, v6
	v_addc_co_u32_e32 v7, vcc, v5, v7, vcc
	global_load_dwordx2 v[8:9], v[6:7], off
	s_add_i32 s3, s3, -2
	s_cmp_lg_u32 s3, 0
	v_add_u32_e32 v2, 2, v2
	s_waitcnt vmcnt(0)
	v_div_scale_f32 v3, s[0:1], v1, v1, v9
	v_div_scale_f32 v11, s[0:1], v0, v0, v8
	v_rcp_f32_e32 v12, v3
	v_rcp_f32_e32 v13, v11
	v_div_scale_f32 v10, vcc, v9, v1, v9
	v_fma_f32 v15, -v3, v12, 1.0
	v_fma_f32 v16, -v11, v13, 1.0
	v_fmac_f32_e32 v12, v15, v12
	v_div_scale_f32 v14, s[0:1], v8, v0, v8
	v_fmac_f32_e32 v13, v16, v13
	v_mul_f32_e32 v15, v10, v12
	v_mul_f32_e32 v16, v14, v13
	v_fma_f32 v17, -v3, v15, v10
	v_fma_f32 v18, -v11, v16, v14
	v_fmac_f32_e32 v15, v17, v12
	v_fmac_f32_e32 v16, v18, v13
	v_fma_f32 v3, -v3, v15, v10
	v_fma_f32 v10, -v11, v16, v14
	v_div_fmas_f32 v3, v3, v12, v15
	s_mov_b64 vcc, s[0:1]
	v_div_fixup_f32 v9, v3, v1, v9
	v_div_fmas_f32 v3, v10, v13, v16
	v_div_fixup_f32 v8, v3, v0, v8
	global_store_dwordx2 v[6:7], v[8:9], off
	s_cbranch_scc1 .LBB220_33
; %bb.34:
	s_cmp_lg_u32 s2, s8
	s_cselect_b64 s[0:1], -1, 0
.LBB220_35:
	s_and_b64 vcc, exec, s[0:1]
	s_cbranch_vccz .LBB220_38
; %bb.36:
	v_ashrrev_i32_e32 v1, 31, v4
	v_add_co_u32_e32 v2, vcc, s2, v4
	v_addc_co_u32_e32 v3, vcc, 0, v1, vcc
	v_lshlrev_b64 v[2:3], 2, v[2:3]
	v_mov_b32_e32 v1, s17
	v_add_co_u32_e32 v2, vcc, s16, v2
	s_sub_i32 s0, s8, s2
	v_addc_co_u32_e32 v3, vcc, v1, v3, vcc
.LBB220_37:                             ; =>This Inner Loop Header: Depth=1
	global_load_dword v1, v[2:3], off
	s_add_i32 s0, s0, -1
	s_cmp_lg_u32 s0, 0
	s_waitcnt vmcnt(0)
	v_div_scale_f32 v4, s[2:3], v0, v0, v1
	v_rcp_f32_e32 v5, v4
	v_div_scale_f32 v6, vcc, v1, v0, v1
	v_fma_f32 v7, -v4, v5, 1.0
	v_fmac_f32_e32 v5, v7, v5
	v_mul_f32_e32 v7, v6, v5
	v_fma_f32 v8, -v4, v7, v6
	v_fmac_f32_e32 v7, v8, v5
	v_fma_f32 v4, -v4, v7, v6
	v_div_fmas_f32 v4, v4, v5, v7
	v_div_fixup_f32 v1, v4, v0, v1
	global_store_dword v[2:3], v1, off
	v_add_co_u32_e32 v2, vcc, 4, v2
	v_addc_co_u32_e32 v3, vcc, 0, v3, vcc
	s_cbranch_scc1 .LBB220_37
.LBB220_38:
	s_endpgm
	.section	.rodata,"a",@progbits
	.p2align	6, 0x0
	.amdhsa_kernel _ZN4vllm3moe10topkGatingILi4ELi32ELi4ELi16ELi32EjfLNS0_11ScoringFuncE1EEEvPKT5_PKbPfiPT4_PiiiibPKf
		.amdhsa_group_segment_fixed_size 0
		.amdhsa_private_segment_fixed_size 0
		.amdhsa_kernarg_size 72
		.amdhsa_user_sgpr_count 6
		.amdhsa_user_sgpr_private_segment_buffer 1
		.amdhsa_user_sgpr_dispatch_ptr 0
		.amdhsa_user_sgpr_queue_ptr 0
		.amdhsa_user_sgpr_kernarg_segment_ptr 1
		.amdhsa_user_sgpr_dispatch_id 0
		.amdhsa_user_sgpr_flat_scratch_init 0
		.amdhsa_user_sgpr_kernarg_preload_length 0
		.amdhsa_user_sgpr_kernarg_preload_offset 0
		.amdhsa_user_sgpr_private_segment_size 0
		.amdhsa_uses_dynamic_stack 0
		.amdhsa_system_sgpr_private_segment_wavefront_offset 0
		.amdhsa_system_sgpr_workgroup_id_x 1
		.amdhsa_system_sgpr_workgroup_id_y 0
		.amdhsa_system_sgpr_workgroup_id_z 0
		.amdhsa_system_sgpr_workgroup_info 0
		.amdhsa_system_vgpr_workitem_id 1
		.amdhsa_next_free_vgpr 28
		.amdhsa_next_free_sgpr 26
		.amdhsa_accum_offset 28
		.amdhsa_reserve_vcc 1
		.amdhsa_reserve_flat_scratch 0
		.amdhsa_float_round_mode_32 0
		.amdhsa_float_round_mode_16_64 0
		.amdhsa_float_denorm_mode_32 3
		.amdhsa_float_denorm_mode_16_64 3
		.amdhsa_dx10_clamp 1
		.amdhsa_ieee_mode 1
		.amdhsa_fp16_overflow 0
		.amdhsa_tg_split 0
		.amdhsa_exception_fp_ieee_invalid_op 0
		.amdhsa_exception_fp_denorm_src 0
		.amdhsa_exception_fp_ieee_div_zero 0
		.amdhsa_exception_fp_ieee_overflow 0
		.amdhsa_exception_fp_ieee_underflow 0
		.amdhsa_exception_fp_ieee_inexact 0
		.amdhsa_exception_int_div_zero 0
	.end_amdhsa_kernel
	.section	.text._ZN4vllm3moe10topkGatingILi4ELi32ELi4ELi16ELi32EjfLNS0_11ScoringFuncE1EEEvPKT5_PKbPfiPT4_PiiiibPKf,"axG",@progbits,_ZN4vllm3moe10topkGatingILi4ELi32ELi4ELi16ELi32EjfLNS0_11ScoringFuncE1EEEvPKT5_PKbPfiPT4_PiiiibPKf,comdat
.Lfunc_end220:
	.size	_ZN4vllm3moe10topkGatingILi4ELi32ELi4ELi16ELi32EjfLNS0_11ScoringFuncE1EEEvPKT5_PKbPfiPT4_PiiiibPKf, .Lfunc_end220-_ZN4vllm3moe10topkGatingILi4ELi32ELi4ELi16ELi32EjfLNS0_11ScoringFuncE1EEEvPKT5_PKbPfiPT4_PiiiibPKf
                                        ; -- End function
	.section	.AMDGPU.csdata,"",@progbits
; Kernel info:
; codeLenInByte = 2188
; NumSgprs: 30
; NumVgprs: 28
; NumAgprs: 0
; TotalNumVgprs: 28
; ScratchSize: 0
; MemoryBound: 0
; FloatMode: 240
; IeeeMode: 1
; LDSByteSize: 0 bytes/workgroup (compile time only)
; SGPRBlocks: 3
; VGPRBlocks: 3
; NumSGPRsForWavesPerEU: 30
; NumVGPRsForWavesPerEU: 28
; AccumOffset: 28
; Occupancy: 8
; WaveLimiterHint : 0
; COMPUTE_PGM_RSRC2:SCRATCH_EN: 0
; COMPUTE_PGM_RSRC2:USER_SGPR: 6
; COMPUTE_PGM_RSRC2:TRAP_HANDLER: 0
; COMPUTE_PGM_RSRC2:TGID_X_EN: 1
; COMPUTE_PGM_RSRC2:TGID_Y_EN: 0
; COMPUTE_PGM_RSRC2:TGID_Z_EN: 0
; COMPUTE_PGM_RSRC2:TIDIG_COMP_CNT: 1
; COMPUTE_PGM_RSRC3_GFX90A:ACCUM_OFFSET: 6
; COMPUTE_PGM_RSRC3_GFX90A:TG_SPLIT: 0
	.section	.text._ZN4vllm3moe10topkGatingILi4ELi64ELi4ELi16ELi64EjfLNS0_11ScoringFuncE1EEEvPKT5_PKbPfiPT4_PiiiibPKf,"axG",@progbits,_ZN4vllm3moe10topkGatingILi4ELi64ELi4ELi16ELi64EjfLNS0_11ScoringFuncE1EEEvPKT5_PKbPfiPT4_PiiiibPKf,comdat
	.protected	_ZN4vllm3moe10topkGatingILi4ELi64ELi4ELi16ELi64EjfLNS0_11ScoringFuncE1EEEvPKT5_PKbPfiPT4_PiiiibPKf ; -- Begin function _ZN4vllm3moe10topkGatingILi4ELi64ELi4ELi16ELi64EjfLNS0_11ScoringFuncE1EEEvPKT5_PKbPfiPT4_PiiiibPKf
	.globl	_ZN4vllm3moe10topkGatingILi4ELi64ELi4ELi16ELi64EjfLNS0_11ScoringFuncE1EEEvPKT5_PKbPfiPT4_PiiiibPKf
	.p2align	8
	.type	_ZN4vllm3moe10topkGatingILi4ELi64ELi4ELi16ELi64EjfLNS0_11ScoringFuncE1EEEvPKT5_PKbPfiPT4_PiiiibPKf,@function
_ZN4vllm3moe10topkGatingILi4ELi64ELi4ELi16ELi64EjfLNS0_11ScoringFuncE1EEEvPKT5_PKbPfiPT4_PiiiibPKf: ; @_ZN4vllm3moe10topkGatingILi4ELi64ELi4ELi16ELi64EjfLNS0_11ScoringFuncE1EEEvPKT5_PKbPfiPT4_PiiiibPKf
; %bb.0:
	s_load_dword s24, s[4:5], 0x18
	v_bfe_u32 v1, v0, 10, 10
	v_and_b32_e32 v0, 0x3ff, v0
	s_lshl_b32 s0, s6, 4
	v_lshlrev_b32_e32 v1, 2, v1
	v_lshrrev_b32_e32 v2, 4, v0
	v_add3_u32 v8, s0, v1, v2
	s_waitcnt lgkmcnt(0)
	v_cmp_gt_i32_e32 vcc, s24, v8
	s_and_saveexec_b64 s[0:1], vcc
	s_cbranch_execz .LBB221_42
; %bb.1:
	s_load_dwordx4 s[0:3], s[4:5], 0x0
	s_load_dwordx2 s[16:17], s[4:5], 0x10
	s_mov_b64 s[8:9], -1
	s_mov_b64 s[18:19], -1
	s_waitcnt lgkmcnt(0)
	s_cmp_eq_u64 s[2:3], 0
	s_cbranch_scc1 .LBB221_3
; %bb.2:
	v_ashrrev_i32_e32 v1, 31, v8
	v_mov_b32_e32 v3, s3
	v_add_co_u32_e32 v2, vcc, s2, v8
	v_addc_co_u32_e32 v3, vcc, v3, v1, vcc
	global_load_ubyte v1, v[2:3], off
	s_waitcnt vmcnt(0)
	v_and_b32_e32 v1, 1, v1
	v_cmp_eq_u32_e32 vcc, 1, v1
	s_xor_b64 s[2:3], vcc, -1
	s_orn2_b64 s[18:19], s[2:3], exec
.LBB221_3:
	v_lshlrev_b32_e32 v2, 6, v8
	v_ashrrev_i32_e32 v3, 31, v2
	v_lshlrev_b64 v[2:3], 2, v[2:3]
	v_mov_b32_e32 v1, s1
	v_add_co_u32_e32 v2, vcc, s0, v2
	v_and_b32_e32 v9, 15, v0
	v_addc_co_u32_e32 v1, vcc, v1, v3, vcc
	v_lshlrev_b32_e32 v0, 4, v9
	v_add_co_u32_e32 v0, vcc, v2, v0
	v_addc_co_u32_e32 v1, vcc, 0, v1, vcc
	global_load_dwordx4 v[0:3], v[0:1], off
	v_mov_b32_e32 v4, 0x207
	s_load_dwordx2 s[10:11], s[4:5], 0x40
	v_lshlrev_b32_e32 v10, 2, v9
	s_waitcnt lgkmcnt(0)
	s_cmp_eq_u64 s[10:11], 0
	s_waitcnt vmcnt(0)
	v_mul_f32_e32 v0, 0xbfb8aa3b, v0
	v_mul_f32_e32 v1, 0xbfb8aa3b, v1
	v_exp_f32_e32 v0, v0
	v_exp_f32_e32 v1, v1
	v_mul_f32_e32 v2, 0xbfb8aa3b, v2
	v_mul_f32_e32 v3, 0xbfb8aa3b, v3
	v_exp_f32_e32 v2, v2
	v_exp_f32_e32 v3, v3
	v_pk_add_f32 v[0:1], v[0:1], 1.0 op_sel_hi:[1,0]
	v_div_scale_f32 v5, s[0:1], v1, v1, 1.0
	v_rcp_f32_e32 v16, v5
	v_div_scale_f32 v7, s[0:1], v0, v0, 1.0
	v_pk_add_f32 v[2:3], v[2:3], 1.0 op_sel_hi:[1,0]
	v_rcp_f32_e32 v17, v7
	v_div_scale_f32 v12, s[2:3], v3, v3, 1.0
	v_rcp_f32_e32 v18, v12
	v_fma_f32 v20, -v5, v16, 1.0
	v_div_scale_f32 v6, vcc, 1.0, v1, 1.0
	v_div_scale_f32 v14, s[6:7], v2, v2, 1.0
	v_fmac_f32_e32 v16, v20, v16
	v_rcp_f32_e32 v19, v14
	v_fma_f32 v21, -v7, v17, 1.0
	v_mul_f32_e32 v20, v6, v16
	v_div_scale_f32 v11, s[0:1], 1.0, v0, 1.0
	v_fmac_f32_e32 v17, v21, v17
	v_fma_f32 v24, -v5, v20, v6
	v_fma_f32 v22, -v12, v18, 1.0
	v_mul_f32_e32 v21, v11, v17
	v_fmac_f32_e32 v20, v24, v16
	v_div_scale_f32 v13, s[2:3], 1.0, v3, 1.0
	v_fmac_f32_e32 v18, v22, v18
	v_fma_f32 v25, -v7, v21, v11
	v_fma_f32 v5, -v5, v20, v6
	v_fma_f32 v23, -v14, v19, 1.0
	v_mul_f32_e32 v22, v13, v18
	v_fmac_f32_e32 v21, v25, v17
	v_div_fmas_f32 v5, v5, v16, v20
	v_div_scale_f32 v15, s[6:7], 1.0, v2, 1.0
	v_fmac_f32_e32 v19, v23, v19
	v_fma_f32 v26, -v12, v22, v13
	v_fma_f32 v6, -v7, v21, v11
	v_div_fixup_f32 v1, v5, v1, 1.0
	s_mov_b64 vcc, s[0:1]
	v_mul_f32_e32 v23, v15, v19
	v_fmac_f32_e32 v22, v26, v18
	v_div_fmas_f32 v5, v6, v17, v21
	v_cmp_class_f32_e32 vcc, v1, v4
	v_fma_f32 v27, -v14, v23, v15
	v_fma_f32 v7, -v12, v22, v13
	v_div_fixup_f32 v0, v5, v0, 1.0
	v_cndmask_b32_e64 v1, v1, 0, vcc
	s_mov_b64 vcc, s[2:3]
	v_fmac_f32_e32 v23, v27, v19
	v_div_fmas_f32 v5, v7, v18, v22
	v_cmp_class_f32_e32 vcc, v0, v4
	v_fma_f32 v11, -v14, v23, v15
	v_cndmask_b32_e64 v0, v0, 0, vcc
	s_mov_b64 vcc, s[6:7]
	v_div_fixup_f32 v3, v5, v3, 1.0
	v_div_fmas_f32 v5, v11, v19, v23
	v_div_fixup_f32 v2, v5, v2, 1.0
	v_cmp_class_f32_e32 vcc, v3, v4
	v_cndmask_b32_e64 v3, v3, 0, vcc
	v_cmp_class_f32_e32 vcc, v2, v4
	v_cndmask_b32_e64 v2, v2, 0, vcc
	s_cbranch_scc1 .LBB221_31
; %bb.4:
	v_lshlrev_b32_e32 v4, 2, v10
	global_load_dwordx4 v[4:7], v4, s[10:11]
	s_waitcnt vmcnt(0)
	v_pk_add_f32 v[4:5], v[4:5], v[0:1]
	v_pk_add_f32 v[6:7], v[6:7], v[2:3]
	s_cbranch_execnz .LBB221_6
.LBB221_5:
	v_pk_mov_b32 v[6:7], v[2:3], v[2:3] op_sel:[0,1]
	v_pk_mov_b32 v[4:5], v[0:1], v[0:1] op_sel:[0,1]
.LBB221_6:
	s_load_dwordx4 s[8:11], s[4:5], 0x30
	s_mov_b32 s25, 0
	v_cmp_eq_u32_e64 s[0:1], 0, v9
	s_waitcnt lgkmcnt(0)
	s_bitcmp1_b32 s11, 0
	s_cselect_b64 vcc, -1, 0
	s_cmp_gt_i32 s8, 0
	s_cselect_b64 s[6:7], -1, 0
	s_cmp_lt_i32 s8, 1
	s_cbranch_scc1 .LBB221_32
; %bb.7:
	v_mbcnt_lo_u32_b32 v11, -1, 0
	v_mbcnt_hi_u32_b32 v11, -1, v11
	v_and_b32_e32 v12, 0x70, v11
	v_add_u32_e32 v16, 16, v12
	v_xor_b32_e32 v13, 8, v11
	v_cmp_lt_i32_e64 s[2:3], v13, v16
	v_xor_b32_e32 v14, 4, v11
	s_load_dwordx4 s[12:15], s[4:5], 0x20
	v_cndmask_b32_e64 v13, v11, v13, s[2:3]
	v_cmp_lt_i32_e64 s[2:3], v14, v16
	v_xor_b32_e32 v15, 2, v11
	v_cndmask_b32_e64 v14, v11, v14, s[2:3]
	v_cmp_lt_i32_e64 s[2:3], v15, v16
	v_xor_b32_e32 v17, 1, v11
	v_cndmask_b32_e64 v15, v11, v15, s[2:3]
	v_cmp_lt_i32_e64 s[2:3], v17, v16
	v_cndmask_b32_e64 v11, v11, v17, s[2:3]
	v_mul_lo_u32 v12, v8, s8
	v_lshlrev_b32_e32 v13, 2, v13
	v_lshlrev_b32_e32 v14, 2, v14
	;; [unrolled: 1-line block ×4, first 2 shown]
	v_mov_b32_e32 v11, 0
	v_mov_b32_e32 v17, 0xc61c4000
	;; [unrolled: 1-line block ×3, first 2 shown]
	s_branch .LBB221_10
.LBB221_8:                              ;   in Loop: Header=BB221_10 Depth=1
	s_or_b64 exec, exec, s[4:5]
.LBB221_9:                              ;   in Loop: Header=BB221_10 Depth=1
	s_cmp_eq_u32 s8, s25
	v_add_u32_e32 v18, s24, v18
	s_cbranch_scc1 .LBB221_33
.LBB221_10:                             ; =>This Inner Loop Header: Depth=1
	v_cmp_gt_f32_e64 s[2:3], v5, v4
	v_cndmask_b32_e64 v21, v4, v5, s[2:3]
	v_cndmask_b32_e64 v19, 0, 1, s[2:3]
	;; [unrolled: 1-line block ×3, first 2 shown]
	v_cmp_gt_f32_e64 s[2:3], v6, v21
	v_cndmask_b32_e64 v21, v21, v6, s[2:3]
	v_cndmask_b32_e64 v19, v19, 2, s[2:3]
	;; [unrolled: 1-line block ×3, first 2 shown]
	v_cmp_gt_f32_e64 s[2:3], v7, v21
	v_cndmask_b32_e64 v19, v19, 3, s[2:3]
	v_cndmask_b32_e64 v21, v21, v7, s[2:3]
	v_or_b32_e32 v19, v10, v19
	v_cndmask_b32_e64 v20, v20, v3, s[2:3]
	s_waitcnt lgkmcnt(0)
	ds_bpermute_b32 v22, v13, v21
	ds_bpermute_b32 v24, v13, v20
	ds_bpermute_b32 v23, v13, v19
	s_waitcnt lgkmcnt(0)
	v_cmp_lt_f32_e64 s[20:21], v21, v22
	v_cmp_nlt_f32_e64 s[2:3], v21, v22
	s_and_saveexec_b64 s[22:23], s[2:3]
; %bb.11:                               ;   in Loop: Header=BB221_10 Depth=1
	v_cmp_eq_f32_e64 s[2:3], v21, v22
	v_cmp_lt_i32_e64 s[4:5], v23, v19
	s_and_b64 s[2:3], s[2:3], s[4:5]
	s_andn2_b64 s[4:5], s[20:21], exec
	s_and_b64 s[2:3], s[2:3], exec
	s_or_b64 s[20:21], s[4:5], s[2:3]
; %bb.12:                               ;   in Loop: Header=BB221_10 Depth=1
	s_or_b64 exec, exec, s[22:23]
	s_and_saveexec_b64 s[2:3], s[20:21]
; %bb.13:                               ;   in Loop: Header=BB221_10 Depth=1
	v_mov_b32_e32 v20, v24
	v_mov_b32_e32 v21, v22
	;; [unrolled: 1-line block ×3, first 2 shown]
; %bb.14:                               ;   in Loop: Header=BB221_10 Depth=1
	s_or_b64 exec, exec, s[2:3]
	ds_bpermute_b32 v22, v14, v21
	ds_bpermute_b32 v24, v14, v20
	ds_bpermute_b32 v23, v14, v19
	s_waitcnt lgkmcnt(2)
	v_cmp_lt_f32_e64 s[20:21], v21, v22
	v_cmp_nlt_f32_e64 s[2:3], v21, v22
	s_and_saveexec_b64 s[22:23], s[2:3]
	s_cbranch_execz .LBB221_16
; %bb.15:                               ;   in Loop: Header=BB221_10 Depth=1
	v_cmp_eq_f32_e64 s[2:3], v21, v22
	s_waitcnt lgkmcnt(0)
	v_cmp_lt_i32_e64 s[4:5], v23, v19
	s_and_b64 s[2:3], s[2:3], s[4:5]
	s_andn2_b64 s[4:5], s[20:21], exec
	s_and_b64 s[2:3], s[2:3], exec
	s_or_b64 s[20:21], s[4:5], s[2:3]
.LBB221_16:                             ;   in Loop: Header=BB221_10 Depth=1
	s_or_b64 exec, exec, s[22:23]
	s_and_saveexec_b64 s[2:3], s[20:21]
	s_cbranch_execz .LBB221_18
; %bb.17:                               ;   in Loop: Header=BB221_10 Depth=1
	s_waitcnt lgkmcnt(1)
	v_mov_b32_e32 v20, v24
	v_mov_b32_e32 v21, v22
	s_waitcnt lgkmcnt(0)
	v_mov_b32_e32 v19, v23
.LBB221_18:                             ;   in Loop: Header=BB221_10 Depth=1
	s_or_b64 exec, exec, s[2:3]
	ds_bpermute_b32 v22, v15, v21
	s_waitcnt lgkmcnt(2)
	ds_bpermute_b32 v24, v15, v20
	s_waitcnt lgkmcnt(2)
	;; [unrolled: 2-line block ×3, first 2 shown]
	v_cmp_lt_f32_e64 s[20:21], v21, v22
	v_cmp_nlt_f32_e64 s[2:3], v21, v22
	s_and_saveexec_b64 s[22:23], s[2:3]
	s_cbranch_execz .LBB221_20
; %bb.19:                               ;   in Loop: Header=BB221_10 Depth=1
	v_cmp_eq_f32_e64 s[2:3], v21, v22
	s_waitcnt lgkmcnt(0)
	v_cmp_lt_i32_e64 s[4:5], v23, v19
	s_and_b64 s[2:3], s[2:3], s[4:5]
	s_andn2_b64 s[4:5], s[20:21], exec
	s_and_b64 s[2:3], s[2:3], exec
	s_or_b64 s[20:21], s[4:5], s[2:3]
.LBB221_20:                             ;   in Loop: Header=BB221_10 Depth=1
	s_or_b64 exec, exec, s[22:23]
	s_and_saveexec_b64 s[2:3], s[20:21]
	s_cbranch_execz .LBB221_22
; %bb.21:                               ;   in Loop: Header=BB221_10 Depth=1
	s_waitcnt lgkmcnt(1)
	v_mov_b32_e32 v20, v24
	v_mov_b32_e32 v21, v22
	s_waitcnt lgkmcnt(0)
	v_mov_b32_e32 v19, v23
.LBB221_22:                             ;   in Loop: Header=BB221_10 Depth=1
	s_or_b64 exec, exec, s[2:3]
	s_waitcnt lgkmcnt(1)
	ds_bpermute_b32 v24, v16, v21
	ds_bpermute_b32 v22, v16, v20
	s_waitcnt lgkmcnt(2)
	ds_bpermute_b32 v23, v16, v19
	s_waitcnt lgkmcnt(2)
	v_cmp_lt_f32_e64 s[20:21], v21, v24
	v_cmp_nlt_f32_e64 s[2:3], v21, v24
	s_and_saveexec_b64 s[22:23], s[2:3]
	s_cbranch_execnz .LBB221_26
; %bb.23:                               ;   in Loop: Header=BB221_10 Depth=1
	s_or_b64 exec, exec, s[22:23]
	s_and_saveexec_b64 s[2:3], s[20:21]
	s_cbranch_execnz .LBB221_27
.LBB221_24:                             ;   in Loop: Header=BB221_10 Depth=1
	s_or_b64 exec, exec, s[2:3]
	s_and_saveexec_b64 s[20:21], s[0:1]
	s_cbranch_execnz .LBB221_28
.LBB221_25:                             ;   in Loop: Header=BB221_10 Depth=1
	s_or_b64 exec, exec, s[20:21]
	s_add_i32 s25, s25, 1
	s_cmp_ge_i32 s25, s8
	s_cbranch_scc1 .LBB221_9
	s_branch .LBB221_29
.LBB221_26:                             ;   in Loop: Header=BB221_10 Depth=1
	v_cmp_eq_f32_e64 s[2:3], v21, v24
	s_waitcnt lgkmcnt(0)
	v_cmp_lt_i32_e64 s[4:5], v23, v19
	s_and_b64 s[2:3], s[2:3], s[4:5]
	s_andn2_b64 s[4:5], s[20:21], exec
	s_and_b64 s[2:3], s[2:3], exec
	s_or_b64 s[20:21], s[4:5], s[2:3]
	s_or_b64 exec, exec, s[22:23]
	s_and_saveexec_b64 s[2:3], s[20:21]
	s_cbranch_execz .LBB221_24
.LBB221_27:                             ;   in Loop: Header=BB221_10 Depth=1
	s_waitcnt lgkmcnt(0)
	v_mov_b32_e32 v19, v23
	v_mov_b32_e32 v20, v22
	s_or_b64 exec, exec, s[2:3]
	s_and_saveexec_b64 s[20:21], s[0:1]
	s_cbranch_execz .LBB221_25
.LBB221_28:                             ;   in Loop: Header=BB221_10 Depth=1
	s_waitcnt lgkmcnt(1)
	v_add_u32_e32 v22, s25, v12
	s_waitcnt lgkmcnt(0)
	v_ashrrev_i32_e32 v23, 31, v22
	v_cmp_le_i32_e64 s[2:3], s9, v19
	v_cmp_gt_i32_e64 s[4:5], s10, v19
	v_lshlrev_b64 v[22:23], 2, v[22:23]
	s_and_b64 s[4:5], s[2:3], s[4:5]
	v_mov_b32_e32 v21, s17
	v_add_co_u32_e64 v24, s[2:3], s16, v22
	v_addc_co_u32_e64 v25, s[2:3], v21, v23, s[2:3]
	v_subrev_u32_e32 v21, s9, v19
	s_and_b64 s[2:3], s[18:19], s[4:5]
	global_store_dword v[24:25], v20, off
	v_cndmask_b32_e64 v21, 64, v21, s[2:3]
	v_mov_b32_e32 v25, s13
	v_add_co_u32_e64 v24, s[2:3], s12, v22
	v_addc_co_u32_e64 v25, s[2:3], v25, v23, s[2:3]
	global_store_dword v[24:25], v21, off
	v_mov_b32_e32 v21, s15
	v_add_co_u32_e64 v22, s[2:3], s14, v22
	v_add_f32_e32 v20, v11, v20
	v_addc_co_u32_e64 v23, s[2:3], v21, v23, s[2:3]
	v_cndmask_b32_e32 v11, v11, v20, vcc
	global_store_dword v[22:23], v18, off
	s_or_b64 exec, exec, s[20:21]
	s_add_i32 s25, s25, 1
	s_cmp_ge_i32 s25, s8
	s_cbranch_scc1 .LBB221_9
.LBB221_29:                             ;   in Loop: Header=BB221_10 Depth=1
	v_ashrrev_i32_e32 v21, 31, v19
	v_lshrrev_b32_e32 v20, 30, v21
	s_waitcnt lgkmcnt(1)
	v_add_u32_e32 v22, v19, v20
	v_ashrrev_i32_e32 v20, 2, v22
	v_ashrrev_i32_e32 v22, 31, v22
	v_lshrrev_b32_e32 v22, 28, v22
	v_add_u32_e32 v22, v20, v22
	v_and_b32_e32 v22, -16, v22
	v_sub_u32_e32 v22, v20, v22
	v_cmp_eq_u32_e64 s[2:3], v9, v22
	s_and_saveexec_b64 s[4:5], s[2:3]
	s_cbranch_execz .LBB221_8
; %bb.30:                               ;   in Loop: Header=BB221_10 Depth=1
	v_lshrrev_b32_e32 v21, 26, v21
	v_add_u32_e32 v21, v19, v21
	v_lshlrev_b32_e32 v20, 2, v20
	v_ashrrev_i32_e32 v21, 6, v21
	v_sub_u32_e32 v19, v19, v20
	v_lshl_add_u32 v19, v21, 2, v19
	v_cmp_ne_u32_e64 s[2:3], 3, v19
	v_cndmask_b32_e64 v7, v17, v7, s[2:3]
	v_cmp_ne_u32_e64 s[2:3], 2, v19
	v_cndmask_b32_e64 v6, v17, v6, s[2:3]
	v_cmp_ne_u32_e64 s[2:3], 1, v19
	v_cndmask_b32_e64 v5, v17, v5, s[2:3]
	v_cmp_ne_u32_e64 s[2:3], 0, v19
	v_cndmask_b32_e64 v4, v17, v4, s[2:3]
	s_branch .LBB221_8
.LBB221_31:
                                        ; implicit-def: $vgpr4_vgpr5_vgpr6_vgpr7
	s_andn2_b64 vcc, exec, s[8:9]
	s_cbranch_vccz .LBB221_5
	s_branch .LBB221_6
.LBB221_32:
	v_mov_b32_e32 v11, 0
.LBB221_33:
	v_cmp_eq_u32_e64 s[0:1], 0, v9
	s_and_b64 s[0:1], s[0:1], vcc
	s_and_b64 exec, exec, s[0:1]
	s_cbranch_execz .LBB221_42
; %bb.34:
	s_andn2_b64 vcc, exec, s[6:7]
	s_cbranch_vccnz .LBB221_42
; %bb.35:
	v_cmp_lt_f32_e32 vcc, 0, v11
	s_mov_b32 s2, 0
	v_cndmask_b32_e32 v0, 1.0, v11, vcc
	v_mul_lo_u32 v4, v8, s8
	s_cmp_eq_u32 s8, 1
	s_mov_b64 s[0:1], -1
	s_cbranch_scc1 .LBB221_39
; %bb.36:
	s_and_b32 s2, s8, 0x7ffffffe
	v_mov_b32_e32 v1, v0
	v_mov_b32_e32 v5, s17
	s_mov_b32 s3, s2
	v_mov_b32_e32 v2, v4
.LBB221_37:                             ; =>This Inner Loop Header: Depth=1
	v_ashrrev_i32_e32 v3, 31, v2
	v_lshlrev_b64 v[6:7], 2, v[2:3]
	v_add_co_u32_e32 v6, vcc, s16, v6
	v_addc_co_u32_e32 v7, vcc, v5, v7, vcc
	global_load_dwordx2 v[8:9], v[6:7], off
	s_add_i32 s3, s3, -2
	s_cmp_lg_u32 s3, 0
	v_add_u32_e32 v2, 2, v2
	s_waitcnt vmcnt(0)
	v_div_scale_f32 v3, s[0:1], v1, v1, v9
	v_div_scale_f32 v11, s[0:1], v0, v0, v8
	v_rcp_f32_e32 v12, v3
	v_rcp_f32_e32 v13, v11
	v_div_scale_f32 v10, vcc, v9, v1, v9
	v_fma_f32 v15, -v3, v12, 1.0
	v_fma_f32 v16, -v11, v13, 1.0
	v_fmac_f32_e32 v12, v15, v12
	v_div_scale_f32 v14, s[0:1], v8, v0, v8
	v_fmac_f32_e32 v13, v16, v13
	v_mul_f32_e32 v15, v10, v12
	v_mul_f32_e32 v16, v14, v13
	v_fma_f32 v17, -v3, v15, v10
	v_fma_f32 v18, -v11, v16, v14
	v_fmac_f32_e32 v15, v17, v12
	v_fmac_f32_e32 v16, v18, v13
	v_fma_f32 v3, -v3, v15, v10
	v_fma_f32 v10, -v11, v16, v14
	v_div_fmas_f32 v3, v3, v12, v15
	s_mov_b64 vcc, s[0:1]
	v_div_fixup_f32 v9, v3, v1, v9
	v_div_fmas_f32 v3, v10, v13, v16
	v_div_fixup_f32 v8, v3, v0, v8
	global_store_dwordx2 v[6:7], v[8:9], off
	s_cbranch_scc1 .LBB221_37
; %bb.38:
	s_cmp_lg_u32 s2, s8
	s_cselect_b64 s[0:1], -1, 0
.LBB221_39:
	s_and_b64 vcc, exec, s[0:1]
	s_cbranch_vccz .LBB221_42
; %bb.40:
	v_ashrrev_i32_e32 v1, 31, v4
	v_add_co_u32_e32 v2, vcc, s2, v4
	v_addc_co_u32_e32 v3, vcc, 0, v1, vcc
	v_lshlrev_b64 v[2:3], 2, v[2:3]
	v_mov_b32_e32 v1, s17
	v_add_co_u32_e32 v2, vcc, s16, v2
	s_sub_i32 s0, s8, s2
	v_addc_co_u32_e32 v3, vcc, v1, v3, vcc
.LBB221_41:                             ; =>This Inner Loop Header: Depth=1
	global_load_dword v1, v[2:3], off
	s_add_i32 s0, s0, -1
	s_cmp_lg_u32 s0, 0
	s_waitcnt vmcnt(0)
	v_div_scale_f32 v4, s[2:3], v0, v0, v1
	v_rcp_f32_e32 v5, v4
	v_div_scale_f32 v6, vcc, v1, v0, v1
	v_fma_f32 v7, -v4, v5, 1.0
	v_fmac_f32_e32 v5, v7, v5
	v_mul_f32_e32 v7, v6, v5
	v_fma_f32 v8, -v4, v7, v6
	v_fmac_f32_e32 v7, v8, v5
	v_fma_f32 v4, -v4, v7, v6
	v_div_fmas_f32 v4, v4, v5, v7
	v_div_fixup_f32 v1, v4, v0, v1
	global_store_dword v[2:3], v1, off
	v_add_co_u32_e32 v2, vcc, 4, v2
	v_addc_co_u32_e32 v3, vcc, 0, v3, vcc
	s_cbranch_scc1 .LBB221_41
.LBB221_42:
	s_endpgm
	.section	.rodata,"a",@progbits
	.p2align	6, 0x0
	.amdhsa_kernel _ZN4vllm3moe10topkGatingILi4ELi64ELi4ELi16ELi64EjfLNS0_11ScoringFuncE1EEEvPKT5_PKbPfiPT4_PiiiibPKf
		.amdhsa_group_segment_fixed_size 0
		.amdhsa_private_segment_fixed_size 0
		.amdhsa_kernarg_size 72
		.amdhsa_user_sgpr_count 6
		.amdhsa_user_sgpr_private_segment_buffer 1
		.amdhsa_user_sgpr_dispatch_ptr 0
		.amdhsa_user_sgpr_queue_ptr 0
		.amdhsa_user_sgpr_kernarg_segment_ptr 1
		.amdhsa_user_sgpr_dispatch_id 0
		.amdhsa_user_sgpr_flat_scratch_init 0
		.amdhsa_user_sgpr_kernarg_preload_length 0
		.amdhsa_user_sgpr_kernarg_preload_offset 0
		.amdhsa_user_sgpr_private_segment_size 0
		.amdhsa_uses_dynamic_stack 0
		.amdhsa_system_sgpr_private_segment_wavefront_offset 0
		.amdhsa_system_sgpr_workgroup_id_x 1
		.amdhsa_system_sgpr_workgroup_id_y 0
		.amdhsa_system_sgpr_workgroup_id_z 0
		.amdhsa_system_sgpr_workgroup_info 0
		.amdhsa_system_vgpr_workitem_id 1
		.amdhsa_next_free_vgpr 28
		.amdhsa_next_free_sgpr 26
		.amdhsa_accum_offset 28
		.amdhsa_reserve_vcc 1
		.amdhsa_reserve_flat_scratch 0
		.amdhsa_float_round_mode_32 0
		.amdhsa_float_round_mode_16_64 0
		.amdhsa_float_denorm_mode_32 3
		.amdhsa_float_denorm_mode_16_64 3
		.amdhsa_dx10_clamp 1
		.amdhsa_ieee_mode 1
		.amdhsa_fp16_overflow 0
		.amdhsa_tg_split 0
		.amdhsa_exception_fp_ieee_invalid_op 0
		.amdhsa_exception_fp_denorm_src 0
		.amdhsa_exception_fp_ieee_div_zero 0
		.amdhsa_exception_fp_ieee_overflow 0
		.amdhsa_exception_fp_ieee_underflow 0
		.amdhsa_exception_fp_ieee_inexact 0
		.amdhsa_exception_int_div_zero 0
	.end_amdhsa_kernel
	.section	.text._ZN4vllm3moe10topkGatingILi4ELi64ELi4ELi16ELi64EjfLNS0_11ScoringFuncE1EEEvPKT5_PKbPfiPT4_PiiiibPKf,"axG",@progbits,_ZN4vllm3moe10topkGatingILi4ELi64ELi4ELi16ELi64EjfLNS0_11ScoringFuncE1EEEvPKT5_PKbPfiPT4_PiiiibPKf,comdat
.Lfunc_end221:
	.size	_ZN4vllm3moe10topkGatingILi4ELi64ELi4ELi16ELi64EjfLNS0_11ScoringFuncE1EEEvPKT5_PKbPfiPT4_PiiiibPKf, .Lfunc_end221-_ZN4vllm3moe10topkGatingILi4ELi64ELi4ELi16ELi64EjfLNS0_11ScoringFuncE1EEEvPKT5_PKbPfiPT4_PiiiibPKf
                                        ; -- End function
	.section	.AMDGPU.csdata,"",@progbits
; Kernel info:
; codeLenInByte = 2348
; NumSgprs: 30
; NumVgprs: 28
; NumAgprs: 0
; TotalNumVgprs: 28
; ScratchSize: 0
; MemoryBound: 0
; FloatMode: 240
; IeeeMode: 1
; LDSByteSize: 0 bytes/workgroup (compile time only)
; SGPRBlocks: 3
; VGPRBlocks: 3
; NumSGPRsForWavesPerEU: 30
; NumVGPRsForWavesPerEU: 28
; AccumOffset: 28
; Occupancy: 8
; WaveLimiterHint : 0
; COMPUTE_PGM_RSRC2:SCRATCH_EN: 0
; COMPUTE_PGM_RSRC2:USER_SGPR: 6
; COMPUTE_PGM_RSRC2:TRAP_HANDLER: 0
; COMPUTE_PGM_RSRC2:TGID_X_EN: 1
; COMPUTE_PGM_RSRC2:TGID_Y_EN: 0
; COMPUTE_PGM_RSRC2:TGID_Z_EN: 0
; COMPUTE_PGM_RSRC2:TIDIG_COMP_CNT: 1
; COMPUTE_PGM_RSRC3_GFX90A:ACCUM_OFFSET: 6
; COMPUTE_PGM_RSRC3_GFX90A:TG_SPLIT: 0
	.section	.text._ZN4vllm3moe10topkGatingILi4ELi64ELi4ELi16ELi32EjfLNS0_11ScoringFuncE1EEEvPKT5_PKbPfiPT4_PiiiibPKf,"axG",@progbits,_ZN4vllm3moe10topkGatingILi4ELi64ELi4ELi16ELi32EjfLNS0_11ScoringFuncE1EEEvPKT5_PKbPfiPT4_PiiiibPKf,comdat
	.protected	_ZN4vllm3moe10topkGatingILi4ELi64ELi4ELi16ELi32EjfLNS0_11ScoringFuncE1EEEvPKT5_PKbPfiPT4_PiiiibPKf ; -- Begin function _ZN4vllm3moe10topkGatingILi4ELi64ELi4ELi16ELi32EjfLNS0_11ScoringFuncE1EEEvPKT5_PKbPfiPT4_PiiiibPKf
	.globl	_ZN4vllm3moe10topkGatingILi4ELi64ELi4ELi16ELi32EjfLNS0_11ScoringFuncE1EEEvPKT5_PKbPfiPT4_PiiiibPKf
	.p2align	8
	.type	_ZN4vllm3moe10topkGatingILi4ELi64ELi4ELi16ELi32EjfLNS0_11ScoringFuncE1EEEvPKT5_PKbPfiPT4_PiiiibPKf,@function
_ZN4vllm3moe10topkGatingILi4ELi64ELi4ELi16ELi32EjfLNS0_11ScoringFuncE1EEEvPKT5_PKbPfiPT4_PiiiibPKf: ; @_ZN4vllm3moe10topkGatingILi4ELi64ELi4ELi16ELi32EjfLNS0_11ScoringFuncE1EEEvPKT5_PKbPfiPT4_PiiiibPKf
; %bb.0:
	s_load_dword s24, s[4:5], 0x18
	v_bfe_u32 v1, v0, 10, 10
	v_and_b32_e32 v0, 0x3ff, v0
	s_lshl_b32 s0, s6, 3
	v_lshlrev_b32_e32 v1, 1, v1
	v_lshrrev_b32_e32 v2, 4, v0
	v_add3_u32 v8, s0, v1, v2
	s_waitcnt lgkmcnt(0)
	v_cmp_gt_i32_e32 vcc, s24, v8
	s_and_saveexec_b64 s[0:1], vcc
	s_cbranch_execz .LBB222_42
; %bb.1:
	s_load_dwordx4 s[0:3], s[4:5], 0x0
	s_load_dwordx2 s[16:17], s[4:5], 0x10
	s_mov_b64 s[8:9], -1
	s_mov_b64 s[18:19], -1
	s_waitcnt lgkmcnt(0)
	s_cmp_eq_u64 s[2:3], 0
	s_cbranch_scc1 .LBB222_3
; %bb.2:
	v_ashrrev_i32_e32 v1, 31, v8
	v_mov_b32_e32 v3, s3
	v_add_co_u32_e32 v2, vcc, s2, v8
	v_addc_co_u32_e32 v3, vcc, v3, v1, vcc
	global_load_ubyte v1, v[2:3], off
	s_waitcnt vmcnt(0)
	v_and_b32_e32 v1, 1, v1
	v_cmp_eq_u32_e32 vcc, 1, v1
	s_xor_b64 s[2:3], vcc, -1
	s_orn2_b64 s[18:19], s[2:3], exec
.LBB222_3:
	v_lshlrev_b32_e32 v2, 6, v8
	v_ashrrev_i32_e32 v3, 31, v2
	v_lshlrev_b64 v[2:3], 2, v[2:3]
	v_mov_b32_e32 v1, s1
	v_add_co_u32_e32 v2, vcc, s0, v2
	v_and_b32_e32 v9, 15, v0
	v_addc_co_u32_e32 v1, vcc, v1, v3, vcc
	v_lshlrev_b32_e32 v0, 4, v9
	v_add_co_u32_e32 v0, vcc, v2, v0
	v_addc_co_u32_e32 v1, vcc, 0, v1, vcc
	global_load_dwordx4 v[0:3], v[0:1], off
	v_mov_b32_e32 v4, 0x207
	s_load_dwordx2 s[10:11], s[4:5], 0x40
	v_lshlrev_b32_e32 v10, 2, v9
	s_waitcnt lgkmcnt(0)
	s_cmp_eq_u64 s[10:11], 0
	s_waitcnt vmcnt(0)
	v_mul_f32_e32 v0, 0xbfb8aa3b, v0
	v_mul_f32_e32 v1, 0xbfb8aa3b, v1
	v_exp_f32_e32 v0, v0
	v_exp_f32_e32 v1, v1
	v_mul_f32_e32 v2, 0xbfb8aa3b, v2
	v_mul_f32_e32 v3, 0xbfb8aa3b, v3
	v_exp_f32_e32 v2, v2
	v_exp_f32_e32 v3, v3
	v_pk_add_f32 v[0:1], v[0:1], 1.0 op_sel_hi:[1,0]
	v_div_scale_f32 v5, s[0:1], v1, v1, 1.0
	v_rcp_f32_e32 v16, v5
	v_div_scale_f32 v7, s[0:1], v0, v0, 1.0
	v_pk_add_f32 v[2:3], v[2:3], 1.0 op_sel_hi:[1,0]
	v_rcp_f32_e32 v17, v7
	v_div_scale_f32 v12, s[2:3], v3, v3, 1.0
	v_rcp_f32_e32 v18, v12
	v_fma_f32 v20, -v5, v16, 1.0
	v_div_scale_f32 v6, vcc, 1.0, v1, 1.0
	v_div_scale_f32 v14, s[6:7], v2, v2, 1.0
	v_fmac_f32_e32 v16, v20, v16
	v_rcp_f32_e32 v19, v14
	v_fma_f32 v21, -v7, v17, 1.0
	v_mul_f32_e32 v20, v6, v16
	v_div_scale_f32 v11, s[0:1], 1.0, v0, 1.0
	v_fmac_f32_e32 v17, v21, v17
	v_fma_f32 v24, -v5, v20, v6
	v_fma_f32 v22, -v12, v18, 1.0
	v_mul_f32_e32 v21, v11, v17
	v_fmac_f32_e32 v20, v24, v16
	v_div_scale_f32 v13, s[2:3], 1.0, v3, 1.0
	v_fmac_f32_e32 v18, v22, v18
	v_fma_f32 v25, -v7, v21, v11
	v_fma_f32 v5, -v5, v20, v6
	v_fma_f32 v23, -v14, v19, 1.0
	v_mul_f32_e32 v22, v13, v18
	v_fmac_f32_e32 v21, v25, v17
	v_div_fmas_f32 v5, v5, v16, v20
	v_div_scale_f32 v15, s[6:7], 1.0, v2, 1.0
	v_fmac_f32_e32 v19, v23, v19
	v_fma_f32 v26, -v12, v22, v13
	v_fma_f32 v6, -v7, v21, v11
	v_div_fixup_f32 v1, v5, v1, 1.0
	s_mov_b64 vcc, s[0:1]
	v_mul_f32_e32 v23, v15, v19
	v_fmac_f32_e32 v22, v26, v18
	v_div_fmas_f32 v5, v6, v17, v21
	v_cmp_class_f32_e32 vcc, v1, v4
	v_fma_f32 v27, -v14, v23, v15
	v_fma_f32 v7, -v12, v22, v13
	v_div_fixup_f32 v0, v5, v0, 1.0
	v_cndmask_b32_e64 v1, v1, 0, vcc
	s_mov_b64 vcc, s[2:3]
	v_fmac_f32_e32 v23, v27, v19
	v_div_fmas_f32 v5, v7, v18, v22
	v_cmp_class_f32_e32 vcc, v0, v4
	v_fma_f32 v11, -v14, v23, v15
	v_cndmask_b32_e64 v0, v0, 0, vcc
	s_mov_b64 vcc, s[6:7]
	v_div_fixup_f32 v3, v5, v3, 1.0
	v_div_fmas_f32 v5, v11, v19, v23
	v_div_fixup_f32 v2, v5, v2, 1.0
	v_cmp_class_f32_e32 vcc, v3, v4
	v_cndmask_b32_e64 v3, v3, 0, vcc
	v_cmp_class_f32_e32 vcc, v2, v4
	v_cndmask_b32_e64 v2, v2, 0, vcc
	s_cbranch_scc1 .LBB222_31
; %bb.4:
	v_lshlrev_b32_e32 v4, 2, v10
	global_load_dwordx4 v[4:7], v4, s[10:11]
	s_waitcnt vmcnt(0)
	v_pk_add_f32 v[4:5], v[4:5], v[0:1]
	v_pk_add_f32 v[6:7], v[6:7], v[2:3]
	s_cbranch_execnz .LBB222_6
.LBB222_5:
	v_pk_mov_b32 v[6:7], v[2:3], v[2:3] op_sel:[0,1]
	v_pk_mov_b32 v[4:5], v[0:1], v[0:1] op_sel:[0,1]
.LBB222_6:
	s_load_dwordx4 s[8:11], s[4:5], 0x30
	s_mov_b32 s25, 0
	v_cmp_eq_u32_e64 s[0:1], 0, v9
	s_waitcnt lgkmcnt(0)
	s_bitcmp1_b32 s11, 0
	s_cselect_b64 vcc, -1, 0
	s_cmp_gt_i32 s8, 0
	s_cselect_b64 s[6:7], -1, 0
	s_cmp_lt_i32 s8, 1
	s_cbranch_scc1 .LBB222_32
; %bb.7:
	v_mbcnt_lo_u32_b32 v11, -1, 0
	v_mbcnt_hi_u32_b32 v11, -1, v11
	v_and_b32_e32 v12, 0x70, v11
	v_add_u32_e32 v16, 16, v12
	v_xor_b32_e32 v13, 8, v11
	v_cmp_lt_i32_e64 s[2:3], v13, v16
	v_xor_b32_e32 v14, 4, v11
	s_load_dwordx4 s[12:15], s[4:5], 0x20
	v_cndmask_b32_e64 v13, v11, v13, s[2:3]
	v_cmp_lt_i32_e64 s[2:3], v14, v16
	v_xor_b32_e32 v15, 2, v11
	v_cndmask_b32_e64 v14, v11, v14, s[2:3]
	v_cmp_lt_i32_e64 s[2:3], v15, v16
	v_xor_b32_e32 v17, 1, v11
	v_cndmask_b32_e64 v15, v11, v15, s[2:3]
	v_cmp_lt_i32_e64 s[2:3], v17, v16
	v_cndmask_b32_e64 v11, v11, v17, s[2:3]
	v_mul_lo_u32 v12, v8, s8
	v_lshlrev_b32_e32 v13, 2, v13
	v_lshlrev_b32_e32 v14, 2, v14
	;; [unrolled: 1-line block ×4, first 2 shown]
	v_mov_b32_e32 v11, 0
	v_mov_b32_e32 v17, 0xc61c4000
	;; [unrolled: 1-line block ×3, first 2 shown]
	s_branch .LBB222_10
.LBB222_8:                              ;   in Loop: Header=BB222_10 Depth=1
	s_or_b64 exec, exec, s[4:5]
.LBB222_9:                              ;   in Loop: Header=BB222_10 Depth=1
	s_cmp_eq_u32 s8, s25
	v_add_u32_e32 v18, s24, v18
	s_cbranch_scc1 .LBB222_33
.LBB222_10:                             ; =>This Inner Loop Header: Depth=1
	v_cmp_gt_f32_e64 s[2:3], v5, v4
	v_cndmask_b32_e64 v21, v4, v5, s[2:3]
	v_cndmask_b32_e64 v19, 0, 1, s[2:3]
	;; [unrolled: 1-line block ×3, first 2 shown]
	v_cmp_gt_f32_e64 s[2:3], v6, v21
	v_cndmask_b32_e64 v21, v21, v6, s[2:3]
	v_cndmask_b32_e64 v19, v19, 2, s[2:3]
	;; [unrolled: 1-line block ×3, first 2 shown]
	v_cmp_gt_f32_e64 s[2:3], v7, v21
	v_cndmask_b32_e64 v19, v19, 3, s[2:3]
	v_cndmask_b32_e64 v21, v21, v7, s[2:3]
	v_or_b32_e32 v19, v10, v19
	v_cndmask_b32_e64 v20, v20, v3, s[2:3]
	s_waitcnt lgkmcnt(0)
	ds_bpermute_b32 v22, v13, v21
	ds_bpermute_b32 v24, v13, v20
	ds_bpermute_b32 v23, v13, v19
	s_waitcnt lgkmcnt(0)
	v_cmp_lt_f32_e64 s[20:21], v21, v22
	v_cmp_nlt_f32_e64 s[2:3], v21, v22
	s_and_saveexec_b64 s[22:23], s[2:3]
; %bb.11:                               ;   in Loop: Header=BB222_10 Depth=1
	v_cmp_eq_f32_e64 s[2:3], v21, v22
	v_cmp_lt_i32_e64 s[4:5], v23, v19
	s_and_b64 s[2:3], s[2:3], s[4:5]
	s_andn2_b64 s[4:5], s[20:21], exec
	s_and_b64 s[2:3], s[2:3], exec
	s_or_b64 s[20:21], s[4:5], s[2:3]
; %bb.12:                               ;   in Loop: Header=BB222_10 Depth=1
	s_or_b64 exec, exec, s[22:23]
	s_and_saveexec_b64 s[2:3], s[20:21]
; %bb.13:                               ;   in Loop: Header=BB222_10 Depth=1
	v_mov_b32_e32 v20, v24
	v_mov_b32_e32 v21, v22
	;; [unrolled: 1-line block ×3, first 2 shown]
; %bb.14:                               ;   in Loop: Header=BB222_10 Depth=1
	s_or_b64 exec, exec, s[2:3]
	ds_bpermute_b32 v22, v14, v21
	ds_bpermute_b32 v24, v14, v20
	;; [unrolled: 1-line block ×3, first 2 shown]
	s_waitcnt lgkmcnt(2)
	v_cmp_lt_f32_e64 s[20:21], v21, v22
	v_cmp_nlt_f32_e64 s[2:3], v21, v22
	s_and_saveexec_b64 s[22:23], s[2:3]
	s_cbranch_execz .LBB222_16
; %bb.15:                               ;   in Loop: Header=BB222_10 Depth=1
	v_cmp_eq_f32_e64 s[2:3], v21, v22
	s_waitcnt lgkmcnt(0)
	v_cmp_lt_i32_e64 s[4:5], v23, v19
	s_and_b64 s[2:3], s[2:3], s[4:5]
	s_andn2_b64 s[4:5], s[20:21], exec
	s_and_b64 s[2:3], s[2:3], exec
	s_or_b64 s[20:21], s[4:5], s[2:3]
.LBB222_16:                             ;   in Loop: Header=BB222_10 Depth=1
	s_or_b64 exec, exec, s[22:23]
	s_and_saveexec_b64 s[2:3], s[20:21]
	s_cbranch_execz .LBB222_18
; %bb.17:                               ;   in Loop: Header=BB222_10 Depth=1
	s_waitcnt lgkmcnt(1)
	v_mov_b32_e32 v20, v24
	v_mov_b32_e32 v21, v22
	s_waitcnt lgkmcnt(0)
	v_mov_b32_e32 v19, v23
.LBB222_18:                             ;   in Loop: Header=BB222_10 Depth=1
	s_or_b64 exec, exec, s[2:3]
	ds_bpermute_b32 v22, v15, v21
	s_waitcnt lgkmcnt(2)
	ds_bpermute_b32 v24, v15, v20
	s_waitcnt lgkmcnt(2)
	;; [unrolled: 2-line block ×3, first 2 shown]
	v_cmp_lt_f32_e64 s[20:21], v21, v22
	v_cmp_nlt_f32_e64 s[2:3], v21, v22
	s_and_saveexec_b64 s[22:23], s[2:3]
	s_cbranch_execz .LBB222_20
; %bb.19:                               ;   in Loop: Header=BB222_10 Depth=1
	v_cmp_eq_f32_e64 s[2:3], v21, v22
	s_waitcnt lgkmcnt(0)
	v_cmp_lt_i32_e64 s[4:5], v23, v19
	s_and_b64 s[2:3], s[2:3], s[4:5]
	s_andn2_b64 s[4:5], s[20:21], exec
	s_and_b64 s[2:3], s[2:3], exec
	s_or_b64 s[20:21], s[4:5], s[2:3]
.LBB222_20:                             ;   in Loop: Header=BB222_10 Depth=1
	s_or_b64 exec, exec, s[22:23]
	s_and_saveexec_b64 s[2:3], s[20:21]
	s_cbranch_execz .LBB222_22
; %bb.21:                               ;   in Loop: Header=BB222_10 Depth=1
	s_waitcnt lgkmcnt(1)
	v_mov_b32_e32 v20, v24
	v_mov_b32_e32 v21, v22
	s_waitcnt lgkmcnt(0)
	v_mov_b32_e32 v19, v23
.LBB222_22:                             ;   in Loop: Header=BB222_10 Depth=1
	s_or_b64 exec, exec, s[2:3]
	s_waitcnt lgkmcnt(1)
	ds_bpermute_b32 v24, v16, v21
	ds_bpermute_b32 v22, v16, v20
	s_waitcnt lgkmcnt(2)
	ds_bpermute_b32 v23, v16, v19
	s_waitcnt lgkmcnt(2)
	v_cmp_lt_f32_e64 s[20:21], v21, v24
	v_cmp_nlt_f32_e64 s[2:3], v21, v24
	s_and_saveexec_b64 s[22:23], s[2:3]
	s_cbranch_execnz .LBB222_26
; %bb.23:                               ;   in Loop: Header=BB222_10 Depth=1
	s_or_b64 exec, exec, s[22:23]
	s_and_saveexec_b64 s[2:3], s[20:21]
	s_cbranch_execnz .LBB222_27
.LBB222_24:                             ;   in Loop: Header=BB222_10 Depth=1
	s_or_b64 exec, exec, s[2:3]
	s_and_saveexec_b64 s[20:21], s[0:1]
	s_cbranch_execnz .LBB222_28
.LBB222_25:                             ;   in Loop: Header=BB222_10 Depth=1
	s_or_b64 exec, exec, s[20:21]
	s_add_i32 s25, s25, 1
	s_cmp_ge_i32 s25, s8
	s_cbranch_scc1 .LBB222_9
	s_branch .LBB222_29
.LBB222_26:                             ;   in Loop: Header=BB222_10 Depth=1
	v_cmp_eq_f32_e64 s[2:3], v21, v24
	s_waitcnt lgkmcnt(0)
	v_cmp_lt_i32_e64 s[4:5], v23, v19
	s_and_b64 s[2:3], s[2:3], s[4:5]
	s_andn2_b64 s[4:5], s[20:21], exec
	s_and_b64 s[2:3], s[2:3], exec
	s_or_b64 s[20:21], s[4:5], s[2:3]
	s_or_b64 exec, exec, s[22:23]
	s_and_saveexec_b64 s[2:3], s[20:21]
	s_cbranch_execz .LBB222_24
.LBB222_27:                             ;   in Loop: Header=BB222_10 Depth=1
	s_waitcnt lgkmcnt(0)
	v_mov_b32_e32 v19, v23
	v_mov_b32_e32 v20, v22
	s_or_b64 exec, exec, s[2:3]
	s_and_saveexec_b64 s[20:21], s[0:1]
	s_cbranch_execz .LBB222_25
.LBB222_28:                             ;   in Loop: Header=BB222_10 Depth=1
	s_waitcnt lgkmcnt(1)
	v_add_u32_e32 v22, s25, v12
	s_waitcnt lgkmcnt(0)
	v_ashrrev_i32_e32 v23, 31, v22
	v_cmp_le_i32_e64 s[2:3], s9, v19
	v_cmp_gt_i32_e64 s[4:5], s10, v19
	v_lshlrev_b64 v[22:23], 2, v[22:23]
	s_and_b64 s[4:5], s[2:3], s[4:5]
	v_mov_b32_e32 v21, s17
	v_add_co_u32_e64 v24, s[2:3], s16, v22
	v_addc_co_u32_e64 v25, s[2:3], v21, v23, s[2:3]
	v_subrev_u32_e32 v21, s9, v19
	s_and_b64 s[2:3], s[18:19], s[4:5]
	global_store_dword v[24:25], v20, off
	v_cndmask_b32_e64 v21, 64, v21, s[2:3]
	v_mov_b32_e32 v25, s13
	v_add_co_u32_e64 v24, s[2:3], s12, v22
	v_addc_co_u32_e64 v25, s[2:3], v25, v23, s[2:3]
	global_store_dword v[24:25], v21, off
	v_mov_b32_e32 v21, s15
	v_add_co_u32_e64 v22, s[2:3], s14, v22
	v_add_f32_e32 v20, v11, v20
	v_addc_co_u32_e64 v23, s[2:3], v21, v23, s[2:3]
	v_cndmask_b32_e32 v11, v11, v20, vcc
	global_store_dword v[22:23], v18, off
	s_or_b64 exec, exec, s[20:21]
	s_add_i32 s25, s25, 1
	s_cmp_ge_i32 s25, s8
	s_cbranch_scc1 .LBB222_9
.LBB222_29:                             ;   in Loop: Header=BB222_10 Depth=1
	v_ashrrev_i32_e32 v21, 31, v19
	v_lshrrev_b32_e32 v20, 30, v21
	s_waitcnt lgkmcnt(1)
	v_add_u32_e32 v22, v19, v20
	v_ashrrev_i32_e32 v20, 2, v22
	v_ashrrev_i32_e32 v22, 31, v22
	v_lshrrev_b32_e32 v22, 28, v22
	v_add_u32_e32 v22, v20, v22
	v_and_b32_e32 v22, -16, v22
	v_sub_u32_e32 v22, v20, v22
	v_cmp_eq_u32_e64 s[2:3], v9, v22
	s_and_saveexec_b64 s[4:5], s[2:3]
	s_cbranch_execz .LBB222_8
; %bb.30:                               ;   in Loop: Header=BB222_10 Depth=1
	v_lshrrev_b32_e32 v21, 26, v21
	v_add_u32_e32 v21, v19, v21
	v_lshlrev_b32_e32 v20, 2, v20
	v_ashrrev_i32_e32 v21, 6, v21
	v_sub_u32_e32 v19, v19, v20
	v_lshl_add_u32 v19, v21, 2, v19
	v_cmp_ne_u32_e64 s[2:3], 3, v19
	v_cndmask_b32_e64 v7, v17, v7, s[2:3]
	v_cmp_ne_u32_e64 s[2:3], 2, v19
	v_cndmask_b32_e64 v6, v17, v6, s[2:3]
	;; [unrolled: 2-line block ×4, first 2 shown]
	s_branch .LBB222_8
.LBB222_31:
                                        ; implicit-def: $vgpr4_vgpr5_vgpr6_vgpr7
	s_andn2_b64 vcc, exec, s[8:9]
	s_cbranch_vccz .LBB222_5
	s_branch .LBB222_6
.LBB222_32:
	v_mov_b32_e32 v11, 0
.LBB222_33:
	v_cmp_eq_u32_e64 s[0:1], 0, v9
	s_and_b64 s[0:1], s[0:1], vcc
	s_and_b64 exec, exec, s[0:1]
	s_cbranch_execz .LBB222_42
; %bb.34:
	s_andn2_b64 vcc, exec, s[6:7]
	s_cbranch_vccnz .LBB222_42
; %bb.35:
	v_cmp_lt_f32_e32 vcc, 0, v11
	s_mov_b32 s2, 0
	v_cndmask_b32_e32 v0, 1.0, v11, vcc
	v_mul_lo_u32 v4, v8, s8
	s_cmp_eq_u32 s8, 1
	s_mov_b64 s[0:1], -1
	s_cbranch_scc1 .LBB222_39
; %bb.36:
	s_and_b32 s2, s8, 0x7ffffffe
	v_mov_b32_e32 v1, v0
	v_mov_b32_e32 v5, s17
	s_mov_b32 s3, s2
	v_mov_b32_e32 v2, v4
.LBB222_37:                             ; =>This Inner Loop Header: Depth=1
	v_ashrrev_i32_e32 v3, 31, v2
	v_lshlrev_b64 v[6:7], 2, v[2:3]
	v_add_co_u32_e32 v6, vcc, s16, v6
	v_addc_co_u32_e32 v7, vcc, v5, v7, vcc
	global_load_dwordx2 v[8:9], v[6:7], off
	s_add_i32 s3, s3, -2
	s_cmp_lg_u32 s3, 0
	v_add_u32_e32 v2, 2, v2
	s_waitcnt vmcnt(0)
	v_div_scale_f32 v3, s[0:1], v1, v1, v9
	v_div_scale_f32 v11, s[0:1], v0, v0, v8
	v_rcp_f32_e32 v12, v3
	v_rcp_f32_e32 v13, v11
	v_div_scale_f32 v10, vcc, v9, v1, v9
	v_fma_f32 v15, -v3, v12, 1.0
	v_fma_f32 v16, -v11, v13, 1.0
	v_fmac_f32_e32 v12, v15, v12
	v_div_scale_f32 v14, s[0:1], v8, v0, v8
	v_fmac_f32_e32 v13, v16, v13
	v_mul_f32_e32 v15, v10, v12
	v_mul_f32_e32 v16, v14, v13
	v_fma_f32 v17, -v3, v15, v10
	v_fma_f32 v18, -v11, v16, v14
	v_fmac_f32_e32 v15, v17, v12
	v_fmac_f32_e32 v16, v18, v13
	v_fma_f32 v3, -v3, v15, v10
	v_fma_f32 v10, -v11, v16, v14
	v_div_fmas_f32 v3, v3, v12, v15
	s_mov_b64 vcc, s[0:1]
	v_div_fixup_f32 v9, v3, v1, v9
	v_div_fmas_f32 v3, v10, v13, v16
	v_div_fixup_f32 v8, v3, v0, v8
	global_store_dwordx2 v[6:7], v[8:9], off
	s_cbranch_scc1 .LBB222_37
; %bb.38:
	s_cmp_lg_u32 s2, s8
	s_cselect_b64 s[0:1], -1, 0
.LBB222_39:
	s_and_b64 vcc, exec, s[0:1]
	s_cbranch_vccz .LBB222_42
; %bb.40:
	v_ashrrev_i32_e32 v1, 31, v4
	v_add_co_u32_e32 v2, vcc, s2, v4
	v_addc_co_u32_e32 v3, vcc, 0, v1, vcc
	v_lshlrev_b64 v[2:3], 2, v[2:3]
	v_mov_b32_e32 v1, s17
	v_add_co_u32_e32 v2, vcc, s16, v2
	s_sub_i32 s0, s8, s2
	v_addc_co_u32_e32 v3, vcc, v1, v3, vcc
.LBB222_41:                             ; =>This Inner Loop Header: Depth=1
	global_load_dword v1, v[2:3], off
	s_add_i32 s0, s0, -1
	s_cmp_lg_u32 s0, 0
	s_waitcnt vmcnt(0)
	v_div_scale_f32 v4, s[2:3], v0, v0, v1
	v_rcp_f32_e32 v5, v4
	v_div_scale_f32 v6, vcc, v1, v0, v1
	v_fma_f32 v7, -v4, v5, 1.0
	v_fmac_f32_e32 v5, v7, v5
	v_mul_f32_e32 v7, v6, v5
	v_fma_f32 v8, -v4, v7, v6
	v_fmac_f32_e32 v7, v8, v5
	v_fma_f32 v4, -v4, v7, v6
	v_div_fmas_f32 v4, v4, v5, v7
	v_div_fixup_f32 v1, v4, v0, v1
	global_store_dword v[2:3], v1, off
	v_add_co_u32_e32 v2, vcc, 4, v2
	v_addc_co_u32_e32 v3, vcc, 0, v3, vcc
	s_cbranch_scc1 .LBB222_41
.LBB222_42:
	s_endpgm
	.section	.rodata,"a",@progbits
	.p2align	6, 0x0
	.amdhsa_kernel _ZN4vllm3moe10topkGatingILi4ELi64ELi4ELi16ELi32EjfLNS0_11ScoringFuncE1EEEvPKT5_PKbPfiPT4_PiiiibPKf
		.amdhsa_group_segment_fixed_size 0
		.amdhsa_private_segment_fixed_size 0
		.amdhsa_kernarg_size 72
		.amdhsa_user_sgpr_count 6
		.amdhsa_user_sgpr_private_segment_buffer 1
		.amdhsa_user_sgpr_dispatch_ptr 0
		.amdhsa_user_sgpr_queue_ptr 0
		.amdhsa_user_sgpr_kernarg_segment_ptr 1
		.amdhsa_user_sgpr_dispatch_id 0
		.amdhsa_user_sgpr_flat_scratch_init 0
		.amdhsa_user_sgpr_kernarg_preload_length 0
		.amdhsa_user_sgpr_kernarg_preload_offset 0
		.amdhsa_user_sgpr_private_segment_size 0
		.amdhsa_uses_dynamic_stack 0
		.amdhsa_system_sgpr_private_segment_wavefront_offset 0
		.amdhsa_system_sgpr_workgroup_id_x 1
		.amdhsa_system_sgpr_workgroup_id_y 0
		.amdhsa_system_sgpr_workgroup_id_z 0
		.amdhsa_system_sgpr_workgroup_info 0
		.amdhsa_system_vgpr_workitem_id 1
		.amdhsa_next_free_vgpr 28
		.amdhsa_next_free_sgpr 26
		.amdhsa_accum_offset 28
		.amdhsa_reserve_vcc 1
		.amdhsa_reserve_flat_scratch 0
		.amdhsa_float_round_mode_32 0
		.amdhsa_float_round_mode_16_64 0
		.amdhsa_float_denorm_mode_32 3
		.amdhsa_float_denorm_mode_16_64 3
		.amdhsa_dx10_clamp 1
		.amdhsa_ieee_mode 1
		.amdhsa_fp16_overflow 0
		.amdhsa_tg_split 0
		.amdhsa_exception_fp_ieee_invalid_op 0
		.amdhsa_exception_fp_denorm_src 0
		.amdhsa_exception_fp_ieee_div_zero 0
		.amdhsa_exception_fp_ieee_overflow 0
		.amdhsa_exception_fp_ieee_underflow 0
		.amdhsa_exception_fp_ieee_inexact 0
		.amdhsa_exception_int_div_zero 0
	.end_amdhsa_kernel
	.section	.text._ZN4vllm3moe10topkGatingILi4ELi64ELi4ELi16ELi32EjfLNS0_11ScoringFuncE1EEEvPKT5_PKbPfiPT4_PiiiibPKf,"axG",@progbits,_ZN4vllm3moe10topkGatingILi4ELi64ELi4ELi16ELi32EjfLNS0_11ScoringFuncE1EEEvPKT5_PKbPfiPT4_PiiiibPKf,comdat
.Lfunc_end222:
	.size	_ZN4vllm3moe10topkGatingILi4ELi64ELi4ELi16ELi32EjfLNS0_11ScoringFuncE1EEEvPKT5_PKbPfiPT4_PiiiibPKf, .Lfunc_end222-_ZN4vllm3moe10topkGatingILi4ELi64ELi4ELi16ELi32EjfLNS0_11ScoringFuncE1EEEvPKT5_PKbPfiPT4_PiiiibPKf
                                        ; -- End function
	.section	.AMDGPU.csdata,"",@progbits
; Kernel info:
; codeLenInByte = 2348
; NumSgprs: 30
; NumVgprs: 28
; NumAgprs: 0
; TotalNumVgprs: 28
; ScratchSize: 0
; MemoryBound: 0
; FloatMode: 240
; IeeeMode: 1
; LDSByteSize: 0 bytes/workgroup (compile time only)
; SGPRBlocks: 3
; VGPRBlocks: 3
; NumSGPRsForWavesPerEU: 30
; NumVGPRsForWavesPerEU: 28
; AccumOffset: 28
; Occupancy: 8
; WaveLimiterHint : 0
; COMPUTE_PGM_RSRC2:SCRATCH_EN: 0
; COMPUTE_PGM_RSRC2:USER_SGPR: 6
; COMPUTE_PGM_RSRC2:TRAP_HANDLER: 0
; COMPUTE_PGM_RSRC2:TGID_X_EN: 1
; COMPUTE_PGM_RSRC2:TGID_Y_EN: 0
; COMPUTE_PGM_RSRC2:TGID_Z_EN: 0
; COMPUTE_PGM_RSRC2:TIDIG_COMP_CNT: 1
; COMPUTE_PGM_RSRC3_GFX90A:ACCUM_OFFSET: 6
; COMPUTE_PGM_RSRC3_GFX90A:TG_SPLIT: 0
	.section	.text._ZN4vllm3moe10topkGatingILi4ELi128ELi4ELi16ELi64EjfLNS0_11ScoringFuncE1EEEvPKT5_PKbPfiPT4_PiiiibPKf,"axG",@progbits,_ZN4vllm3moe10topkGatingILi4ELi128ELi4ELi16ELi64EjfLNS0_11ScoringFuncE1EEEvPKT5_PKbPfiPT4_PiiiibPKf,comdat
	.protected	_ZN4vllm3moe10topkGatingILi4ELi128ELi4ELi16ELi64EjfLNS0_11ScoringFuncE1EEEvPKT5_PKbPfiPT4_PiiiibPKf ; -- Begin function _ZN4vllm3moe10topkGatingILi4ELi128ELi4ELi16ELi64EjfLNS0_11ScoringFuncE1EEEvPKT5_PKbPfiPT4_PiiiibPKf
	.globl	_ZN4vllm3moe10topkGatingILi4ELi128ELi4ELi16ELi64EjfLNS0_11ScoringFuncE1EEEvPKT5_PKbPfiPT4_PiiiibPKf
	.p2align	8
	.type	_ZN4vllm3moe10topkGatingILi4ELi128ELi4ELi16ELi64EjfLNS0_11ScoringFuncE1EEEvPKT5_PKbPfiPT4_PiiiibPKf,@function
_ZN4vllm3moe10topkGatingILi4ELi128ELi4ELi16ELi64EjfLNS0_11ScoringFuncE1EEEvPKT5_PKbPfiPT4_PiiiibPKf: ; @_ZN4vllm3moe10topkGatingILi4ELi128ELi4ELi16ELi64EjfLNS0_11ScoringFuncE1EEEvPKT5_PKbPfiPT4_PiiiibPKf
; %bb.0:
	s_load_dword s24, s[4:5], 0x18
	v_bfe_u32 v1, v0, 10, 10
	v_and_b32_e32 v0, 0x3ff, v0
	s_lshl_b32 s0, s6, 3
	v_lshlrev_b32_e32 v1, 1, v1
	v_lshrrev_b32_e32 v2, 5, v0
	v_add3_u32 v8, s0, v1, v2
	s_waitcnt lgkmcnt(0)
	v_cmp_gt_i32_e32 vcc, s24, v8
	s_and_saveexec_b64 s[0:1], vcc
	s_cbranch_execz .LBB223_46
; %bb.1:
	s_load_dwordx4 s[0:3], s[4:5], 0x0
	s_load_dwordx2 s[16:17], s[4:5], 0x10
	s_mov_b64 s[8:9], -1
	s_mov_b64 s[18:19], -1
	s_waitcnt lgkmcnt(0)
	s_cmp_eq_u64 s[2:3], 0
	s_cbranch_scc1 .LBB223_3
; %bb.2:
	v_ashrrev_i32_e32 v1, 31, v8
	v_mov_b32_e32 v3, s3
	v_add_co_u32_e32 v2, vcc, s2, v8
	v_addc_co_u32_e32 v3, vcc, v3, v1, vcc
	global_load_ubyte v1, v[2:3], off
	s_waitcnt vmcnt(0)
	v_and_b32_e32 v1, 1, v1
	v_cmp_eq_u32_e32 vcc, 1, v1
	s_xor_b64 s[2:3], vcc, -1
	s_orn2_b64 s[18:19], s[2:3], exec
.LBB223_3:
	v_lshlrev_b32_e32 v2, 7, v8
	v_ashrrev_i32_e32 v3, 31, v2
	v_lshlrev_b64 v[2:3], 2, v[2:3]
	v_mov_b32_e32 v1, s1
	v_add_co_u32_e32 v2, vcc, s0, v2
	v_and_b32_e32 v9, 31, v0
	v_addc_co_u32_e32 v1, vcc, v1, v3, vcc
	v_lshlrev_b32_e32 v0, 4, v9
	v_add_co_u32_e32 v0, vcc, v2, v0
	v_addc_co_u32_e32 v1, vcc, 0, v1, vcc
	global_load_dwordx4 v[0:3], v[0:1], off
	v_mov_b32_e32 v4, 0x207
	s_load_dwordx2 s[10:11], s[4:5], 0x40
	v_lshlrev_b32_e32 v10, 2, v9
	s_waitcnt lgkmcnt(0)
	s_cmp_eq_u64 s[10:11], 0
	s_waitcnt vmcnt(0)
	v_mul_f32_e32 v0, 0xbfb8aa3b, v0
	v_mul_f32_e32 v1, 0xbfb8aa3b, v1
	v_exp_f32_e32 v0, v0
	v_exp_f32_e32 v1, v1
	v_mul_f32_e32 v2, 0xbfb8aa3b, v2
	v_mul_f32_e32 v3, 0xbfb8aa3b, v3
	v_exp_f32_e32 v2, v2
	v_exp_f32_e32 v3, v3
	v_pk_add_f32 v[0:1], v[0:1], 1.0 op_sel_hi:[1,0]
	v_div_scale_f32 v5, s[0:1], v1, v1, 1.0
	v_rcp_f32_e32 v16, v5
	v_div_scale_f32 v7, s[0:1], v0, v0, 1.0
	v_pk_add_f32 v[2:3], v[2:3], 1.0 op_sel_hi:[1,0]
	v_rcp_f32_e32 v17, v7
	v_div_scale_f32 v12, s[2:3], v3, v3, 1.0
	v_rcp_f32_e32 v18, v12
	v_fma_f32 v20, -v5, v16, 1.0
	v_div_scale_f32 v6, vcc, 1.0, v1, 1.0
	v_div_scale_f32 v14, s[6:7], v2, v2, 1.0
	v_fmac_f32_e32 v16, v20, v16
	v_rcp_f32_e32 v19, v14
	v_fma_f32 v21, -v7, v17, 1.0
	v_mul_f32_e32 v20, v6, v16
	v_div_scale_f32 v11, s[0:1], 1.0, v0, 1.0
	v_fmac_f32_e32 v17, v21, v17
	v_fma_f32 v24, -v5, v20, v6
	v_fma_f32 v22, -v12, v18, 1.0
	v_mul_f32_e32 v21, v11, v17
	v_fmac_f32_e32 v20, v24, v16
	v_div_scale_f32 v13, s[2:3], 1.0, v3, 1.0
	v_fmac_f32_e32 v18, v22, v18
	v_fma_f32 v25, -v7, v21, v11
	v_fma_f32 v5, -v5, v20, v6
	v_fma_f32 v23, -v14, v19, 1.0
	v_mul_f32_e32 v22, v13, v18
	v_fmac_f32_e32 v21, v25, v17
	v_div_fmas_f32 v5, v5, v16, v20
	v_div_scale_f32 v15, s[6:7], 1.0, v2, 1.0
	v_fmac_f32_e32 v19, v23, v19
	v_fma_f32 v26, -v12, v22, v13
	v_fma_f32 v6, -v7, v21, v11
	v_div_fixup_f32 v1, v5, v1, 1.0
	s_mov_b64 vcc, s[0:1]
	v_mul_f32_e32 v23, v15, v19
	v_fmac_f32_e32 v22, v26, v18
	v_div_fmas_f32 v5, v6, v17, v21
	v_cmp_class_f32_e32 vcc, v1, v4
	v_fma_f32 v27, -v14, v23, v15
	v_fma_f32 v7, -v12, v22, v13
	v_div_fixup_f32 v0, v5, v0, 1.0
	v_cndmask_b32_e64 v1, v1, 0, vcc
	s_mov_b64 vcc, s[2:3]
	v_fmac_f32_e32 v23, v27, v19
	v_div_fmas_f32 v5, v7, v18, v22
	v_cmp_class_f32_e32 vcc, v0, v4
	v_fma_f32 v11, -v14, v23, v15
	v_cndmask_b32_e64 v0, v0, 0, vcc
	s_mov_b64 vcc, s[6:7]
	v_div_fixup_f32 v3, v5, v3, 1.0
	v_div_fmas_f32 v5, v11, v19, v23
	v_div_fixup_f32 v2, v5, v2, 1.0
	v_cmp_class_f32_e32 vcc, v3, v4
	v_cndmask_b32_e64 v3, v3, 0, vcc
	v_cmp_class_f32_e32 vcc, v2, v4
	v_cndmask_b32_e64 v2, v2, 0, vcc
	s_cbranch_scc1 .LBB223_35
; %bb.4:
	v_lshlrev_b32_e32 v4, 2, v10
	global_load_dwordx4 v[4:7], v4, s[10:11]
	s_waitcnt vmcnt(0)
	v_pk_add_f32 v[4:5], v[4:5], v[0:1]
	v_pk_add_f32 v[6:7], v[6:7], v[2:3]
	s_cbranch_execnz .LBB223_6
.LBB223_5:
	v_pk_mov_b32 v[6:7], v[2:3], v[2:3] op_sel:[0,1]
	v_pk_mov_b32 v[4:5], v[0:1], v[0:1] op_sel:[0,1]
.LBB223_6:
	s_load_dwordx4 s[8:11], s[4:5], 0x30
	s_mov_b32 s25, 0
	v_cmp_eq_u32_e64 s[0:1], 0, v9
	s_waitcnt lgkmcnt(0)
	s_bitcmp1_b32 s11, 0
	s_cselect_b64 vcc, -1, 0
	s_cmp_gt_i32 s8, 0
	s_cselect_b64 s[6:7], -1, 0
	s_cmp_lt_i32 s8, 1
	s_cbranch_scc1 .LBB223_36
; %bb.7:
	v_mbcnt_lo_u32_b32 v11, -1, 0
	v_mbcnt_hi_u32_b32 v11, -1, v11
	v_and_b32_e32 v12, 0x60, v11
	v_add_u32_e32 v17, 32, v12
	v_xor_b32_e32 v13, 16, v11
	v_cmp_lt_i32_e64 s[2:3], v13, v17
	v_xor_b32_e32 v14, 8, v11
	v_cndmask_b32_e64 v13, v11, v13, s[2:3]
	v_cmp_lt_i32_e64 s[2:3], v14, v17
	v_xor_b32_e32 v15, 4, v11
	s_load_dwordx4 s[12:15], s[4:5], 0x20
	v_cndmask_b32_e64 v14, v11, v14, s[2:3]
	v_cmp_lt_i32_e64 s[2:3], v15, v17
	v_xor_b32_e32 v16, 2, v11
	v_cndmask_b32_e64 v15, v11, v15, s[2:3]
	v_cmp_lt_i32_e64 s[2:3], v16, v17
	v_xor_b32_e32 v18, 1, v11
	v_cndmask_b32_e64 v16, v11, v16, s[2:3]
	v_cmp_lt_i32_e64 s[2:3], v18, v17
	v_cndmask_b32_e64 v11, v11, v18, s[2:3]
	v_mul_lo_u32 v12, v8, s8
	v_lshlrev_b32_e32 v13, 2, v13
	v_lshlrev_b32_e32 v14, 2, v14
	;; [unrolled: 1-line block ×5, first 2 shown]
	v_mov_b32_e32 v11, 0
	v_mov_b32_e32 v18, 0x80
	;; [unrolled: 1-line block ×4, first 2 shown]
	s_branch .LBB223_10
.LBB223_8:                              ;   in Loop: Header=BB223_10 Depth=1
	s_or_b64 exec, exec, s[4:5]
.LBB223_9:                              ;   in Loop: Header=BB223_10 Depth=1
	s_cmp_eq_u32 s8, s25
	v_add_u32_e32 v20, s24, v20
	s_cbranch_scc1 .LBB223_37
.LBB223_10:                             ; =>This Inner Loop Header: Depth=1
	v_cmp_gt_f32_e64 s[2:3], v5, v4
	v_cndmask_b32_e64 v23, v4, v5, s[2:3]
	v_cndmask_b32_e64 v21, 0, 1, s[2:3]
	;; [unrolled: 1-line block ×3, first 2 shown]
	v_cmp_gt_f32_e64 s[2:3], v6, v23
	v_cndmask_b32_e64 v23, v23, v6, s[2:3]
	v_cndmask_b32_e64 v21, v21, 2, s[2:3]
	;; [unrolled: 1-line block ×3, first 2 shown]
	v_cmp_gt_f32_e64 s[2:3], v7, v23
	v_cndmask_b32_e64 v21, v21, 3, s[2:3]
	v_cndmask_b32_e64 v23, v23, v7, s[2:3]
	v_or_b32_e32 v21, v10, v21
	v_cndmask_b32_e64 v22, v22, v3, s[2:3]
	s_waitcnt lgkmcnt(0)
	ds_bpermute_b32 v24, v13, v23
	ds_bpermute_b32 v26, v13, v22
	;; [unrolled: 1-line block ×3, first 2 shown]
	s_waitcnt lgkmcnt(0)
	v_cmp_lt_f32_e64 s[20:21], v23, v24
	v_cmp_nlt_f32_e64 s[2:3], v23, v24
	s_and_saveexec_b64 s[22:23], s[2:3]
; %bb.11:                               ;   in Loop: Header=BB223_10 Depth=1
	v_cmp_eq_f32_e64 s[2:3], v23, v24
	v_cmp_lt_i32_e64 s[4:5], v25, v21
	s_and_b64 s[2:3], s[2:3], s[4:5]
	s_andn2_b64 s[4:5], s[20:21], exec
	s_and_b64 s[2:3], s[2:3], exec
	s_or_b64 s[20:21], s[4:5], s[2:3]
; %bb.12:                               ;   in Loop: Header=BB223_10 Depth=1
	s_or_b64 exec, exec, s[22:23]
	s_and_saveexec_b64 s[2:3], s[20:21]
; %bb.13:                               ;   in Loop: Header=BB223_10 Depth=1
	v_mov_b32_e32 v22, v26
	v_mov_b32_e32 v23, v24
	;; [unrolled: 1-line block ×3, first 2 shown]
; %bb.14:                               ;   in Loop: Header=BB223_10 Depth=1
	s_or_b64 exec, exec, s[2:3]
	ds_bpermute_b32 v24, v14, v23
	ds_bpermute_b32 v26, v14, v22
	ds_bpermute_b32 v25, v14, v21
	s_waitcnt lgkmcnt(2)
	v_cmp_lt_f32_e64 s[20:21], v23, v24
	v_cmp_nlt_f32_e64 s[2:3], v23, v24
	s_and_saveexec_b64 s[22:23], s[2:3]
	s_cbranch_execz .LBB223_16
; %bb.15:                               ;   in Loop: Header=BB223_10 Depth=1
	v_cmp_eq_f32_e64 s[2:3], v23, v24
	s_waitcnt lgkmcnt(0)
	v_cmp_lt_i32_e64 s[4:5], v25, v21
	s_and_b64 s[2:3], s[2:3], s[4:5]
	s_andn2_b64 s[4:5], s[20:21], exec
	s_and_b64 s[2:3], s[2:3], exec
	s_or_b64 s[20:21], s[4:5], s[2:3]
.LBB223_16:                             ;   in Loop: Header=BB223_10 Depth=1
	s_or_b64 exec, exec, s[22:23]
	s_and_saveexec_b64 s[2:3], s[20:21]
	s_cbranch_execz .LBB223_18
; %bb.17:                               ;   in Loop: Header=BB223_10 Depth=1
	s_waitcnt lgkmcnt(1)
	v_mov_b32_e32 v22, v26
	v_mov_b32_e32 v23, v24
	s_waitcnt lgkmcnt(0)
	v_mov_b32_e32 v21, v25
.LBB223_18:                             ;   in Loop: Header=BB223_10 Depth=1
	s_or_b64 exec, exec, s[2:3]
	ds_bpermute_b32 v24, v15, v23
	s_waitcnt lgkmcnt(2)
	ds_bpermute_b32 v26, v15, v22
	s_waitcnt lgkmcnt(2)
	;; [unrolled: 2-line block ×3, first 2 shown]
	v_cmp_lt_f32_e64 s[20:21], v23, v24
	v_cmp_nlt_f32_e64 s[2:3], v23, v24
	s_and_saveexec_b64 s[22:23], s[2:3]
	s_cbranch_execz .LBB223_20
; %bb.19:                               ;   in Loop: Header=BB223_10 Depth=1
	v_cmp_eq_f32_e64 s[2:3], v23, v24
	s_waitcnt lgkmcnt(0)
	v_cmp_lt_i32_e64 s[4:5], v25, v21
	s_and_b64 s[2:3], s[2:3], s[4:5]
	s_andn2_b64 s[4:5], s[20:21], exec
	s_and_b64 s[2:3], s[2:3], exec
	s_or_b64 s[20:21], s[4:5], s[2:3]
.LBB223_20:                             ;   in Loop: Header=BB223_10 Depth=1
	s_or_b64 exec, exec, s[22:23]
	s_and_saveexec_b64 s[2:3], s[20:21]
	s_cbranch_execz .LBB223_22
; %bb.21:                               ;   in Loop: Header=BB223_10 Depth=1
	s_waitcnt lgkmcnt(1)
	v_mov_b32_e32 v22, v26
	v_mov_b32_e32 v23, v24
	s_waitcnt lgkmcnt(0)
	v_mov_b32_e32 v21, v25
.LBB223_22:                             ;   in Loop: Header=BB223_10 Depth=1
	s_or_b64 exec, exec, s[2:3]
	ds_bpermute_b32 v24, v16, v23
	s_waitcnt lgkmcnt(2)
	ds_bpermute_b32 v26, v16, v22
	s_waitcnt lgkmcnt(2)
	;; [unrolled: 2-line block ×3, first 2 shown]
	v_cmp_lt_f32_e64 s[20:21], v23, v24
	v_cmp_nlt_f32_e64 s[2:3], v23, v24
	s_and_saveexec_b64 s[22:23], s[2:3]
	s_cbranch_execz .LBB223_24
; %bb.23:                               ;   in Loop: Header=BB223_10 Depth=1
	v_cmp_eq_f32_e64 s[2:3], v23, v24
	s_waitcnt lgkmcnt(0)
	v_cmp_lt_i32_e64 s[4:5], v25, v21
	s_and_b64 s[2:3], s[2:3], s[4:5]
	s_andn2_b64 s[4:5], s[20:21], exec
	s_and_b64 s[2:3], s[2:3], exec
	s_or_b64 s[20:21], s[4:5], s[2:3]
.LBB223_24:                             ;   in Loop: Header=BB223_10 Depth=1
	s_or_b64 exec, exec, s[22:23]
	s_and_saveexec_b64 s[2:3], s[20:21]
	s_cbranch_execz .LBB223_26
; %bb.25:                               ;   in Loop: Header=BB223_10 Depth=1
	s_waitcnt lgkmcnt(1)
	v_mov_b32_e32 v22, v26
	v_mov_b32_e32 v23, v24
	s_waitcnt lgkmcnt(0)
	v_mov_b32_e32 v21, v25
.LBB223_26:                             ;   in Loop: Header=BB223_10 Depth=1
	s_or_b64 exec, exec, s[2:3]
	s_waitcnt lgkmcnt(1)
	ds_bpermute_b32 v26, v17, v23
	ds_bpermute_b32 v24, v17, v22
	s_waitcnt lgkmcnt(2)
	ds_bpermute_b32 v25, v17, v21
	s_waitcnt lgkmcnt(2)
	v_cmp_lt_f32_e64 s[20:21], v23, v26
	v_cmp_nlt_f32_e64 s[2:3], v23, v26
	s_and_saveexec_b64 s[22:23], s[2:3]
	s_cbranch_execnz .LBB223_30
; %bb.27:                               ;   in Loop: Header=BB223_10 Depth=1
	s_or_b64 exec, exec, s[22:23]
	s_and_saveexec_b64 s[2:3], s[20:21]
	s_cbranch_execnz .LBB223_31
.LBB223_28:                             ;   in Loop: Header=BB223_10 Depth=1
	s_or_b64 exec, exec, s[2:3]
	s_and_saveexec_b64 s[20:21], s[0:1]
	s_cbranch_execnz .LBB223_32
.LBB223_29:                             ;   in Loop: Header=BB223_10 Depth=1
	s_or_b64 exec, exec, s[20:21]
	s_add_i32 s25, s25, 1
	s_cmp_ge_i32 s25, s8
	s_cbranch_scc1 .LBB223_9
	s_branch .LBB223_33
.LBB223_30:                             ;   in Loop: Header=BB223_10 Depth=1
	v_cmp_eq_f32_e64 s[2:3], v23, v26
	s_waitcnt lgkmcnt(0)
	v_cmp_lt_i32_e64 s[4:5], v25, v21
	s_and_b64 s[2:3], s[2:3], s[4:5]
	s_andn2_b64 s[4:5], s[20:21], exec
	s_and_b64 s[2:3], s[2:3], exec
	s_or_b64 s[20:21], s[4:5], s[2:3]
	s_or_b64 exec, exec, s[22:23]
	s_and_saveexec_b64 s[2:3], s[20:21]
	s_cbranch_execz .LBB223_28
.LBB223_31:                             ;   in Loop: Header=BB223_10 Depth=1
	s_waitcnt lgkmcnt(0)
	v_mov_b32_e32 v21, v25
	v_mov_b32_e32 v22, v24
	s_or_b64 exec, exec, s[2:3]
	s_and_saveexec_b64 s[20:21], s[0:1]
	s_cbranch_execz .LBB223_29
.LBB223_32:                             ;   in Loop: Header=BB223_10 Depth=1
	s_waitcnt lgkmcnt(1)
	v_add_u32_e32 v24, s25, v12
	s_waitcnt lgkmcnt(0)
	v_ashrrev_i32_e32 v25, 31, v24
	v_cmp_le_i32_e64 s[2:3], s9, v21
	v_cmp_gt_i32_e64 s[4:5], s10, v21
	v_lshlrev_b64 v[24:25], 2, v[24:25]
	s_and_b64 s[4:5], s[2:3], s[4:5]
	v_mov_b32_e32 v23, s17
	v_add_co_u32_e64 v26, s[2:3], s16, v24
	v_addc_co_u32_e64 v27, s[2:3], v23, v25, s[2:3]
	v_subrev_u32_e32 v23, s9, v21
	s_and_b64 s[2:3], s[18:19], s[4:5]
	global_store_dword v[26:27], v22, off
	v_cndmask_b32_e64 v23, v18, v23, s[2:3]
	v_mov_b32_e32 v27, s13
	v_add_co_u32_e64 v26, s[2:3], s12, v24
	v_addc_co_u32_e64 v27, s[2:3], v27, v25, s[2:3]
	global_store_dword v[26:27], v23, off
	v_mov_b32_e32 v23, s15
	v_add_co_u32_e64 v24, s[2:3], s14, v24
	v_add_f32_e32 v22, v11, v22
	v_addc_co_u32_e64 v25, s[2:3], v23, v25, s[2:3]
	v_cndmask_b32_e32 v11, v11, v22, vcc
	global_store_dword v[24:25], v20, off
	s_or_b64 exec, exec, s[20:21]
	s_add_i32 s25, s25, 1
	s_cmp_ge_i32 s25, s8
	s_cbranch_scc1 .LBB223_9
.LBB223_33:                             ;   in Loop: Header=BB223_10 Depth=1
	v_ashrrev_i32_e32 v23, 31, v21
	v_lshrrev_b32_e32 v22, 30, v23
	s_waitcnt lgkmcnt(1)
	v_add_u32_e32 v24, v21, v22
	v_ashrrev_i32_e32 v22, 2, v24
	v_ashrrev_i32_e32 v24, 31, v24
	v_lshrrev_b32_e32 v24, 27, v24
	v_add_u32_e32 v24, v22, v24
	v_and_b32_e32 v24, 0xffffffe0, v24
	v_sub_u32_e32 v24, v22, v24
	v_cmp_eq_u32_e64 s[2:3], v9, v24
	s_and_saveexec_b64 s[4:5], s[2:3]
	s_cbranch_execz .LBB223_8
; %bb.34:                               ;   in Loop: Header=BB223_10 Depth=1
	v_lshrrev_b32_e32 v23, 25, v23
	v_add_u32_e32 v23, v21, v23
	v_lshlrev_b32_e32 v22, 2, v22
	v_ashrrev_i32_e32 v23, 7, v23
	v_sub_u32_e32 v21, v21, v22
	v_lshl_add_u32 v21, v23, 2, v21
	v_cmp_ne_u32_e64 s[2:3], 3, v21
	v_cndmask_b32_e64 v7, v19, v7, s[2:3]
	v_cmp_ne_u32_e64 s[2:3], 2, v21
	v_cndmask_b32_e64 v6, v19, v6, s[2:3]
	;; [unrolled: 2-line block ×4, first 2 shown]
	s_branch .LBB223_8
.LBB223_35:
                                        ; implicit-def: $vgpr4_vgpr5_vgpr6_vgpr7
	s_andn2_b64 vcc, exec, s[8:9]
	s_cbranch_vccz .LBB223_5
	s_branch .LBB223_6
.LBB223_36:
	v_mov_b32_e32 v11, 0
.LBB223_37:
	v_cmp_eq_u32_e64 s[0:1], 0, v9
	s_and_b64 s[0:1], s[0:1], vcc
	s_and_b64 exec, exec, s[0:1]
	s_cbranch_execz .LBB223_46
; %bb.38:
	s_andn2_b64 vcc, exec, s[6:7]
	s_cbranch_vccnz .LBB223_46
; %bb.39:
	v_cmp_lt_f32_e32 vcc, 0, v11
	s_mov_b32 s2, 0
	v_cndmask_b32_e32 v0, 1.0, v11, vcc
	v_mul_lo_u32 v4, v8, s8
	s_cmp_eq_u32 s8, 1
	s_mov_b64 s[0:1], -1
	s_cbranch_scc1 .LBB223_43
; %bb.40:
	s_and_b32 s2, s8, 0x7ffffffe
	v_mov_b32_e32 v1, v0
	v_mov_b32_e32 v5, s17
	s_mov_b32 s3, s2
	v_mov_b32_e32 v2, v4
.LBB223_41:                             ; =>This Inner Loop Header: Depth=1
	v_ashrrev_i32_e32 v3, 31, v2
	v_lshlrev_b64 v[6:7], 2, v[2:3]
	v_add_co_u32_e32 v6, vcc, s16, v6
	v_addc_co_u32_e32 v7, vcc, v5, v7, vcc
	global_load_dwordx2 v[8:9], v[6:7], off
	s_add_i32 s3, s3, -2
	s_cmp_lg_u32 s3, 0
	v_add_u32_e32 v2, 2, v2
	s_waitcnt vmcnt(0)
	v_div_scale_f32 v3, s[0:1], v1, v1, v9
	v_div_scale_f32 v11, s[0:1], v0, v0, v8
	v_rcp_f32_e32 v12, v3
	v_rcp_f32_e32 v13, v11
	v_div_scale_f32 v10, vcc, v9, v1, v9
	v_fma_f32 v15, -v3, v12, 1.0
	v_fma_f32 v16, -v11, v13, 1.0
	v_fmac_f32_e32 v12, v15, v12
	v_div_scale_f32 v14, s[0:1], v8, v0, v8
	v_fmac_f32_e32 v13, v16, v13
	v_mul_f32_e32 v15, v10, v12
	v_mul_f32_e32 v16, v14, v13
	v_fma_f32 v17, -v3, v15, v10
	v_fma_f32 v18, -v11, v16, v14
	v_fmac_f32_e32 v15, v17, v12
	v_fmac_f32_e32 v16, v18, v13
	v_fma_f32 v3, -v3, v15, v10
	v_fma_f32 v10, -v11, v16, v14
	v_div_fmas_f32 v3, v3, v12, v15
	s_mov_b64 vcc, s[0:1]
	v_div_fixup_f32 v9, v3, v1, v9
	v_div_fmas_f32 v3, v10, v13, v16
	v_div_fixup_f32 v8, v3, v0, v8
	global_store_dwordx2 v[6:7], v[8:9], off
	s_cbranch_scc1 .LBB223_41
; %bb.42:
	s_cmp_lg_u32 s2, s8
	s_cselect_b64 s[0:1], -1, 0
.LBB223_43:
	s_and_b64 vcc, exec, s[0:1]
	s_cbranch_vccz .LBB223_46
; %bb.44:
	v_ashrrev_i32_e32 v1, 31, v4
	v_add_co_u32_e32 v2, vcc, s2, v4
	v_addc_co_u32_e32 v3, vcc, 0, v1, vcc
	v_lshlrev_b64 v[2:3], 2, v[2:3]
	v_mov_b32_e32 v1, s17
	v_add_co_u32_e32 v2, vcc, s16, v2
	s_sub_i32 s0, s8, s2
	v_addc_co_u32_e32 v3, vcc, v1, v3, vcc
.LBB223_45:                             ; =>This Inner Loop Header: Depth=1
	global_load_dword v1, v[2:3], off
	s_add_i32 s0, s0, -1
	s_cmp_lg_u32 s0, 0
	s_waitcnt vmcnt(0)
	v_div_scale_f32 v4, s[2:3], v0, v0, v1
	v_rcp_f32_e32 v5, v4
	v_div_scale_f32 v6, vcc, v1, v0, v1
	v_fma_f32 v7, -v4, v5, 1.0
	v_fmac_f32_e32 v5, v7, v5
	v_mul_f32_e32 v7, v6, v5
	v_fma_f32 v8, -v4, v7, v6
	v_fmac_f32_e32 v7, v8, v5
	v_fma_f32 v4, -v4, v7, v6
	v_div_fmas_f32 v4, v4, v5, v7
	v_div_fixup_f32 v1, v4, v0, v1
	global_store_dword v[2:3], v1, off
	v_add_co_u32_e32 v2, vcc, 4, v2
	v_addc_co_u32_e32 v3, vcc, 0, v3, vcc
	s_cbranch_scc1 .LBB223_45
.LBB223_46:
	s_endpgm
	.section	.rodata,"a",@progbits
	.p2align	6, 0x0
	.amdhsa_kernel _ZN4vllm3moe10topkGatingILi4ELi128ELi4ELi16ELi64EjfLNS0_11ScoringFuncE1EEEvPKT5_PKbPfiPT4_PiiiibPKf
		.amdhsa_group_segment_fixed_size 0
		.amdhsa_private_segment_fixed_size 0
		.amdhsa_kernarg_size 72
		.amdhsa_user_sgpr_count 6
		.amdhsa_user_sgpr_private_segment_buffer 1
		.amdhsa_user_sgpr_dispatch_ptr 0
		.amdhsa_user_sgpr_queue_ptr 0
		.amdhsa_user_sgpr_kernarg_segment_ptr 1
		.amdhsa_user_sgpr_dispatch_id 0
		.amdhsa_user_sgpr_flat_scratch_init 0
		.amdhsa_user_sgpr_kernarg_preload_length 0
		.amdhsa_user_sgpr_kernarg_preload_offset 0
		.amdhsa_user_sgpr_private_segment_size 0
		.amdhsa_uses_dynamic_stack 0
		.amdhsa_system_sgpr_private_segment_wavefront_offset 0
		.amdhsa_system_sgpr_workgroup_id_x 1
		.amdhsa_system_sgpr_workgroup_id_y 0
		.amdhsa_system_sgpr_workgroup_id_z 0
		.amdhsa_system_sgpr_workgroup_info 0
		.amdhsa_system_vgpr_workitem_id 1
		.amdhsa_next_free_vgpr 28
		.amdhsa_next_free_sgpr 26
		.amdhsa_accum_offset 28
		.amdhsa_reserve_vcc 1
		.amdhsa_reserve_flat_scratch 0
		.amdhsa_float_round_mode_32 0
		.amdhsa_float_round_mode_16_64 0
		.amdhsa_float_denorm_mode_32 3
		.amdhsa_float_denorm_mode_16_64 3
		.amdhsa_dx10_clamp 1
		.amdhsa_ieee_mode 1
		.amdhsa_fp16_overflow 0
		.amdhsa_tg_split 0
		.amdhsa_exception_fp_ieee_invalid_op 0
		.amdhsa_exception_fp_denorm_src 0
		.amdhsa_exception_fp_ieee_div_zero 0
		.amdhsa_exception_fp_ieee_overflow 0
		.amdhsa_exception_fp_ieee_underflow 0
		.amdhsa_exception_fp_ieee_inexact 0
		.amdhsa_exception_int_div_zero 0
	.end_amdhsa_kernel
	.section	.text._ZN4vllm3moe10topkGatingILi4ELi128ELi4ELi16ELi64EjfLNS0_11ScoringFuncE1EEEvPKT5_PKbPfiPT4_PiiiibPKf,"axG",@progbits,_ZN4vllm3moe10topkGatingILi4ELi128ELi4ELi16ELi64EjfLNS0_11ScoringFuncE1EEEvPKT5_PKbPfiPT4_PiiiibPKf,comdat
.Lfunc_end223:
	.size	_ZN4vllm3moe10topkGatingILi4ELi128ELi4ELi16ELi64EjfLNS0_11ScoringFuncE1EEEvPKT5_PKbPfiPT4_PiiiibPKf, .Lfunc_end223-_ZN4vllm3moe10topkGatingILi4ELi128ELi4ELi16ELi64EjfLNS0_11ScoringFuncE1EEEvPKT5_PKbPfiPT4_PiiiibPKf
                                        ; -- End function
	.section	.AMDGPU.csdata,"",@progbits
; Kernel info:
; codeLenInByte = 2516
; NumSgprs: 30
; NumVgprs: 28
; NumAgprs: 0
; TotalNumVgprs: 28
; ScratchSize: 0
; MemoryBound: 0
; FloatMode: 240
; IeeeMode: 1
; LDSByteSize: 0 bytes/workgroup (compile time only)
; SGPRBlocks: 3
; VGPRBlocks: 3
; NumSGPRsForWavesPerEU: 30
; NumVGPRsForWavesPerEU: 28
; AccumOffset: 28
; Occupancy: 8
; WaveLimiterHint : 0
; COMPUTE_PGM_RSRC2:SCRATCH_EN: 0
; COMPUTE_PGM_RSRC2:USER_SGPR: 6
; COMPUTE_PGM_RSRC2:TRAP_HANDLER: 0
; COMPUTE_PGM_RSRC2:TGID_X_EN: 1
; COMPUTE_PGM_RSRC2:TGID_Y_EN: 0
; COMPUTE_PGM_RSRC2:TGID_Z_EN: 0
; COMPUTE_PGM_RSRC2:TIDIG_COMP_CNT: 1
; COMPUTE_PGM_RSRC3_GFX90A:ACCUM_OFFSET: 6
; COMPUTE_PGM_RSRC3_GFX90A:TG_SPLIT: 0
	.section	.text._ZN4vllm3moe10topkGatingILi4ELi128ELi4ELi16ELi32EjfLNS0_11ScoringFuncE1EEEvPKT5_PKbPfiPT4_PiiiibPKf,"axG",@progbits,_ZN4vllm3moe10topkGatingILi4ELi128ELi4ELi16ELi32EjfLNS0_11ScoringFuncE1EEEvPKT5_PKbPfiPT4_PiiiibPKf,comdat
	.protected	_ZN4vllm3moe10topkGatingILi4ELi128ELi4ELi16ELi32EjfLNS0_11ScoringFuncE1EEEvPKT5_PKbPfiPT4_PiiiibPKf ; -- Begin function _ZN4vllm3moe10topkGatingILi4ELi128ELi4ELi16ELi32EjfLNS0_11ScoringFuncE1EEEvPKT5_PKbPfiPT4_PiiiibPKf
	.globl	_ZN4vllm3moe10topkGatingILi4ELi128ELi4ELi16ELi32EjfLNS0_11ScoringFuncE1EEEvPKT5_PKbPfiPT4_PiiiibPKf
	.p2align	8
	.type	_ZN4vllm3moe10topkGatingILi4ELi128ELi4ELi16ELi32EjfLNS0_11ScoringFuncE1EEEvPKT5_PKbPfiPT4_PiiiibPKf,@function
_ZN4vllm3moe10topkGatingILi4ELi128ELi4ELi16ELi32EjfLNS0_11ScoringFuncE1EEEvPKT5_PKbPfiPT4_PiiiibPKf: ; @_ZN4vllm3moe10topkGatingILi4ELi128ELi4ELi16ELi32EjfLNS0_11ScoringFuncE1EEEvPKT5_PKbPfiPT4_PiiiibPKf
; %bb.0:
	s_load_dword s24, s[4:5], 0x18
	v_and_b32_e32 v1, 0x3ff, v0
	s_lshl_b32 s0, s6, 2
	v_lshrrev_b32_e32 v2, 5, v1
	v_bfe_u32 v0, v0, 10, 10
	v_add3_u32 v8, s0, v0, v2
	s_waitcnt lgkmcnt(0)
	v_cmp_gt_i32_e32 vcc, s24, v8
	s_and_saveexec_b64 s[0:1], vcc
	s_cbranch_execz .LBB224_46
; %bb.1:
	s_load_dwordx4 s[0:3], s[4:5], 0x0
	s_load_dwordx2 s[16:17], s[4:5], 0x10
	s_mov_b64 s[8:9], -1
	s_mov_b64 s[18:19], -1
	s_waitcnt lgkmcnt(0)
	s_cmp_eq_u64 s[2:3], 0
	s_cbranch_scc1 .LBB224_3
; %bb.2:
	v_ashrrev_i32_e32 v0, 31, v8
	v_mov_b32_e32 v3, s3
	v_add_co_u32_e32 v2, vcc, s2, v8
	v_addc_co_u32_e32 v3, vcc, v3, v0, vcc
	global_load_ubyte v0, v[2:3], off
	s_waitcnt vmcnt(0)
	v_and_b32_e32 v0, 1, v0
	v_cmp_eq_u32_e32 vcc, 1, v0
	s_xor_b64 s[2:3], vcc, -1
	s_orn2_b64 s[18:19], s[2:3], exec
.LBB224_3:
	v_lshlrev_b32_e32 v2, 7, v8
	v_ashrrev_i32_e32 v3, 31, v2
	v_lshlrev_b64 v[2:3], 2, v[2:3]
	v_mov_b32_e32 v0, s1
	v_add_co_u32_e32 v2, vcc, s0, v2
	v_and_b32_e32 v9, 31, v1
	v_addc_co_u32_e32 v3, vcc, v0, v3, vcc
	v_lshlrev_b32_e32 v0, 4, v9
	v_add_co_u32_e32 v0, vcc, v2, v0
	v_addc_co_u32_e32 v1, vcc, 0, v3, vcc
	global_load_dwordx4 v[0:3], v[0:1], off
	v_mov_b32_e32 v4, 0x207
	s_load_dwordx2 s[10:11], s[4:5], 0x40
	v_lshlrev_b32_e32 v10, 2, v9
	s_waitcnt lgkmcnt(0)
	s_cmp_eq_u64 s[10:11], 0
	s_waitcnt vmcnt(0)
	v_mul_f32_e32 v0, 0xbfb8aa3b, v0
	v_mul_f32_e32 v1, 0xbfb8aa3b, v1
	v_exp_f32_e32 v0, v0
	v_exp_f32_e32 v1, v1
	v_mul_f32_e32 v2, 0xbfb8aa3b, v2
	v_mul_f32_e32 v3, 0xbfb8aa3b, v3
	v_exp_f32_e32 v2, v2
	v_exp_f32_e32 v3, v3
	v_pk_add_f32 v[0:1], v[0:1], 1.0 op_sel_hi:[1,0]
	v_div_scale_f32 v5, s[0:1], v1, v1, 1.0
	v_rcp_f32_e32 v16, v5
	v_div_scale_f32 v7, s[0:1], v0, v0, 1.0
	v_pk_add_f32 v[2:3], v[2:3], 1.0 op_sel_hi:[1,0]
	v_rcp_f32_e32 v17, v7
	v_div_scale_f32 v12, s[2:3], v3, v3, 1.0
	v_rcp_f32_e32 v18, v12
	v_fma_f32 v20, -v5, v16, 1.0
	v_div_scale_f32 v6, vcc, 1.0, v1, 1.0
	v_div_scale_f32 v14, s[6:7], v2, v2, 1.0
	v_fmac_f32_e32 v16, v20, v16
	v_rcp_f32_e32 v19, v14
	v_fma_f32 v21, -v7, v17, 1.0
	v_mul_f32_e32 v20, v6, v16
	v_div_scale_f32 v11, s[0:1], 1.0, v0, 1.0
	v_fmac_f32_e32 v17, v21, v17
	v_fma_f32 v24, -v5, v20, v6
	v_fma_f32 v22, -v12, v18, 1.0
	v_mul_f32_e32 v21, v11, v17
	v_fmac_f32_e32 v20, v24, v16
	v_div_scale_f32 v13, s[2:3], 1.0, v3, 1.0
	v_fmac_f32_e32 v18, v22, v18
	v_fma_f32 v25, -v7, v21, v11
	v_fma_f32 v5, -v5, v20, v6
	v_fma_f32 v23, -v14, v19, 1.0
	v_mul_f32_e32 v22, v13, v18
	v_fmac_f32_e32 v21, v25, v17
	v_div_fmas_f32 v5, v5, v16, v20
	v_div_scale_f32 v15, s[6:7], 1.0, v2, 1.0
	v_fmac_f32_e32 v19, v23, v19
	v_fma_f32 v26, -v12, v22, v13
	v_fma_f32 v6, -v7, v21, v11
	v_div_fixup_f32 v1, v5, v1, 1.0
	s_mov_b64 vcc, s[0:1]
	v_mul_f32_e32 v23, v15, v19
	v_fmac_f32_e32 v22, v26, v18
	v_div_fmas_f32 v5, v6, v17, v21
	v_cmp_class_f32_e32 vcc, v1, v4
	v_fma_f32 v27, -v14, v23, v15
	v_fma_f32 v7, -v12, v22, v13
	v_div_fixup_f32 v0, v5, v0, 1.0
	v_cndmask_b32_e64 v1, v1, 0, vcc
	s_mov_b64 vcc, s[2:3]
	v_fmac_f32_e32 v23, v27, v19
	v_div_fmas_f32 v5, v7, v18, v22
	v_cmp_class_f32_e32 vcc, v0, v4
	v_fma_f32 v11, -v14, v23, v15
	v_cndmask_b32_e64 v0, v0, 0, vcc
	s_mov_b64 vcc, s[6:7]
	v_div_fixup_f32 v3, v5, v3, 1.0
	v_div_fmas_f32 v5, v11, v19, v23
	v_div_fixup_f32 v2, v5, v2, 1.0
	v_cmp_class_f32_e32 vcc, v3, v4
	v_cndmask_b32_e64 v3, v3, 0, vcc
	v_cmp_class_f32_e32 vcc, v2, v4
	v_cndmask_b32_e64 v2, v2, 0, vcc
	s_cbranch_scc1 .LBB224_35
; %bb.4:
	v_lshlrev_b32_e32 v4, 2, v10
	global_load_dwordx4 v[4:7], v4, s[10:11]
	s_waitcnt vmcnt(0)
	v_pk_add_f32 v[4:5], v[4:5], v[0:1]
	v_pk_add_f32 v[6:7], v[6:7], v[2:3]
	s_cbranch_execnz .LBB224_6
.LBB224_5:
	v_pk_mov_b32 v[6:7], v[2:3], v[2:3] op_sel:[0,1]
	v_pk_mov_b32 v[4:5], v[0:1], v[0:1] op_sel:[0,1]
.LBB224_6:
	s_load_dwordx4 s[8:11], s[4:5], 0x30
	s_mov_b32 s25, 0
	v_cmp_eq_u32_e64 s[0:1], 0, v9
	s_waitcnt lgkmcnt(0)
	s_bitcmp1_b32 s11, 0
	s_cselect_b64 vcc, -1, 0
	s_cmp_gt_i32 s8, 0
	s_cselect_b64 s[6:7], -1, 0
	s_cmp_lt_i32 s8, 1
	s_cbranch_scc1 .LBB224_36
; %bb.7:
	v_mbcnt_lo_u32_b32 v11, -1, 0
	v_mbcnt_hi_u32_b32 v11, -1, v11
	v_and_b32_e32 v12, 0x60, v11
	v_add_u32_e32 v17, 32, v12
	v_xor_b32_e32 v13, 16, v11
	v_cmp_lt_i32_e64 s[2:3], v13, v17
	v_xor_b32_e32 v14, 8, v11
	v_cndmask_b32_e64 v13, v11, v13, s[2:3]
	v_cmp_lt_i32_e64 s[2:3], v14, v17
	v_xor_b32_e32 v15, 4, v11
	s_load_dwordx4 s[12:15], s[4:5], 0x20
	v_cndmask_b32_e64 v14, v11, v14, s[2:3]
	v_cmp_lt_i32_e64 s[2:3], v15, v17
	v_xor_b32_e32 v16, 2, v11
	v_cndmask_b32_e64 v15, v11, v15, s[2:3]
	v_cmp_lt_i32_e64 s[2:3], v16, v17
	v_xor_b32_e32 v18, 1, v11
	v_cndmask_b32_e64 v16, v11, v16, s[2:3]
	v_cmp_lt_i32_e64 s[2:3], v18, v17
	v_cndmask_b32_e64 v11, v11, v18, s[2:3]
	v_mul_lo_u32 v12, v8, s8
	v_lshlrev_b32_e32 v13, 2, v13
	v_lshlrev_b32_e32 v14, 2, v14
	;; [unrolled: 1-line block ×5, first 2 shown]
	v_mov_b32_e32 v11, 0
	v_mov_b32_e32 v18, 0x80
	;; [unrolled: 1-line block ×4, first 2 shown]
	s_branch .LBB224_10
.LBB224_8:                              ;   in Loop: Header=BB224_10 Depth=1
	s_or_b64 exec, exec, s[4:5]
.LBB224_9:                              ;   in Loop: Header=BB224_10 Depth=1
	s_cmp_eq_u32 s8, s25
	v_add_u32_e32 v20, s24, v20
	s_cbranch_scc1 .LBB224_37
.LBB224_10:                             ; =>This Inner Loop Header: Depth=1
	v_cmp_gt_f32_e64 s[2:3], v5, v4
	v_cndmask_b32_e64 v23, v4, v5, s[2:3]
	v_cndmask_b32_e64 v21, 0, 1, s[2:3]
	;; [unrolled: 1-line block ×3, first 2 shown]
	v_cmp_gt_f32_e64 s[2:3], v6, v23
	v_cndmask_b32_e64 v23, v23, v6, s[2:3]
	v_cndmask_b32_e64 v21, v21, 2, s[2:3]
	;; [unrolled: 1-line block ×3, first 2 shown]
	v_cmp_gt_f32_e64 s[2:3], v7, v23
	v_cndmask_b32_e64 v21, v21, 3, s[2:3]
	v_cndmask_b32_e64 v23, v23, v7, s[2:3]
	v_or_b32_e32 v21, v10, v21
	v_cndmask_b32_e64 v22, v22, v3, s[2:3]
	s_waitcnt lgkmcnt(0)
	ds_bpermute_b32 v24, v13, v23
	ds_bpermute_b32 v26, v13, v22
	;; [unrolled: 1-line block ×3, first 2 shown]
	s_waitcnt lgkmcnt(0)
	v_cmp_lt_f32_e64 s[20:21], v23, v24
	v_cmp_nlt_f32_e64 s[2:3], v23, v24
	s_and_saveexec_b64 s[22:23], s[2:3]
; %bb.11:                               ;   in Loop: Header=BB224_10 Depth=1
	v_cmp_eq_f32_e64 s[2:3], v23, v24
	v_cmp_lt_i32_e64 s[4:5], v25, v21
	s_and_b64 s[2:3], s[2:3], s[4:5]
	s_andn2_b64 s[4:5], s[20:21], exec
	s_and_b64 s[2:3], s[2:3], exec
	s_or_b64 s[20:21], s[4:5], s[2:3]
; %bb.12:                               ;   in Loop: Header=BB224_10 Depth=1
	s_or_b64 exec, exec, s[22:23]
	s_and_saveexec_b64 s[2:3], s[20:21]
; %bb.13:                               ;   in Loop: Header=BB224_10 Depth=1
	v_mov_b32_e32 v22, v26
	v_mov_b32_e32 v23, v24
	;; [unrolled: 1-line block ×3, first 2 shown]
; %bb.14:                               ;   in Loop: Header=BB224_10 Depth=1
	s_or_b64 exec, exec, s[2:3]
	ds_bpermute_b32 v24, v14, v23
	ds_bpermute_b32 v26, v14, v22
	;; [unrolled: 1-line block ×3, first 2 shown]
	s_waitcnt lgkmcnt(2)
	v_cmp_lt_f32_e64 s[20:21], v23, v24
	v_cmp_nlt_f32_e64 s[2:3], v23, v24
	s_and_saveexec_b64 s[22:23], s[2:3]
	s_cbranch_execz .LBB224_16
; %bb.15:                               ;   in Loop: Header=BB224_10 Depth=1
	v_cmp_eq_f32_e64 s[2:3], v23, v24
	s_waitcnt lgkmcnt(0)
	v_cmp_lt_i32_e64 s[4:5], v25, v21
	s_and_b64 s[2:3], s[2:3], s[4:5]
	s_andn2_b64 s[4:5], s[20:21], exec
	s_and_b64 s[2:3], s[2:3], exec
	s_or_b64 s[20:21], s[4:5], s[2:3]
.LBB224_16:                             ;   in Loop: Header=BB224_10 Depth=1
	s_or_b64 exec, exec, s[22:23]
	s_and_saveexec_b64 s[2:3], s[20:21]
	s_cbranch_execz .LBB224_18
; %bb.17:                               ;   in Loop: Header=BB224_10 Depth=1
	s_waitcnt lgkmcnt(1)
	v_mov_b32_e32 v22, v26
	v_mov_b32_e32 v23, v24
	s_waitcnt lgkmcnt(0)
	v_mov_b32_e32 v21, v25
.LBB224_18:                             ;   in Loop: Header=BB224_10 Depth=1
	s_or_b64 exec, exec, s[2:3]
	ds_bpermute_b32 v24, v15, v23
	s_waitcnt lgkmcnt(2)
	ds_bpermute_b32 v26, v15, v22
	s_waitcnt lgkmcnt(2)
	;; [unrolled: 2-line block ×3, first 2 shown]
	v_cmp_lt_f32_e64 s[20:21], v23, v24
	v_cmp_nlt_f32_e64 s[2:3], v23, v24
	s_and_saveexec_b64 s[22:23], s[2:3]
	s_cbranch_execz .LBB224_20
; %bb.19:                               ;   in Loop: Header=BB224_10 Depth=1
	v_cmp_eq_f32_e64 s[2:3], v23, v24
	s_waitcnt lgkmcnt(0)
	v_cmp_lt_i32_e64 s[4:5], v25, v21
	s_and_b64 s[2:3], s[2:3], s[4:5]
	s_andn2_b64 s[4:5], s[20:21], exec
	s_and_b64 s[2:3], s[2:3], exec
	s_or_b64 s[20:21], s[4:5], s[2:3]
.LBB224_20:                             ;   in Loop: Header=BB224_10 Depth=1
	s_or_b64 exec, exec, s[22:23]
	s_and_saveexec_b64 s[2:3], s[20:21]
	s_cbranch_execz .LBB224_22
; %bb.21:                               ;   in Loop: Header=BB224_10 Depth=1
	s_waitcnt lgkmcnt(1)
	v_mov_b32_e32 v22, v26
	v_mov_b32_e32 v23, v24
	s_waitcnt lgkmcnt(0)
	v_mov_b32_e32 v21, v25
.LBB224_22:                             ;   in Loop: Header=BB224_10 Depth=1
	s_or_b64 exec, exec, s[2:3]
	ds_bpermute_b32 v24, v16, v23
	s_waitcnt lgkmcnt(2)
	ds_bpermute_b32 v26, v16, v22
	s_waitcnt lgkmcnt(2)
	;; [unrolled: 2-line block ×3, first 2 shown]
	v_cmp_lt_f32_e64 s[20:21], v23, v24
	v_cmp_nlt_f32_e64 s[2:3], v23, v24
	s_and_saveexec_b64 s[22:23], s[2:3]
	s_cbranch_execz .LBB224_24
; %bb.23:                               ;   in Loop: Header=BB224_10 Depth=1
	v_cmp_eq_f32_e64 s[2:3], v23, v24
	s_waitcnt lgkmcnt(0)
	v_cmp_lt_i32_e64 s[4:5], v25, v21
	s_and_b64 s[2:3], s[2:3], s[4:5]
	s_andn2_b64 s[4:5], s[20:21], exec
	s_and_b64 s[2:3], s[2:3], exec
	s_or_b64 s[20:21], s[4:5], s[2:3]
.LBB224_24:                             ;   in Loop: Header=BB224_10 Depth=1
	s_or_b64 exec, exec, s[22:23]
	s_and_saveexec_b64 s[2:3], s[20:21]
	s_cbranch_execz .LBB224_26
; %bb.25:                               ;   in Loop: Header=BB224_10 Depth=1
	s_waitcnt lgkmcnt(1)
	v_mov_b32_e32 v22, v26
	v_mov_b32_e32 v23, v24
	s_waitcnt lgkmcnt(0)
	v_mov_b32_e32 v21, v25
.LBB224_26:                             ;   in Loop: Header=BB224_10 Depth=1
	s_or_b64 exec, exec, s[2:3]
	s_waitcnt lgkmcnt(1)
	ds_bpermute_b32 v26, v17, v23
	ds_bpermute_b32 v24, v17, v22
	s_waitcnt lgkmcnt(2)
	ds_bpermute_b32 v25, v17, v21
	s_waitcnt lgkmcnt(2)
	v_cmp_lt_f32_e64 s[20:21], v23, v26
	v_cmp_nlt_f32_e64 s[2:3], v23, v26
	s_and_saveexec_b64 s[22:23], s[2:3]
	s_cbranch_execnz .LBB224_30
; %bb.27:                               ;   in Loop: Header=BB224_10 Depth=1
	s_or_b64 exec, exec, s[22:23]
	s_and_saveexec_b64 s[2:3], s[20:21]
	s_cbranch_execnz .LBB224_31
.LBB224_28:                             ;   in Loop: Header=BB224_10 Depth=1
	s_or_b64 exec, exec, s[2:3]
	s_and_saveexec_b64 s[20:21], s[0:1]
	s_cbranch_execnz .LBB224_32
.LBB224_29:                             ;   in Loop: Header=BB224_10 Depth=1
	s_or_b64 exec, exec, s[20:21]
	s_add_i32 s25, s25, 1
	s_cmp_ge_i32 s25, s8
	s_cbranch_scc1 .LBB224_9
	s_branch .LBB224_33
.LBB224_30:                             ;   in Loop: Header=BB224_10 Depth=1
	v_cmp_eq_f32_e64 s[2:3], v23, v26
	s_waitcnt lgkmcnt(0)
	v_cmp_lt_i32_e64 s[4:5], v25, v21
	s_and_b64 s[2:3], s[2:3], s[4:5]
	s_andn2_b64 s[4:5], s[20:21], exec
	s_and_b64 s[2:3], s[2:3], exec
	s_or_b64 s[20:21], s[4:5], s[2:3]
	s_or_b64 exec, exec, s[22:23]
	s_and_saveexec_b64 s[2:3], s[20:21]
	s_cbranch_execz .LBB224_28
.LBB224_31:                             ;   in Loop: Header=BB224_10 Depth=1
	s_waitcnt lgkmcnt(0)
	v_mov_b32_e32 v21, v25
	v_mov_b32_e32 v22, v24
	s_or_b64 exec, exec, s[2:3]
	s_and_saveexec_b64 s[20:21], s[0:1]
	s_cbranch_execz .LBB224_29
.LBB224_32:                             ;   in Loop: Header=BB224_10 Depth=1
	s_waitcnt lgkmcnt(1)
	v_add_u32_e32 v24, s25, v12
	s_waitcnt lgkmcnt(0)
	v_ashrrev_i32_e32 v25, 31, v24
	v_cmp_le_i32_e64 s[2:3], s9, v21
	v_cmp_gt_i32_e64 s[4:5], s10, v21
	v_lshlrev_b64 v[24:25], 2, v[24:25]
	s_and_b64 s[4:5], s[2:3], s[4:5]
	v_mov_b32_e32 v23, s17
	v_add_co_u32_e64 v26, s[2:3], s16, v24
	v_addc_co_u32_e64 v27, s[2:3], v23, v25, s[2:3]
	v_subrev_u32_e32 v23, s9, v21
	s_and_b64 s[2:3], s[18:19], s[4:5]
	global_store_dword v[26:27], v22, off
	v_cndmask_b32_e64 v23, v18, v23, s[2:3]
	v_mov_b32_e32 v27, s13
	v_add_co_u32_e64 v26, s[2:3], s12, v24
	v_addc_co_u32_e64 v27, s[2:3], v27, v25, s[2:3]
	global_store_dword v[26:27], v23, off
	v_mov_b32_e32 v23, s15
	v_add_co_u32_e64 v24, s[2:3], s14, v24
	v_add_f32_e32 v22, v11, v22
	v_addc_co_u32_e64 v25, s[2:3], v23, v25, s[2:3]
	v_cndmask_b32_e32 v11, v11, v22, vcc
	global_store_dword v[24:25], v20, off
	s_or_b64 exec, exec, s[20:21]
	s_add_i32 s25, s25, 1
	s_cmp_ge_i32 s25, s8
	s_cbranch_scc1 .LBB224_9
.LBB224_33:                             ;   in Loop: Header=BB224_10 Depth=1
	v_ashrrev_i32_e32 v23, 31, v21
	v_lshrrev_b32_e32 v22, 30, v23
	s_waitcnt lgkmcnt(1)
	v_add_u32_e32 v24, v21, v22
	v_ashrrev_i32_e32 v22, 2, v24
	v_ashrrev_i32_e32 v24, 31, v24
	v_lshrrev_b32_e32 v24, 27, v24
	v_add_u32_e32 v24, v22, v24
	v_and_b32_e32 v24, 0xffffffe0, v24
	v_sub_u32_e32 v24, v22, v24
	v_cmp_eq_u32_e64 s[2:3], v9, v24
	s_and_saveexec_b64 s[4:5], s[2:3]
	s_cbranch_execz .LBB224_8
; %bb.34:                               ;   in Loop: Header=BB224_10 Depth=1
	v_lshrrev_b32_e32 v23, 25, v23
	v_add_u32_e32 v23, v21, v23
	v_lshlrev_b32_e32 v22, 2, v22
	v_ashrrev_i32_e32 v23, 7, v23
	v_sub_u32_e32 v21, v21, v22
	v_lshl_add_u32 v21, v23, 2, v21
	v_cmp_ne_u32_e64 s[2:3], 3, v21
	v_cndmask_b32_e64 v7, v19, v7, s[2:3]
	v_cmp_ne_u32_e64 s[2:3], 2, v21
	v_cndmask_b32_e64 v6, v19, v6, s[2:3]
	;; [unrolled: 2-line block ×4, first 2 shown]
	s_branch .LBB224_8
.LBB224_35:
                                        ; implicit-def: $vgpr4_vgpr5_vgpr6_vgpr7
	s_andn2_b64 vcc, exec, s[8:9]
	s_cbranch_vccz .LBB224_5
	s_branch .LBB224_6
.LBB224_36:
	v_mov_b32_e32 v11, 0
.LBB224_37:
	v_cmp_eq_u32_e64 s[0:1], 0, v9
	s_and_b64 s[0:1], s[0:1], vcc
	s_and_b64 exec, exec, s[0:1]
	s_cbranch_execz .LBB224_46
; %bb.38:
	s_andn2_b64 vcc, exec, s[6:7]
	s_cbranch_vccnz .LBB224_46
; %bb.39:
	v_cmp_lt_f32_e32 vcc, 0, v11
	s_mov_b32 s2, 0
	v_cndmask_b32_e32 v0, 1.0, v11, vcc
	v_mul_lo_u32 v4, v8, s8
	s_cmp_eq_u32 s8, 1
	s_mov_b64 s[0:1], -1
	s_cbranch_scc1 .LBB224_43
; %bb.40:
	s_and_b32 s2, s8, 0x7ffffffe
	v_mov_b32_e32 v1, v0
	v_mov_b32_e32 v5, s17
	s_mov_b32 s3, s2
	v_mov_b32_e32 v2, v4
.LBB224_41:                             ; =>This Inner Loop Header: Depth=1
	v_ashrrev_i32_e32 v3, 31, v2
	v_lshlrev_b64 v[6:7], 2, v[2:3]
	v_add_co_u32_e32 v6, vcc, s16, v6
	v_addc_co_u32_e32 v7, vcc, v5, v7, vcc
	global_load_dwordx2 v[8:9], v[6:7], off
	s_add_i32 s3, s3, -2
	s_cmp_lg_u32 s3, 0
	v_add_u32_e32 v2, 2, v2
	s_waitcnt vmcnt(0)
	v_div_scale_f32 v3, s[0:1], v1, v1, v9
	v_div_scale_f32 v11, s[0:1], v0, v0, v8
	v_rcp_f32_e32 v12, v3
	v_rcp_f32_e32 v13, v11
	v_div_scale_f32 v10, vcc, v9, v1, v9
	v_fma_f32 v15, -v3, v12, 1.0
	v_fma_f32 v16, -v11, v13, 1.0
	v_fmac_f32_e32 v12, v15, v12
	v_div_scale_f32 v14, s[0:1], v8, v0, v8
	v_fmac_f32_e32 v13, v16, v13
	v_mul_f32_e32 v15, v10, v12
	v_mul_f32_e32 v16, v14, v13
	v_fma_f32 v17, -v3, v15, v10
	v_fma_f32 v18, -v11, v16, v14
	v_fmac_f32_e32 v15, v17, v12
	v_fmac_f32_e32 v16, v18, v13
	v_fma_f32 v3, -v3, v15, v10
	v_fma_f32 v10, -v11, v16, v14
	v_div_fmas_f32 v3, v3, v12, v15
	s_mov_b64 vcc, s[0:1]
	v_div_fixup_f32 v9, v3, v1, v9
	v_div_fmas_f32 v3, v10, v13, v16
	v_div_fixup_f32 v8, v3, v0, v8
	global_store_dwordx2 v[6:7], v[8:9], off
	s_cbranch_scc1 .LBB224_41
; %bb.42:
	s_cmp_lg_u32 s2, s8
	s_cselect_b64 s[0:1], -1, 0
.LBB224_43:
	s_and_b64 vcc, exec, s[0:1]
	s_cbranch_vccz .LBB224_46
; %bb.44:
	v_ashrrev_i32_e32 v1, 31, v4
	v_add_co_u32_e32 v2, vcc, s2, v4
	v_addc_co_u32_e32 v3, vcc, 0, v1, vcc
	v_lshlrev_b64 v[2:3], 2, v[2:3]
	v_mov_b32_e32 v1, s17
	v_add_co_u32_e32 v2, vcc, s16, v2
	s_sub_i32 s0, s8, s2
	v_addc_co_u32_e32 v3, vcc, v1, v3, vcc
.LBB224_45:                             ; =>This Inner Loop Header: Depth=1
	global_load_dword v1, v[2:3], off
	s_add_i32 s0, s0, -1
	s_cmp_lg_u32 s0, 0
	s_waitcnt vmcnt(0)
	v_div_scale_f32 v4, s[2:3], v0, v0, v1
	v_rcp_f32_e32 v5, v4
	v_div_scale_f32 v6, vcc, v1, v0, v1
	v_fma_f32 v7, -v4, v5, 1.0
	v_fmac_f32_e32 v5, v7, v5
	v_mul_f32_e32 v7, v6, v5
	v_fma_f32 v8, -v4, v7, v6
	v_fmac_f32_e32 v7, v8, v5
	v_fma_f32 v4, -v4, v7, v6
	v_div_fmas_f32 v4, v4, v5, v7
	v_div_fixup_f32 v1, v4, v0, v1
	global_store_dword v[2:3], v1, off
	v_add_co_u32_e32 v2, vcc, 4, v2
	v_addc_co_u32_e32 v3, vcc, 0, v3, vcc
	s_cbranch_scc1 .LBB224_45
.LBB224_46:
	s_endpgm
	.section	.rodata,"a",@progbits
	.p2align	6, 0x0
	.amdhsa_kernel _ZN4vllm3moe10topkGatingILi4ELi128ELi4ELi16ELi32EjfLNS0_11ScoringFuncE1EEEvPKT5_PKbPfiPT4_PiiiibPKf
		.amdhsa_group_segment_fixed_size 0
		.amdhsa_private_segment_fixed_size 0
		.amdhsa_kernarg_size 72
		.amdhsa_user_sgpr_count 6
		.amdhsa_user_sgpr_private_segment_buffer 1
		.amdhsa_user_sgpr_dispatch_ptr 0
		.amdhsa_user_sgpr_queue_ptr 0
		.amdhsa_user_sgpr_kernarg_segment_ptr 1
		.amdhsa_user_sgpr_dispatch_id 0
		.amdhsa_user_sgpr_flat_scratch_init 0
		.amdhsa_user_sgpr_kernarg_preload_length 0
		.amdhsa_user_sgpr_kernarg_preload_offset 0
		.amdhsa_user_sgpr_private_segment_size 0
		.amdhsa_uses_dynamic_stack 0
		.amdhsa_system_sgpr_private_segment_wavefront_offset 0
		.amdhsa_system_sgpr_workgroup_id_x 1
		.amdhsa_system_sgpr_workgroup_id_y 0
		.amdhsa_system_sgpr_workgroup_id_z 0
		.amdhsa_system_sgpr_workgroup_info 0
		.amdhsa_system_vgpr_workitem_id 1
		.amdhsa_next_free_vgpr 28
		.amdhsa_next_free_sgpr 26
		.amdhsa_accum_offset 28
		.amdhsa_reserve_vcc 1
		.amdhsa_reserve_flat_scratch 0
		.amdhsa_float_round_mode_32 0
		.amdhsa_float_round_mode_16_64 0
		.amdhsa_float_denorm_mode_32 3
		.amdhsa_float_denorm_mode_16_64 3
		.amdhsa_dx10_clamp 1
		.amdhsa_ieee_mode 1
		.amdhsa_fp16_overflow 0
		.amdhsa_tg_split 0
		.amdhsa_exception_fp_ieee_invalid_op 0
		.amdhsa_exception_fp_denorm_src 0
		.amdhsa_exception_fp_ieee_div_zero 0
		.amdhsa_exception_fp_ieee_overflow 0
		.amdhsa_exception_fp_ieee_underflow 0
		.amdhsa_exception_fp_ieee_inexact 0
		.amdhsa_exception_int_div_zero 0
	.end_amdhsa_kernel
	.section	.text._ZN4vllm3moe10topkGatingILi4ELi128ELi4ELi16ELi32EjfLNS0_11ScoringFuncE1EEEvPKT5_PKbPfiPT4_PiiiibPKf,"axG",@progbits,_ZN4vllm3moe10topkGatingILi4ELi128ELi4ELi16ELi32EjfLNS0_11ScoringFuncE1EEEvPKT5_PKbPfiPT4_PiiiibPKf,comdat
.Lfunc_end224:
	.size	_ZN4vllm3moe10topkGatingILi4ELi128ELi4ELi16ELi32EjfLNS0_11ScoringFuncE1EEEvPKT5_PKbPfiPT4_PiiiibPKf, .Lfunc_end224-_ZN4vllm3moe10topkGatingILi4ELi128ELi4ELi16ELi32EjfLNS0_11ScoringFuncE1EEEvPKT5_PKbPfiPT4_PiiiibPKf
                                        ; -- End function
	.section	.AMDGPU.csdata,"",@progbits
; Kernel info:
; codeLenInByte = 2512
; NumSgprs: 30
; NumVgprs: 28
; NumAgprs: 0
; TotalNumVgprs: 28
; ScratchSize: 0
; MemoryBound: 0
; FloatMode: 240
; IeeeMode: 1
; LDSByteSize: 0 bytes/workgroup (compile time only)
; SGPRBlocks: 3
; VGPRBlocks: 3
; NumSGPRsForWavesPerEU: 30
; NumVGPRsForWavesPerEU: 28
; AccumOffset: 28
; Occupancy: 8
; WaveLimiterHint : 0
; COMPUTE_PGM_RSRC2:SCRATCH_EN: 0
; COMPUTE_PGM_RSRC2:USER_SGPR: 6
; COMPUTE_PGM_RSRC2:TRAP_HANDLER: 0
; COMPUTE_PGM_RSRC2:TGID_X_EN: 1
; COMPUTE_PGM_RSRC2:TGID_Y_EN: 0
; COMPUTE_PGM_RSRC2:TGID_Z_EN: 0
; COMPUTE_PGM_RSRC2:TIDIG_COMP_CNT: 1
; COMPUTE_PGM_RSRC3_GFX90A:ACCUM_OFFSET: 6
; COMPUTE_PGM_RSRC3_GFX90A:TG_SPLIT: 0
	.section	.text._ZN4vllm3moe10topkGatingILi4ELi256ELi4ELi16ELi64EjfLNS0_11ScoringFuncE1EEEvPKT5_PKbPfiPT4_PiiiibPKf,"axG",@progbits,_ZN4vllm3moe10topkGatingILi4ELi256ELi4ELi16ELi64EjfLNS0_11ScoringFuncE1EEEvPKT5_PKbPfiPT4_PiiiibPKf,comdat
	.protected	_ZN4vllm3moe10topkGatingILi4ELi256ELi4ELi16ELi64EjfLNS0_11ScoringFuncE1EEEvPKT5_PKbPfiPT4_PiiiibPKf ; -- Begin function _ZN4vllm3moe10topkGatingILi4ELi256ELi4ELi16ELi64EjfLNS0_11ScoringFuncE1EEEvPKT5_PKbPfiPT4_PiiiibPKf
	.globl	_ZN4vllm3moe10topkGatingILi4ELi256ELi4ELi16ELi64EjfLNS0_11ScoringFuncE1EEEvPKT5_PKbPfiPT4_PiiiibPKf
	.p2align	8
	.type	_ZN4vllm3moe10topkGatingILi4ELi256ELi4ELi16ELi64EjfLNS0_11ScoringFuncE1EEEvPKT5_PKbPfiPT4_PiiiibPKf,@function
_ZN4vllm3moe10topkGatingILi4ELi256ELi4ELi16ELi64EjfLNS0_11ScoringFuncE1EEEvPKT5_PKbPfiPT4_PiiiibPKf: ; @_ZN4vllm3moe10topkGatingILi4ELi256ELi4ELi16ELi64EjfLNS0_11ScoringFuncE1EEEvPKT5_PKbPfiPT4_PiiiibPKf
; %bb.0:
	s_load_dword s24, s[4:5], 0x18
	v_and_b32_e32 v1, 0x3ff, v0
	s_lshl_b32 s0, s6, 2
	v_lshrrev_b32_e32 v2, 6, v1
	v_bfe_u32 v0, v0, 10, 10
	v_add3_u32 v8, s0, v0, v2
	s_waitcnt lgkmcnt(0)
	v_cmp_gt_i32_e32 vcc, s24, v8
	s_and_saveexec_b64 s[0:1], vcc
	s_cbranch_execz .LBB225_50
; %bb.1:
	s_load_dwordx4 s[0:3], s[4:5], 0x0
	s_load_dwordx2 s[16:17], s[4:5], 0x10
	s_mov_b64 s[8:9], -1
	s_mov_b64 s[18:19], -1
	s_waitcnt lgkmcnt(0)
	s_cmp_eq_u64 s[2:3], 0
	s_cbranch_scc1 .LBB225_3
; %bb.2:
	v_ashrrev_i32_e32 v0, 31, v8
	v_mov_b32_e32 v3, s3
	v_add_co_u32_e32 v2, vcc, s2, v8
	v_addc_co_u32_e32 v3, vcc, v3, v0, vcc
	global_load_ubyte v0, v[2:3], off
	s_waitcnt vmcnt(0)
	v_and_b32_e32 v0, 1, v0
	v_cmp_eq_u32_e32 vcc, 1, v0
	s_xor_b64 s[2:3], vcc, -1
	s_orn2_b64 s[18:19], s[2:3], exec
.LBB225_3:
	v_lshlrev_b32_e32 v2, 8, v8
	v_ashrrev_i32_e32 v3, 31, v2
	v_lshlrev_b64 v[2:3], 2, v[2:3]
	v_mov_b32_e32 v0, s1
	v_add_co_u32_e32 v2, vcc, s0, v2
	v_and_b32_e32 v9, 63, v1
	v_addc_co_u32_e32 v3, vcc, v0, v3, vcc
	v_lshlrev_b32_e32 v0, 4, v9
	v_add_co_u32_e32 v0, vcc, v2, v0
	v_addc_co_u32_e32 v1, vcc, 0, v3, vcc
	global_load_dwordx4 v[0:3], v[0:1], off
	v_mov_b32_e32 v4, 0x207
	s_load_dwordx2 s[10:11], s[4:5], 0x40
	v_lshlrev_b32_e32 v10, 2, v9
	s_waitcnt lgkmcnt(0)
	s_cmp_eq_u64 s[10:11], 0
	s_waitcnt vmcnt(0)
	v_mul_f32_e32 v0, 0xbfb8aa3b, v0
	v_mul_f32_e32 v1, 0xbfb8aa3b, v1
	v_exp_f32_e32 v0, v0
	v_exp_f32_e32 v1, v1
	v_mul_f32_e32 v2, 0xbfb8aa3b, v2
	v_mul_f32_e32 v3, 0xbfb8aa3b, v3
	v_exp_f32_e32 v2, v2
	v_exp_f32_e32 v3, v3
	v_pk_add_f32 v[0:1], v[0:1], 1.0 op_sel_hi:[1,0]
	v_div_scale_f32 v5, s[0:1], v1, v1, 1.0
	v_rcp_f32_e32 v16, v5
	v_div_scale_f32 v7, s[0:1], v0, v0, 1.0
	v_pk_add_f32 v[2:3], v[2:3], 1.0 op_sel_hi:[1,0]
	v_rcp_f32_e32 v17, v7
	v_div_scale_f32 v12, s[2:3], v3, v3, 1.0
	v_rcp_f32_e32 v18, v12
	v_fma_f32 v20, -v5, v16, 1.0
	v_div_scale_f32 v6, vcc, 1.0, v1, 1.0
	v_div_scale_f32 v14, s[6:7], v2, v2, 1.0
	v_fmac_f32_e32 v16, v20, v16
	v_rcp_f32_e32 v19, v14
	v_fma_f32 v21, -v7, v17, 1.0
	v_mul_f32_e32 v20, v6, v16
	v_div_scale_f32 v11, s[0:1], 1.0, v0, 1.0
	v_fmac_f32_e32 v17, v21, v17
	v_fma_f32 v24, -v5, v20, v6
	v_fma_f32 v22, -v12, v18, 1.0
	v_mul_f32_e32 v21, v11, v17
	v_fmac_f32_e32 v20, v24, v16
	v_div_scale_f32 v13, s[2:3], 1.0, v3, 1.0
	v_fmac_f32_e32 v18, v22, v18
	v_fma_f32 v25, -v7, v21, v11
	v_fma_f32 v5, -v5, v20, v6
	v_fma_f32 v23, -v14, v19, 1.0
	v_mul_f32_e32 v22, v13, v18
	v_fmac_f32_e32 v21, v25, v17
	v_div_fmas_f32 v5, v5, v16, v20
	v_div_scale_f32 v15, s[6:7], 1.0, v2, 1.0
	v_fmac_f32_e32 v19, v23, v19
	v_fma_f32 v26, -v12, v22, v13
	v_fma_f32 v6, -v7, v21, v11
	v_div_fixup_f32 v1, v5, v1, 1.0
	s_mov_b64 vcc, s[0:1]
	v_mul_f32_e32 v23, v15, v19
	v_fmac_f32_e32 v22, v26, v18
	v_div_fmas_f32 v5, v6, v17, v21
	v_cmp_class_f32_e32 vcc, v1, v4
	v_fma_f32 v27, -v14, v23, v15
	v_fma_f32 v7, -v12, v22, v13
	v_div_fixup_f32 v0, v5, v0, 1.0
	v_cndmask_b32_e64 v1, v1, 0, vcc
	s_mov_b64 vcc, s[2:3]
	v_fmac_f32_e32 v23, v27, v19
	v_div_fmas_f32 v5, v7, v18, v22
	v_cmp_class_f32_e32 vcc, v0, v4
	v_fma_f32 v11, -v14, v23, v15
	v_cndmask_b32_e64 v0, v0, 0, vcc
	s_mov_b64 vcc, s[6:7]
	v_div_fixup_f32 v3, v5, v3, 1.0
	v_div_fmas_f32 v5, v11, v19, v23
	v_div_fixup_f32 v2, v5, v2, 1.0
	v_cmp_class_f32_e32 vcc, v3, v4
	v_cndmask_b32_e64 v3, v3, 0, vcc
	v_cmp_class_f32_e32 vcc, v2, v4
	v_cndmask_b32_e64 v2, v2, 0, vcc
	s_cbranch_scc1 .LBB225_39
; %bb.4:
	v_lshlrev_b32_e32 v4, 2, v10
	global_load_dwordx4 v[4:7], v4, s[10:11]
	s_waitcnt vmcnt(0)
	v_pk_add_f32 v[4:5], v[4:5], v[0:1]
	v_pk_add_f32 v[6:7], v[6:7], v[2:3]
	s_cbranch_execnz .LBB225_6
.LBB225_5:
	v_pk_mov_b32 v[6:7], v[2:3], v[2:3] op_sel:[0,1]
	v_pk_mov_b32 v[4:5], v[0:1], v[0:1] op_sel:[0,1]
.LBB225_6:
	s_load_dwordx4 s[8:11], s[4:5], 0x30
	s_mov_b32 s25, 0
	v_cmp_eq_u32_e64 s[0:1], 0, v9
	s_waitcnt lgkmcnt(0)
	s_bitcmp1_b32 s11, 0
	s_cselect_b64 vcc, -1, 0
	s_cmp_gt_i32 s8, 0
	s_cselect_b64 s[6:7], -1, 0
	s_cmp_lt_i32 s8, 1
	s_cbranch_scc1 .LBB225_40
; %bb.7:
	v_mbcnt_lo_u32_b32 v11, -1, 0
	v_mbcnt_hi_u32_b32 v11, -1, v11
	v_and_b32_e32 v12, 64, v11
	v_add_u32_e32 v18, 64, v12
	v_xor_b32_e32 v13, 32, v11
	v_cmp_lt_i32_e64 s[2:3], v13, v18
	v_xor_b32_e32 v14, 16, v11
	v_cndmask_b32_e64 v13, v11, v13, s[2:3]
	v_cmp_lt_i32_e64 s[2:3], v14, v18
	v_xor_b32_e32 v15, 8, v11
	v_cndmask_b32_e64 v14, v11, v14, s[2:3]
	v_cmp_lt_i32_e64 s[2:3], v15, v18
	v_xor_b32_e32 v16, 4, v11
	s_load_dwordx4 s[12:15], s[4:5], 0x20
	v_cndmask_b32_e64 v15, v11, v15, s[2:3]
	v_cmp_lt_i32_e64 s[2:3], v16, v18
	v_xor_b32_e32 v17, 2, v11
	v_cndmask_b32_e64 v16, v11, v16, s[2:3]
	v_cmp_lt_i32_e64 s[2:3], v17, v18
	v_xor_b32_e32 v19, 1, v11
	v_cndmask_b32_e64 v17, v11, v17, s[2:3]
	v_cmp_lt_i32_e64 s[2:3], v19, v18
	v_cndmask_b32_e64 v11, v11, v19, s[2:3]
	v_mul_lo_u32 v12, v8, s8
	v_lshlrev_b32_e32 v13, 2, v13
	v_lshlrev_b32_e32 v14, 2, v14
	;; [unrolled: 1-line block ×6, first 2 shown]
	v_mov_b32_e32 v11, 0
	v_mov_b32_e32 v19, 0x100
	;; [unrolled: 1-line block ×4, first 2 shown]
	s_branch .LBB225_10
.LBB225_8:                              ;   in Loop: Header=BB225_10 Depth=1
	s_or_b64 exec, exec, s[4:5]
.LBB225_9:                              ;   in Loop: Header=BB225_10 Depth=1
	s_cmp_eq_u32 s8, s25
	v_add_u32_e32 v21, s24, v21
	s_cbranch_scc1 .LBB225_41
.LBB225_10:                             ; =>This Inner Loop Header: Depth=1
	v_cmp_gt_f32_e64 s[2:3], v5, v4
	v_cndmask_b32_e64 v24, v4, v5, s[2:3]
	v_cndmask_b32_e64 v22, 0, 1, s[2:3]
	;; [unrolled: 1-line block ×3, first 2 shown]
	v_cmp_gt_f32_e64 s[2:3], v6, v24
	v_cndmask_b32_e64 v24, v24, v6, s[2:3]
	v_cndmask_b32_e64 v22, v22, 2, s[2:3]
	v_cndmask_b32_e64 v23, v23, v2, s[2:3]
	v_cmp_gt_f32_e64 s[2:3], v7, v24
	v_cndmask_b32_e64 v22, v22, 3, s[2:3]
	v_cndmask_b32_e64 v24, v24, v7, s[2:3]
	v_or_b32_e32 v22, v10, v22
	v_cndmask_b32_e64 v23, v23, v3, s[2:3]
	s_waitcnt lgkmcnt(0)
	ds_bpermute_b32 v25, v13, v24
	ds_bpermute_b32 v27, v13, v23
	;; [unrolled: 1-line block ×3, first 2 shown]
	s_waitcnt lgkmcnt(0)
	v_cmp_lt_f32_e64 s[20:21], v24, v25
	v_cmp_nlt_f32_e64 s[2:3], v24, v25
	s_and_saveexec_b64 s[22:23], s[2:3]
; %bb.11:                               ;   in Loop: Header=BB225_10 Depth=1
	v_cmp_eq_f32_e64 s[2:3], v24, v25
	v_cmp_lt_i32_e64 s[4:5], v26, v22
	s_and_b64 s[2:3], s[2:3], s[4:5]
	s_andn2_b64 s[4:5], s[20:21], exec
	s_and_b64 s[2:3], s[2:3], exec
	s_or_b64 s[20:21], s[4:5], s[2:3]
; %bb.12:                               ;   in Loop: Header=BB225_10 Depth=1
	s_or_b64 exec, exec, s[22:23]
	s_and_saveexec_b64 s[2:3], s[20:21]
; %bb.13:                               ;   in Loop: Header=BB225_10 Depth=1
	v_mov_b32_e32 v23, v27
	v_mov_b32_e32 v24, v25
	;; [unrolled: 1-line block ×3, first 2 shown]
; %bb.14:                               ;   in Loop: Header=BB225_10 Depth=1
	s_or_b64 exec, exec, s[2:3]
	ds_bpermute_b32 v25, v14, v24
	ds_bpermute_b32 v27, v14, v23
	;; [unrolled: 1-line block ×3, first 2 shown]
	s_waitcnt lgkmcnt(2)
	v_cmp_lt_f32_e64 s[20:21], v24, v25
	v_cmp_nlt_f32_e64 s[2:3], v24, v25
	s_and_saveexec_b64 s[22:23], s[2:3]
	s_cbranch_execz .LBB225_16
; %bb.15:                               ;   in Loop: Header=BB225_10 Depth=1
	v_cmp_eq_f32_e64 s[2:3], v24, v25
	s_waitcnt lgkmcnt(0)
	v_cmp_lt_i32_e64 s[4:5], v26, v22
	s_and_b64 s[2:3], s[2:3], s[4:5]
	s_andn2_b64 s[4:5], s[20:21], exec
	s_and_b64 s[2:3], s[2:3], exec
	s_or_b64 s[20:21], s[4:5], s[2:3]
.LBB225_16:                             ;   in Loop: Header=BB225_10 Depth=1
	s_or_b64 exec, exec, s[22:23]
	s_and_saveexec_b64 s[2:3], s[20:21]
	s_cbranch_execz .LBB225_18
; %bb.17:                               ;   in Loop: Header=BB225_10 Depth=1
	s_waitcnt lgkmcnt(1)
	v_mov_b32_e32 v23, v27
	v_mov_b32_e32 v24, v25
	s_waitcnt lgkmcnt(0)
	v_mov_b32_e32 v22, v26
.LBB225_18:                             ;   in Loop: Header=BB225_10 Depth=1
	s_or_b64 exec, exec, s[2:3]
	ds_bpermute_b32 v25, v15, v24
	s_waitcnt lgkmcnt(2)
	ds_bpermute_b32 v27, v15, v23
	s_waitcnt lgkmcnt(2)
	ds_bpermute_b32 v26, v15, v22
	s_waitcnt lgkmcnt(2)
	v_cmp_lt_f32_e64 s[20:21], v24, v25
	v_cmp_nlt_f32_e64 s[2:3], v24, v25
	s_and_saveexec_b64 s[22:23], s[2:3]
	s_cbranch_execz .LBB225_20
; %bb.19:                               ;   in Loop: Header=BB225_10 Depth=1
	v_cmp_eq_f32_e64 s[2:3], v24, v25
	s_waitcnt lgkmcnt(0)
	v_cmp_lt_i32_e64 s[4:5], v26, v22
	s_and_b64 s[2:3], s[2:3], s[4:5]
	s_andn2_b64 s[4:5], s[20:21], exec
	s_and_b64 s[2:3], s[2:3], exec
	s_or_b64 s[20:21], s[4:5], s[2:3]
.LBB225_20:                             ;   in Loop: Header=BB225_10 Depth=1
	s_or_b64 exec, exec, s[22:23]
	s_and_saveexec_b64 s[2:3], s[20:21]
	s_cbranch_execz .LBB225_22
; %bb.21:                               ;   in Loop: Header=BB225_10 Depth=1
	s_waitcnt lgkmcnt(1)
	v_mov_b32_e32 v23, v27
	v_mov_b32_e32 v24, v25
	s_waitcnt lgkmcnt(0)
	v_mov_b32_e32 v22, v26
.LBB225_22:                             ;   in Loop: Header=BB225_10 Depth=1
	s_or_b64 exec, exec, s[2:3]
	ds_bpermute_b32 v25, v16, v24
	s_waitcnt lgkmcnt(2)
	ds_bpermute_b32 v27, v16, v23
	s_waitcnt lgkmcnt(2)
	ds_bpermute_b32 v26, v16, v22
	;; [unrolled: 30-line block ×3, first 2 shown]
	s_waitcnt lgkmcnt(2)
	v_cmp_lt_f32_e64 s[20:21], v24, v25
	v_cmp_nlt_f32_e64 s[2:3], v24, v25
	s_and_saveexec_b64 s[22:23], s[2:3]
	s_cbranch_execz .LBB225_28
; %bb.27:                               ;   in Loop: Header=BB225_10 Depth=1
	v_cmp_eq_f32_e64 s[2:3], v24, v25
	s_waitcnt lgkmcnt(0)
	v_cmp_lt_i32_e64 s[4:5], v26, v22
	s_and_b64 s[2:3], s[2:3], s[4:5]
	s_andn2_b64 s[4:5], s[20:21], exec
	s_and_b64 s[2:3], s[2:3], exec
	s_or_b64 s[20:21], s[4:5], s[2:3]
.LBB225_28:                             ;   in Loop: Header=BB225_10 Depth=1
	s_or_b64 exec, exec, s[22:23]
	s_and_saveexec_b64 s[2:3], s[20:21]
	s_cbranch_execz .LBB225_30
; %bb.29:                               ;   in Loop: Header=BB225_10 Depth=1
	s_waitcnt lgkmcnt(1)
	v_mov_b32_e32 v23, v27
	v_mov_b32_e32 v24, v25
	s_waitcnt lgkmcnt(0)
	v_mov_b32_e32 v22, v26
.LBB225_30:                             ;   in Loop: Header=BB225_10 Depth=1
	s_or_b64 exec, exec, s[2:3]
	s_waitcnt lgkmcnt(1)
	ds_bpermute_b32 v27, v18, v24
	ds_bpermute_b32 v25, v18, v23
	s_waitcnt lgkmcnt(2)
	ds_bpermute_b32 v26, v18, v22
	s_waitcnt lgkmcnt(2)
	v_cmp_lt_f32_e64 s[20:21], v24, v27
	v_cmp_nlt_f32_e64 s[2:3], v24, v27
	s_and_saveexec_b64 s[22:23], s[2:3]
	s_cbranch_execnz .LBB225_34
; %bb.31:                               ;   in Loop: Header=BB225_10 Depth=1
	s_or_b64 exec, exec, s[22:23]
	s_and_saveexec_b64 s[2:3], s[20:21]
	s_cbranch_execnz .LBB225_35
.LBB225_32:                             ;   in Loop: Header=BB225_10 Depth=1
	s_or_b64 exec, exec, s[2:3]
	s_and_saveexec_b64 s[20:21], s[0:1]
	s_cbranch_execnz .LBB225_36
.LBB225_33:                             ;   in Loop: Header=BB225_10 Depth=1
	s_or_b64 exec, exec, s[20:21]
	s_add_i32 s25, s25, 1
	s_cmp_ge_i32 s25, s8
	s_cbranch_scc1 .LBB225_9
	s_branch .LBB225_37
.LBB225_34:                             ;   in Loop: Header=BB225_10 Depth=1
	v_cmp_eq_f32_e64 s[2:3], v24, v27
	s_waitcnt lgkmcnt(0)
	v_cmp_lt_i32_e64 s[4:5], v26, v22
	s_and_b64 s[2:3], s[2:3], s[4:5]
	s_andn2_b64 s[4:5], s[20:21], exec
	s_and_b64 s[2:3], s[2:3], exec
	s_or_b64 s[20:21], s[4:5], s[2:3]
	s_or_b64 exec, exec, s[22:23]
	s_and_saveexec_b64 s[2:3], s[20:21]
	s_cbranch_execz .LBB225_32
.LBB225_35:                             ;   in Loop: Header=BB225_10 Depth=1
	s_waitcnt lgkmcnt(0)
	v_mov_b32_e32 v22, v26
	v_mov_b32_e32 v23, v25
	s_or_b64 exec, exec, s[2:3]
	s_and_saveexec_b64 s[20:21], s[0:1]
	s_cbranch_execz .LBB225_33
.LBB225_36:                             ;   in Loop: Header=BB225_10 Depth=1
	v_add_u32_e32 v24, s25, v12
	s_waitcnt lgkmcnt(1)
	v_ashrrev_i32_e32 v25, 31, v24
	v_cmp_le_i32_e64 s[2:3], s9, v22
	v_cmp_gt_i32_e64 s[4:5], s10, v22
	v_lshlrev_b64 v[24:25], 2, v[24:25]
	s_and_b64 s[4:5], s[2:3], s[4:5]
	v_mov_b32_e32 v27, s17
	s_waitcnt lgkmcnt(0)
	v_add_co_u32_e64 v26, s[2:3], s16, v24
	v_addc_co_u32_e64 v27, s[2:3], v27, v25, s[2:3]
	global_store_dword v[26:27], v23, off
	v_subrev_u32_e32 v26, s9, v22
	s_and_b64 s[2:3], s[18:19], s[4:5]
	v_cndmask_b32_e64 v28, v19, v26, s[2:3]
	v_mov_b32_e32 v27, s13
	v_add_co_u32_e64 v26, s[2:3], s12, v24
	v_addc_co_u32_e64 v27, s[2:3], v27, v25, s[2:3]
	global_store_dword v[26:27], v28, off
	v_mov_b32_e32 v26, s15
	v_add_co_u32_e64 v24, s[2:3], s14, v24
	v_add_f32_e32 v23, v11, v23
	v_addc_co_u32_e64 v25, s[2:3], v26, v25, s[2:3]
	v_cndmask_b32_e32 v11, v11, v23, vcc
	global_store_dword v[24:25], v21, off
	s_or_b64 exec, exec, s[20:21]
	s_add_i32 s25, s25, 1
	s_cmp_ge_i32 s25, s8
	s_cbranch_scc1 .LBB225_9
.LBB225_37:                             ;   in Loop: Header=BB225_10 Depth=1
	v_ashrrev_i32_e32 v23, 31, v22
	v_lshrrev_b32_e32 v24, 30, v23
	s_waitcnt lgkmcnt(1)
	v_add_u32_e32 v25, v22, v24
	v_ashrrev_i32_e32 v24, 2, v25
	v_ashrrev_i32_e32 v25, 31, v25
	v_lshrrev_b32_e32 v25, 26, v25
	v_add_u32_e32 v25, v24, v25
	v_and_b32_e32 v25, 0xffffffc0, v25
	v_sub_u32_e32 v25, v24, v25
	v_cmp_eq_u32_e64 s[2:3], v9, v25
	s_and_saveexec_b64 s[4:5], s[2:3]
	s_cbranch_execz .LBB225_8
; %bb.38:                               ;   in Loop: Header=BB225_10 Depth=1
	v_add_u32_sdwa v23, v22, v23 dst_sel:DWORD dst_unused:UNUSED_PAD src0_sel:DWORD src1_sel:BYTE_3
	v_lshlrev_b32_e32 v24, 2, v24
	v_ashrrev_i32_e32 v23, 8, v23
	v_sub_u32_e32 v22, v22, v24
	v_lshl_add_u32 v22, v23, 2, v22
	v_cmp_ne_u32_e64 s[2:3], 3, v22
	v_cndmask_b32_e64 v7, v20, v7, s[2:3]
	v_cmp_ne_u32_e64 s[2:3], 2, v22
	v_cndmask_b32_e64 v6, v20, v6, s[2:3]
	;; [unrolled: 2-line block ×4, first 2 shown]
	s_branch .LBB225_8
.LBB225_39:
                                        ; implicit-def: $vgpr4_vgpr5_vgpr6_vgpr7
	s_andn2_b64 vcc, exec, s[8:9]
	s_cbranch_vccz .LBB225_5
	s_branch .LBB225_6
.LBB225_40:
	v_mov_b32_e32 v11, 0
.LBB225_41:
	v_cmp_eq_u32_e64 s[0:1], 0, v9
	s_and_b64 s[0:1], s[0:1], vcc
	s_and_b64 exec, exec, s[0:1]
	s_cbranch_execz .LBB225_50
; %bb.42:
	s_andn2_b64 vcc, exec, s[6:7]
	s_cbranch_vccnz .LBB225_50
; %bb.43:
	v_cmp_lt_f32_e32 vcc, 0, v11
	s_mov_b32 s2, 0
	v_cndmask_b32_e32 v0, 1.0, v11, vcc
	v_mul_lo_u32 v4, v8, s8
	s_cmp_eq_u32 s8, 1
	s_mov_b64 s[0:1], -1
	s_cbranch_scc1 .LBB225_47
; %bb.44:
	s_and_b32 s2, s8, 0x7ffffffe
	v_mov_b32_e32 v1, v0
	v_mov_b32_e32 v5, s17
	s_mov_b32 s3, s2
	v_mov_b32_e32 v2, v4
.LBB225_45:                             ; =>This Inner Loop Header: Depth=1
	v_ashrrev_i32_e32 v3, 31, v2
	v_lshlrev_b64 v[6:7], 2, v[2:3]
	v_add_co_u32_e32 v6, vcc, s16, v6
	v_addc_co_u32_e32 v7, vcc, v5, v7, vcc
	global_load_dwordx2 v[8:9], v[6:7], off
	s_add_i32 s3, s3, -2
	s_cmp_lg_u32 s3, 0
	v_add_u32_e32 v2, 2, v2
	s_waitcnt vmcnt(0)
	v_div_scale_f32 v3, s[0:1], v1, v1, v9
	v_div_scale_f32 v11, s[0:1], v0, v0, v8
	v_rcp_f32_e32 v12, v3
	v_rcp_f32_e32 v13, v11
	v_div_scale_f32 v10, vcc, v9, v1, v9
	v_fma_f32 v15, -v3, v12, 1.0
	v_fma_f32 v16, -v11, v13, 1.0
	v_fmac_f32_e32 v12, v15, v12
	v_div_scale_f32 v14, s[0:1], v8, v0, v8
	v_fmac_f32_e32 v13, v16, v13
	v_mul_f32_e32 v15, v10, v12
	v_mul_f32_e32 v16, v14, v13
	v_fma_f32 v17, -v3, v15, v10
	v_fma_f32 v18, -v11, v16, v14
	v_fmac_f32_e32 v15, v17, v12
	v_fmac_f32_e32 v16, v18, v13
	v_fma_f32 v3, -v3, v15, v10
	v_fma_f32 v10, -v11, v16, v14
	v_div_fmas_f32 v3, v3, v12, v15
	s_mov_b64 vcc, s[0:1]
	v_div_fixup_f32 v9, v3, v1, v9
	v_div_fmas_f32 v3, v10, v13, v16
	v_div_fixup_f32 v8, v3, v0, v8
	global_store_dwordx2 v[6:7], v[8:9], off
	s_cbranch_scc1 .LBB225_45
; %bb.46:
	s_cmp_lg_u32 s2, s8
	s_cselect_b64 s[0:1], -1, 0
.LBB225_47:
	s_and_b64 vcc, exec, s[0:1]
	s_cbranch_vccz .LBB225_50
; %bb.48:
	v_ashrrev_i32_e32 v1, 31, v4
	v_add_co_u32_e32 v2, vcc, s2, v4
	v_addc_co_u32_e32 v3, vcc, 0, v1, vcc
	v_lshlrev_b64 v[2:3], 2, v[2:3]
	v_mov_b32_e32 v1, s17
	v_add_co_u32_e32 v2, vcc, s16, v2
	s_sub_i32 s0, s8, s2
	v_addc_co_u32_e32 v3, vcc, v1, v3, vcc
.LBB225_49:                             ; =>This Inner Loop Header: Depth=1
	global_load_dword v1, v[2:3], off
	s_add_i32 s0, s0, -1
	s_cmp_lg_u32 s0, 0
	s_waitcnt vmcnt(0)
	v_div_scale_f32 v4, s[2:3], v0, v0, v1
	v_rcp_f32_e32 v5, v4
	v_div_scale_f32 v6, vcc, v1, v0, v1
	v_fma_f32 v7, -v4, v5, 1.0
	v_fmac_f32_e32 v5, v7, v5
	v_mul_f32_e32 v7, v6, v5
	v_fma_f32 v8, -v4, v7, v6
	v_fmac_f32_e32 v7, v8, v5
	v_fma_f32 v4, -v4, v7, v6
	v_div_fmas_f32 v4, v4, v5, v7
	v_div_fixup_f32 v1, v4, v0, v1
	global_store_dword v[2:3], v1, off
	v_add_co_u32_e32 v2, vcc, 4, v2
	v_addc_co_u32_e32 v3, vcc, 0, v3, vcc
	s_cbranch_scc1 .LBB225_49
.LBB225_50:
	s_endpgm
	.section	.rodata,"a",@progbits
	.p2align	6, 0x0
	.amdhsa_kernel _ZN4vllm3moe10topkGatingILi4ELi256ELi4ELi16ELi64EjfLNS0_11ScoringFuncE1EEEvPKT5_PKbPfiPT4_PiiiibPKf
		.amdhsa_group_segment_fixed_size 0
		.amdhsa_private_segment_fixed_size 0
		.amdhsa_kernarg_size 72
		.amdhsa_user_sgpr_count 6
		.amdhsa_user_sgpr_private_segment_buffer 1
		.amdhsa_user_sgpr_dispatch_ptr 0
		.amdhsa_user_sgpr_queue_ptr 0
		.amdhsa_user_sgpr_kernarg_segment_ptr 1
		.amdhsa_user_sgpr_dispatch_id 0
		.amdhsa_user_sgpr_flat_scratch_init 0
		.amdhsa_user_sgpr_kernarg_preload_length 0
		.amdhsa_user_sgpr_kernarg_preload_offset 0
		.amdhsa_user_sgpr_private_segment_size 0
		.amdhsa_uses_dynamic_stack 0
		.amdhsa_system_sgpr_private_segment_wavefront_offset 0
		.amdhsa_system_sgpr_workgroup_id_x 1
		.amdhsa_system_sgpr_workgroup_id_y 0
		.amdhsa_system_sgpr_workgroup_id_z 0
		.amdhsa_system_sgpr_workgroup_info 0
		.amdhsa_system_vgpr_workitem_id 1
		.amdhsa_next_free_vgpr 29
		.amdhsa_next_free_sgpr 26
		.amdhsa_accum_offset 32
		.amdhsa_reserve_vcc 1
		.amdhsa_reserve_flat_scratch 0
		.amdhsa_float_round_mode_32 0
		.amdhsa_float_round_mode_16_64 0
		.amdhsa_float_denorm_mode_32 3
		.amdhsa_float_denorm_mode_16_64 3
		.amdhsa_dx10_clamp 1
		.amdhsa_ieee_mode 1
		.amdhsa_fp16_overflow 0
		.amdhsa_tg_split 0
		.amdhsa_exception_fp_ieee_invalid_op 0
		.amdhsa_exception_fp_denorm_src 0
		.amdhsa_exception_fp_ieee_div_zero 0
		.amdhsa_exception_fp_ieee_overflow 0
		.amdhsa_exception_fp_ieee_underflow 0
		.amdhsa_exception_fp_ieee_inexact 0
		.amdhsa_exception_int_div_zero 0
	.end_amdhsa_kernel
	.section	.text._ZN4vllm3moe10topkGatingILi4ELi256ELi4ELi16ELi64EjfLNS0_11ScoringFuncE1EEEvPKT5_PKbPfiPT4_PiiiibPKf,"axG",@progbits,_ZN4vllm3moe10topkGatingILi4ELi256ELi4ELi16ELi64EjfLNS0_11ScoringFuncE1EEEvPKT5_PKbPfiPT4_PiiiibPKf,comdat
.Lfunc_end225:
	.size	_ZN4vllm3moe10topkGatingILi4ELi256ELi4ELi16ELi64EjfLNS0_11ScoringFuncE1EEEvPKT5_PKbPfiPT4_PiiiibPKf, .Lfunc_end225-_ZN4vllm3moe10topkGatingILi4ELi256ELi4ELi16ELi64EjfLNS0_11ScoringFuncE1EEEvPKT5_PKbPfiPT4_PiiiibPKf
                                        ; -- End function
	.section	.AMDGPU.csdata,"",@progbits
; Kernel info:
; codeLenInByte = 2664
; NumSgprs: 30
; NumVgprs: 29
; NumAgprs: 0
; TotalNumVgprs: 29
; ScratchSize: 0
; MemoryBound: 0
; FloatMode: 240
; IeeeMode: 1
; LDSByteSize: 0 bytes/workgroup (compile time only)
; SGPRBlocks: 3
; VGPRBlocks: 3
; NumSGPRsForWavesPerEU: 30
; NumVGPRsForWavesPerEU: 29
; AccumOffset: 32
; Occupancy: 8
; WaveLimiterHint : 0
; COMPUTE_PGM_RSRC2:SCRATCH_EN: 0
; COMPUTE_PGM_RSRC2:USER_SGPR: 6
; COMPUTE_PGM_RSRC2:TRAP_HANDLER: 0
; COMPUTE_PGM_RSRC2:TGID_X_EN: 1
; COMPUTE_PGM_RSRC2:TGID_Y_EN: 0
; COMPUTE_PGM_RSRC2:TGID_Z_EN: 0
; COMPUTE_PGM_RSRC2:TIDIG_COMP_CNT: 1
; COMPUTE_PGM_RSRC3_GFX90A:ACCUM_OFFSET: 7
; COMPUTE_PGM_RSRC3_GFX90A:TG_SPLIT: 0
	.section	.text._ZN4vllm3moe10topkGatingILi8ELi256ELi4ELi16ELi32EjfLNS0_11ScoringFuncE1EEEvPKT5_PKbPfiPT4_PiiiibPKf,"axG",@progbits,_ZN4vllm3moe10topkGatingILi8ELi256ELi4ELi16ELi32EjfLNS0_11ScoringFuncE1EEEvPKT5_PKbPfiPT4_PiiiibPKf,comdat
	.protected	_ZN4vllm3moe10topkGatingILi8ELi256ELi4ELi16ELi32EjfLNS0_11ScoringFuncE1EEEvPKT5_PKbPfiPT4_PiiiibPKf ; -- Begin function _ZN4vllm3moe10topkGatingILi8ELi256ELi4ELi16ELi32EjfLNS0_11ScoringFuncE1EEEvPKT5_PKbPfiPT4_PiiiibPKf
	.globl	_ZN4vllm3moe10topkGatingILi8ELi256ELi4ELi16ELi32EjfLNS0_11ScoringFuncE1EEEvPKT5_PKbPfiPT4_PiiiibPKf
	.p2align	8
	.type	_ZN4vllm3moe10topkGatingILi8ELi256ELi4ELi16ELi32EjfLNS0_11ScoringFuncE1EEEvPKT5_PKbPfiPT4_PiiiibPKf,@function
_ZN4vllm3moe10topkGatingILi8ELi256ELi4ELi16ELi32EjfLNS0_11ScoringFuncE1EEEvPKT5_PKbPfiPT4_PiiiibPKf: ; @_ZN4vllm3moe10topkGatingILi8ELi256ELi4ELi16ELi32EjfLNS0_11ScoringFuncE1EEEvPKT5_PKbPfiPT4_PiiiibPKf
; %bb.0:
	s_load_dword s24, s[4:5], 0x18
	v_and_b32_e32 v1, 0x3ff, v0
	s_lshl_b32 s0, s6, 2
	v_lshrrev_b32_e32 v2, 5, v1
	v_bfe_u32 v0, v0, 10, 10
	v_add3_u32 v17, s0, v0, v2
	s_waitcnt lgkmcnt(0)
	v_cmp_gt_i32_e32 vcc, s24, v17
	s_and_saveexec_b64 s[0:1], vcc
	s_cbranch_execz .LBB226_42
; %bb.1:
	s_load_dwordx4 s[0:3], s[4:5], 0x0
	s_load_dwordx2 s[16:17], s[4:5], 0x10
	s_mov_b64 s[8:9], -1
	s_mov_b64 s[18:19], -1
	s_waitcnt lgkmcnt(0)
	s_cmp_eq_u64 s[2:3], 0
	s_cbranch_scc1 .LBB226_3
; %bb.2:
	v_ashrrev_i32_e32 v0, 31, v17
	v_mov_b32_e32 v3, s3
	v_add_co_u32_e32 v2, vcc, s2, v17
	v_addc_co_u32_e32 v3, vcc, v3, v0, vcc
	global_load_ubyte v0, v[2:3], off
	s_waitcnt vmcnt(0)
	v_and_b32_e32 v0, 1, v0
	v_cmp_eq_u32_e32 vcc, 1, v0
	s_xor_b64 s[2:3], vcc, -1
	s_orn2_b64 s[18:19], s[2:3], exec
.LBB226_3:
	v_lshlrev_b32_e32 v2, 8, v17
	v_ashrrev_i32_e32 v3, 31, v2
	v_lshlrev_b64 v[2:3], 2, v[2:3]
	v_mov_b32_e32 v0, s1
	v_add_co_u32_e32 v2, vcc, s0, v2
	v_and_b32_e32 v21, 31, v1
	v_addc_co_u32_e32 v0, vcc, v0, v3, vcc
	v_lshlrev_b32_e32 v1, 4, v21
	v_add_co_u32_e32 v8, vcc, v2, v1
	v_addc_co_u32_e32 v9, vcc, 0, v0, vcc
	global_load_dwordx4 v[0:3], v[8:9], off
	global_load_dwordx4 v[4:7], v[8:9], off offset:512
	v_mov_b32_e32 v8, 0x207
	s_load_dwordx2 s[10:11], s[4:5], 0x40
	v_lshlrev_b32_e32 v22, 2, v21
	s_waitcnt lgkmcnt(0)
	s_cmp_eq_u64 s[10:11], 0
	s_waitcnt vmcnt(1)
	v_mul_f32_e32 v0, 0xbfb8aa3b, v0
	v_mul_f32_e32 v1, 0xbfb8aa3b, v1
	v_exp_f32_e32 v0, v0
	v_exp_f32_e32 v1, v1
	s_waitcnt vmcnt(0)
	v_mul_f32_e32 v4, 0xbfb8aa3b, v4
	v_mul_f32_e32 v5, 0xbfb8aa3b, v5
	v_exp_f32_e32 v4, v4
	v_exp_f32_e32 v5, v5
	v_mul_f32_e32 v2, 0xbfb8aa3b, v2
	v_mul_f32_e32 v3, 0xbfb8aa3b, v3
	v_exp_f32_e32 v2, v2
	v_exp_f32_e32 v3, v3
	v_pk_add_f32 v[0:1], v[0:1], 1.0 op_sel_hi:[1,0]
	v_div_scale_f32 v9, s[0:1], v1, v1, 1.0
	v_pk_add_f32 v[4:5], v[4:5], 1.0 op_sel_hi:[1,0]
	v_rcp_f32_e32 v19, v9
	v_div_scale_f32 v11, s[0:1], v0, v0, 1.0
	v_div_scale_f32 v18, s[12:13], v5, v5, 1.0
	v_pk_add_f32 v[2:3], v[2:3], 1.0 op_sel_hi:[1,0]
	v_rcp_f32_e32 v20, v11
	v_rcp_f32_e32 v25, v18
	v_div_scale_f32 v13, s[2:3], v3, v3, 1.0
	v_rcp_f32_e32 v23, v13
	v_fma_f32 v26, -v9, v19, 1.0
	v_div_scale_f32 v10, vcc, 1.0, v1, 1.0
	v_div_scale_f32 v15, s[6:7], v2, v2, 1.0
	v_fmac_f32_e32 v19, v26, v19
	v_rcp_f32_e32 v24, v15
	v_fma_f32 v27, -v11, v20, 1.0
	v_fma_f32 v30, -v18, v25, 1.0
	v_mul_f32_e32 v26, v10, v19
	v_div_scale_f32 v12, s[0:1], 1.0, v0, 1.0
	v_fmac_f32_e32 v20, v27, v20
	v_fmac_f32_e32 v25, v30, v25
	v_fma_f32 v30, -v9, v26, v10
	v_fma_f32 v28, -v13, v23, 1.0
	v_mul_f32_e32 v27, v12, v20
	v_fmac_f32_e32 v26, v30, v19
	v_div_scale_f32 v14, s[2:3], 1.0, v3, 1.0
	v_fmac_f32_e32 v23, v28, v23
	v_fma_f32 v31, -v11, v27, v12
	v_fma_f32 v9, -v9, v26, v10
	v_fma_f32 v29, -v15, v24, 1.0
	v_mul_f32_e32 v28, v14, v23
	v_fmac_f32_e32 v27, v31, v20
	v_div_fmas_f32 v9, v9, v19, v26
	v_div_scale_f32 v16, s[6:7], 1.0, v2, 1.0
	v_fmac_f32_e32 v24, v29, v24
	v_fma_f32 v32, -v13, v28, v14
	v_fma_f32 v10, -v11, v27, v12
	v_div_fixup_f32 v1, v9, v1, 1.0
	s_mov_b64 vcc, s[0:1]
	v_mul_f32_e32 v29, v16, v24
	v_fmac_f32_e32 v28, v32, v23
	v_div_fmas_f32 v9, v10, v20, v27
	v_cmp_class_f32_e32 vcc, v1, v8
	v_fma_f32 v33, -v15, v29, v16
	v_fma_f32 v11, -v13, v28, v14
	v_div_fixup_f32 v0, v9, v0, 1.0
	v_cndmask_b32_e64 v1, v1, 0, vcc
	s_mov_b64 vcc, s[2:3]
	v_fmac_f32_e32 v29, v33, v24
	v_div_fmas_f32 v9, v11, v23, v28
	v_cmp_class_f32_e32 vcc, v0, v8
	v_fma_f32 v12, -v15, v29, v16
	v_cndmask_b32_e64 v0, v0, 0, vcc
	s_mov_b64 vcc, s[6:7]
	v_div_fixup_f32 v3, v9, v3, 1.0
	v_div_fmas_f32 v9, v12, v24, v29
	v_div_fixup_f32 v2, v9, v2, 1.0
	v_cmp_class_f32_e32 vcc, v3, v8
	v_cndmask_b32_e64 v3, v3, 0, vcc
	v_cmp_class_f32_e32 vcc, v2, v8
	v_cndmask_b32_e64 v2, v2, 0, vcc
	v_div_scale_f32 v9, vcc, 1.0, v5, 1.0
	v_mul_f32_e32 v10, v9, v25
	v_fma_f32 v11, -v18, v10, v9
	v_fmac_f32_e32 v10, v11, v25
	v_div_scale_f32 v11, s[0:1], v4, v4, 1.0
	v_rcp_f32_e32 v12, v11
	v_fma_f32 v9, -v18, v10, v9
	v_div_fmas_f32 v9, v9, v25, v10
	v_div_fixup_f32 v5, v9, v5, 1.0
	v_fma_f32 v9, -v11, v12, 1.0
	v_mul_f32_e32 v6, 0xbfb8aa3b, v6
	v_mul_f32_e32 v7, 0xbfb8aa3b, v7
	v_fmac_f32_e32 v12, v9, v12
	v_div_scale_f32 v9, vcc, 1.0, v4, 1.0
	v_exp_f32_e32 v6, v6
	v_exp_f32_e32 v7, v7
	v_mul_f32_e32 v10, v9, v12
	v_fma_f32 v13, -v11, v10, v9
	v_fmac_f32_e32 v10, v13, v12
	v_fma_f32 v9, -v11, v10, v9
	v_div_fmas_f32 v9, v9, v12, v10
	v_pk_add_f32 v[6:7], v[6:7], 1.0 op_sel_hi:[1,0]
	v_div_fixup_f32 v4, v9, v4, 1.0
	v_div_scale_f32 v9, s[0:1], v7, v7, 1.0
	v_rcp_f32_e32 v10, v9
	v_cmp_class_f32_e32 vcc, v5, v8
	v_cndmask_b32_e64 v5, v5, 0, vcc
	v_cmp_class_f32_e32 vcc, v4, v8
	v_fma_f32 v11, -v9, v10, 1.0
	v_cndmask_b32_e64 v4, v4, 0, vcc
	v_fmac_f32_e32 v10, v11, v10
	v_div_scale_f32 v11, vcc, 1.0, v7, 1.0
	v_mul_f32_e32 v12, v11, v10
	v_fma_f32 v13, -v9, v12, v11
	v_fmac_f32_e32 v12, v13, v10
	v_fma_f32 v9, -v9, v12, v11
	v_div_scale_f32 v11, s[0:1], v6, v6, 1.0
	v_rcp_f32_e32 v13, v11
	v_div_fmas_f32 v9, v9, v10, v12
	v_div_fixup_f32 v7, v9, v7, 1.0
	v_fma_f32 v9, -v11, v13, 1.0
	v_fmac_f32_e32 v13, v9, v13
	v_div_scale_f32 v9, vcc, 1.0, v6, 1.0
	v_mul_f32_e32 v10, v9, v13
	v_fma_f32 v12, -v11, v10, v9
	v_fmac_f32_e32 v10, v12, v13
	v_fma_f32 v9, -v11, v10, v9
	v_div_fmas_f32 v9, v9, v13, v10
	v_div_fixup_f32 v6, v9, v6, 1.0
	v_cmp_class_f32_e32 vcc, v7, v8
	v_cndmask_b32_e64 v7, v7, 0, vcc
	v_cmp_class_f32_e32 vcc, v6, v8
	v_cndmask_b32_e64 v6, v6, 0, vcc
	s_cbranch_scc1 .LBB226_31
; %bb.4:
	v_lshlrev_b32_e32 v16, 2, v22
	global_load_dwordx4 v[8:11], v16, s[10:11]
	global_load_dwordx4 v[12:15], v16, s[10:11] offset:512
	s_waitcnt vmcnt(1)
	v_pk_add_f32 v[8:9], v[8:9], v[0:1]
	v_pk_add_f32 v[10:11], v[10:11], v[2:3]
	s_waitcnt vmcnt(0)
	v_pk_add_f32 v[12:13], v[12:13], v[4:5]
	v_pk_add_f32 v[14:15], v[14:15], v[6:7]
	s_cbranch_execnz .LBB226_6
.LBB226_5:
	v_pk_mov_b32 v[14:15], v[6:7], v[6:7] op_sel:[0,1]
	v_pk_mov_b32 v[12:13], v[4:5], v[4:5] op_sel:[0,1]
	;; [unrolled: 1-line block ×4, first 2 shown]
.LBB226_6:
	s_load_dwordx4 s[8:11], s[4:5], 0x30
	s_mov_b32 s25, 0
	v_cmp_eq_u32_e64 s[0:1], 0, v21
	s_waitcnt lgkmcnt(0)
	s_bitcmp1_b32 s11, 0
	s_cselect_b64 vcc, -1, 0
	s_cmp_gt_i32 s8, 0
	s_cselect_b64 s[20:21], -1, 0
	s_cmp_lt_i32 s8, 1
	s_cbranch_scc1 .LBB226_32
; %bb.7:
	v_mbcnt_lo_u32_b32 v16, -1, 0
	v_mbcnt_hi_u32_b32 v16, -1, v16
	v_and_b32_e32 v18, 0x60, v16
	v_add_u32_e32 v18, 32, v18
	v_xor_b32_e32 v19, 16, v16
	v_cmp_lt_i32_e64 s[2:3], v19, v18
	v_cndmask_b32_e64 v19, v16, v19, s[2:3]
	v_lshlrev_b32_e32 v25, 2, v19
	v_xor_b32_e32 v19, 8, v16
	v_cmp_lt_i32_e64 s[2:3], v19, v18
	v_cndmask_b32_e64 v19, v16, v19, s[2:3]
	v_lshlrev_b32_e32 v26, 2, v19
	;; [unrolled: 4-line block ×3, first 2 shown]
	v_xor_b32_e32 v19, 2, v16
	v_cmp_lt_i32_e64 s[2:3], v19, v18
	s_load_dwordx4 s[12:15], s[4:5], 0x20
	v_cndmask_b32_e64 v19, v16, v19, s[2:3]
	v_lshlrev_b32_e32 v28, 2, v19
	v_xor_b32_e32 v19, 1, v16
	v_cmp_lt_i32_e64 s[2:3], v19, v18
	v_cndmask_b32_e64 v16, v16, v19, s[2:3]
	v_mul_lo_u32 v24, v17, s8
	v_lshlrev_b32_e32 v29, 2, v16
	v_mov_b32_e32 v23, 0
	v_mov_b32_e32 v30, 0x80
	;; [unrolled: 1-line block ×8, first 2 shown]
	s_branch .LBB226_10
.LBB226_8:                              ;   in Loop: Header=BB226_10 Depth=1
	s_or_b64 exec, exec, s[4:5]
.LBB226_9:                              ;   in Loop: Header=BB226_10 Depth=1
	s_cmp_eq_u32 s8, s25
	v_add_u32_e32 v36, s24, v36
	s_cbranch_scc1 .LBB226_33
.LBB226_10:                             ; =>This Inner Loop Header: Depth=1
	v_cmp_gt_f32_e64 s[2:3], v9, v8
	s_waitcnt lgkmcnt(0)
	v_cndmask_b32_e64 v19, v8, v9, s[2:3]
	v_cndmask_b32_e64 v16, 0, 1, s[2:3]
	v_cndmask_b32_e64 v18, v0, v1, s[2:3]
	v_cmp_gt_f32_e64 s[2:3], v10, v19
	v_cndmask_b32_e64 v19, v19, v10, s[2:3]
	v_cndmask_b32_e64 v16, v16, 2, s[2:3]
	v_cndmask_b32_e64 v18, v18, v2, s[2:3]
	v_cmp_gt_f32_e64 s[2:3], v11, v19
	v_cndmask_b32_e64 v19, v19, v11, s[2:3]
	v_cndmask_b32_e64 v16, v16, 3, s[2:3]
	v_cndmask_b32_e64 v18, v18, v3, s[2:3]
	v_cmp_gt_f32_e64 s[2:3], v12, v19
	v_cndmask_b32_e64 v19, v19, v12, s[2:3]
	v_cndmask_b32_e64 v16, v16, v30, s[2:3]
	v_cndmask_b32_e64 v18, v18, v4, s[2:3]
	v_cmp_gt_f32_e64 s[2:3], v13, v19
	v_cndmask_b32_e64 v19, v19, v13, s[2:3]
	v_cndmask_b32_e64 v16, v16, v31, s[2:3]
	v_cndmask_b32_e64 v18, v18, v5, s[2:3]
	v_cmp_gt_f32_e64 s[2:3], v14, v19
	v_cndmask_b32_e64 v19, v19, v14, s[2:3]
	v_cndmask_b32_e64 v16, v16, v32, s[2:3]
	v_cndmask_b32_e64 v18, v18, v6, s[2:3]
	v_cmp_gt_f32_e64 s[2:3], v15, v19
	v_cndmask_b32_e64 v16, v16, v33, s[2:3]
	v_cndmask_b32_e64 v37, v19, v15, s[2:3]
	v_or_b32_e32 v38, v22, v16
	v_cndmask_b32_e64 v16, v18, v7, s[2:3]
	ds_bpermute_b32 v40, v25, v37
	ds_bpermute_b32 v20, v25, v16
	;; [unrolled: 1-line block ×3, first 2 shown]
                                        ; implicit-def: $vgpr18_vgpr19
	s_waitcnt lgkmcnt(0)
	v_cmp_lt_f32_e64 s[6:7], v37, v40
	v_cmp_nlt_f32_e64 s[2:3], v37, v40
	s_and_saveexec_b64 s[22:23], s[2:3]
; %bb.11:                               ;   in Loop: Header=BB226_10 Depth=1
	v_cmp_eq_f32_e64 s[2:3], v37, v40
	v_cmp_lt_i32_e64 s[4:5], v39, v38
	s_and_b64 s[2:3], s[2:3], s[4:5]
	s_andn2_b64 s[4:5], s[6:7], exec
	s_and_b64 s[2:3], s[2:3], exec
	s_or_b64 s[6:7], s[4:5], s[2:3]
	v_pk_mov_b32 v[18:19], v[16:17], v[16:17] op_sel:[0,1]
; %bb.12:                               ;   in Loop: Header=BB226_10 Depth=1
	s_or_b64 exec, exec, s[22:23]
	s_and_saveexec_b64 s[2:3], s[6:7]
; %bb.13:                               ;   in Loop: Header=BB226_10 Depth=1
	v_mov_b32_e32 v37, v40
	v_mov_b32_e32 v16, v20
	;; [unrolled: 1-line block ×3, first 2 shown]
	v_pk_mov_b32 v[18:19], v[20:21], v[20:21] op_sel:[0,1]
; %bb.14:                               ;   in Loop: Header=BB226_10 Depth=1
	s_or_b64 exec, exec, s[2:3]
	ds_bpermute_b32 v39, v26, v37
	ds_bpermute_b32 v20, v26, v16
	;; [unrolled: 1-line block ×3, first 2 shown]
	s_waitcnt lgkmcnt(2)
	v_cmp_lt_f32_e64 s[6:7], v37, v39
	v_cmp_nlt_f32_e64 s[2:3], v37, v39
	s_and_saveexec_b64 s[22:23], s[2:3]
	s_cbranch_execz .LBB226_16
; %bb.15:                               ;   in Loop: Header=BB226_10 Depth=1
	v_cmp_eq_f32_e64 s[2:3], v37, v39
	s_waitcnt lgkmcnt(0)
	v_cmp_lt_i32_e64 s[4:5], v19, v38
	s_and_b64 s[2:3], s[2:3], s[4:5]
	s_andn2_b64 s[4:5], s[6:7], exec
	s_and_b64 s[2:3], s[2:3], exec
	s_or_b64 s[6:7], s[4:5], s[2:3]
.LBB226_16:                             ;   in Loop: Header=BB226_10 Depth=1
	s_or_b64 exec, exec, s[22:23]
	s_and_saveexec_b64 s[2:3], s[6:7]
	s_cbranch_execz .LBB226_18
; %bb.17:                               ;   in Loop: Header=BB226_10 Depth=1
	v_mov_b32_e32 v37, v39
	s_waitcnt lgkmcnt(1)
	v_mov_b32_e32 v16, v20
	s_waitcnt lgkmcnt(0)
	v_mov_b32_e32 v38, v19
	v_pk_mov_b32 v[18:19], v[20:21], v[20:21] op_sel:[0,1]
.LBB226_18:                             ;   in Loop: Header=BB226_10 Depth=1
	s_or_b64 exec, exec, s[2:3]
	ds_bpermute_b32 v39, v27, v37
	s_waitcnt lgkmcnt(2)
	ds_bpermute_b32 v20, v27, v16
	s_waitcnt lgkmcnt(2)
	;; [unrolled: 2-line block ×3, first 2 shown]
	v_cmp_lt_f32_e64 s[6:7], v37, v39
	v_cmp_nlt_f32_e64 s[2:3], v37, v39
	s_and_saveexec_b64 s[22:23], s[2:3]
	s_cbranch_execz .LBB226_20
; %bb.19:                               ;   in Loop: Header=BB226_10 Depth=1
	v_cmp_eq_f32_e64 s[2:3], v37, v39
	s_waitcnt lgkmcnt(0)
	v_cmp_lt_i32_e64 s[4:5], v19, v38
	s_and_b64 s[2:3], s[2:3], s[4:5]
	s_andn2_b64 s[4:5], s[6:7], exec
	s_and_b64 s[2:3], s[2:3], exec
	s_or_b64 s[6:7], s[4:5], s[2:3]
.LBB226_20:                             ;   in Loop: Header=BB226_10 Depth=1
	s_or_b64 exec, exec, s[22:23]
	s_and_saveexec_b64 s[2:3], s[6:7]
	s_cbranch_execz .LBB226_22
; %bb.21:                               ;   in Loop: Header=BB226_10 Depth=1
	v_mov_b32_e32 v37, v39
	s_waitcnt lgkmcnt(1)
	v_mov_b32_e32 v16, v20
	s_waitcnt lgkmcnt(0)
	v_mov_b32_e32 v38, v19
	v_pk_mov_b32 v[18:19], v[20:21], v[20:21] op_sel:[0,1]
.LBB226_22:                             ;   in Loop: Header=BB226_10 Depth=1
	s_or_b64 exec, exec, s[2:3]
	ds_bpermute_b32 v39, v28, v37
	s_waitcnt lgkmcnt(2)
	ds_bpermute_b32 v20, v28, v16
	s_waitcnt lgkmcnt(2)
	;; [unrolled: 2-line block ×3, first 2 shown]
	v_cmp_lt_f32_e64 s[6:7], v37, v39
	v_cmp_nlt_f32_e64 s[2:3], v37, v39
	s_and_saveexec_b64 s[22:23], s[2:3]
	s_cbranch_execz .LBB226_24
; %bb.23:                               ;   in Loop: Header=BB226_10 Depth=1
	v_cmp_eq_f32_e64 s[2:3], v37, v39
	s_waitcnt lgkmcnt(0)
	v_cmp_lt_i32_e64 s[4:5], v19, v38
	s_and_b64 s[2:3], s[2:3], s[4:5]
	s_andn2_b64 s[4:5], s[6:7], exec
	s_and_b64 s[2:3], s[2:3], exec
	s_or_b64 s[6:7], s[4:5], s[2:3]
.LBB226_24:                             ;   in Loop: Header=BB226_10 Depth=1
	s_or_b64 exec, exec, s[22:23]
	s_and_saveexec_b64 s[2:3], s[6:7]
	s_cbranch_execz .LBB226_26
; %bb.25:                               ;   in Loop: Header=BB226_10 Depth=1
	v_mov_b32_e32 v37, v39
	s_waitcnt lgkmcnt(1)
	v_mov_b32_e32 v16, v20
	s_waitcnt lgkmcnt(0)
	v_mov_b32_e32 v38, v19
	v_pk_mov_b32 v[18:19], v[20:21], v[20:21] op_sel:[0,1]
.LBB226_26:                             ;   in Loop: Header=BB226_10 Depth=1
	s_or_b64 exec, exec, s[2:3]
	s_waitcnt lgkmcnt(1)
	ds_bpermute_b32 v20, v29, v37
	ds_bpermute_b32 v39, v29, v38
	s_waitcnt lgkmcnt(2)
	ds_bpermute_b32 v19, v29, v16
	s_waitcnt lgkmcnt(2)
	v_cmp_eq_f32_e64 s[4:5], v37, v20
	s_waitcnt lgkmcnt(1)
	v_cmp_lt_i32_e64 s[6:7], v39, v38
	v_cmp_lt_f32_e64 s[2:3], v37, v20
	s_and_b64 s[4:5], s[4:5], s[6:7]
	s_or_b64 s[2:3], s[2:3], s[4:5]
	v_cndmask_b32_e64 v16, v38, v39, s[2:3]
	s_and_saveexec_b64 s[6:7], s[0:1]
	s_cbranch_execnz .LBB226_28
; %bb.27:                               ;   in Loop: Header=BB226_10 Depth=1
	s_or_b64 exec, exec, s[6:7]
	s_add_i32 s25, s25, 1
	s_cmp_ge_i32 s25, s8
	s_cbranch_scc1 .LBB226_9
	s_branch .LBB226_29
.LBB226_28:                             ;   in Loop: Header=BB226_10 Depth=1
	s_waitcnt lgkmcnt(0)
	v_cndmask_b32_e64 v20, v18, v19, s[2:3]
	v_add_u32_e32 v18, s25, v24
	v_ashrrev_i32_e32 v19, 31, v18
	v_cmp_le_i32_e64 s[2:3], s9, v16
	v_cmp_gt_i32_e64 s[4:5], s10, v16
	v_lshlrev_b64 v[18:19], 2, v[18:19]
	s_and_b64 s[4:5], s[2:3], s[4:5]
	v_mov_b32_e32 v37, s17
	v_add_co_u32_e64 v38, s[2:3], s16, v18
	v_addc_co_u32_e64 v39, s[2:3], v37, v19, s[2:3]
	v_subrev_u32_e32 v37, s9, v16
	s_and_b64 s[2:3], s[18:19], s[4:5]
	global_store_dword v[38:39], v20, off
	v_cndmask_b32_e64 v37, v34, v37, s[2:3]
	v_mov_b32_e32 v39, s13
	v_add_co_u32_e64 v38, s[2:3], s12, v18
	v_addc_co_u32_e64 v39, s[2:3], v39, v19, s[2:3]
	global_store_dword v[38:39], v37, off
	v_mov_b32_e32 v37, s15
	v_add_co_u32_e64 v18, s[2:3], s14, v18
	v_addc_co_u32_e64 v19, s[2:3], v37, v19, s[2:3]
	global_store_dword v[18:19], v36, off
	v_add_f32_e32 v18, v23, v20
	v_cndmask_b32_e32 v23, v23, v18, vcc
	s_or_b64 exec, exec, s[6:7]
	s_add_i32 s25, s25, 1
	s_cmp_ge_i32 s25, s8
	s_cbranch_scc1 .LBB226_9
.LBB226_29:                             ;   in Loop: Header=BB226_10 Depth=1
	s_waitcnt lgkmcnt(0)
	v_ashrrev_i32_e32 v19, 31, v16
	v_lshrrev_b32_e32 v18, 30, v19
	v_add_u32_e32 v20, v16, v18
	v_ashrrev_i32_e32 v18, 2, v20
	v_ashrrev_i32_e32 v20, 31, v20
	v_lshrrev_b32_e32 v20, 27, v20
	v_add_u32_e32 v20, v18, v20
	v_and_b32_e32 v20, 0xffffffe0, v20
	v_sub_u32_e32 v20, v18, v20
	v_cmp_eq_u32_e64 s[2:3], v21, v20
	s_and_saveexec_b64 s[4:5], s[2:3]
	s_cbranch_execz .LBB226_8
; %bb.30:                               ;   in Loop: Header=BB226_10 Depth=1
	v_lshrrev_b32_e32 v19, 25, v19
	v_add_u32_e32 v19, v16, v19
	v_lshlrev_b32_e32 v18, 2, v18
	v_ashrrev_i32_e32 v19, 7, v19
	v_sub_u32_e32 v16, v16, v18
	v_lshl_add_u32 v16, v19, 2, v16
	v_cmp_ne_u32_e64 s[2:3], 7, v16
	v_cndmask_b32_e64 v15, v35, v15, s[2:3]
	v_cmp_ne_u32_e64 s[2:3], 6, v16
	v_cndmask_b32_e64 v14, v35, v14, s[2:3]
	v_cmp_ne_u32_e64 s[2:3], 5, v16
	v_cndmask_b32_e64 v13, v35, v13, s[2:3]
	v_cmp_ne_u32_e64 s[2:3], 4, v16
	v_cndmask_b32_e64 v12, v35, v12, s[2:3]
	v_cmp_ne_u32_e64 s[2:3], 3, v16
	v_cndmask_b32_e64 v11, v35, v11, s[2:3]
	v_cmp_ne_u32_e64 s[2:3], 2, v16
	v_cndmask_b32_e64 v10, v35, v10, s[2:3]
	v_cmp_ne_u32_e64 s[2:3], 1, v16
	v_cndmask_b32_e64 v9, v35, v9, s[2:3]
	v_cmp_ne_u32_e64 s[2:3], 0, v16
	v_cndmask_b32_e64 v8, v35, v8, s[2:3]
	s_branch .LBB226_8
.LBB226_31:
                                        ; implicit-def: $vgpr8_vgpr9_vgpr10_vgpr11_vgpr12_vgpr13_vgpr14_vgpr15
	s_andn2_b64 vcc, exec, s[8:9]
	s_cbranch_vccz .LBB226_5
	s_branch .LBB226_6
.LBB226_32:
	v_mov_b32_e32 v23, 0
.LBB226_33:
	v_cmp_eq_u32_e64 s[0:1], 0, v21
	s_and_b64 s[0:1], s[0:1], vcc
	s_and_b64 exec, exec, s[0:1]
	s_cbranch_execz .LBB226_42
; %bb.34:
	s_andn2_b64 vcc, exec, s[20:21]
	s_cbranch_vccnz .LBB226_42
; %bb.35:
	v_cmp_lt_f32_e32 vcc, 0, v23
	s_mov_b32 s2, 0
	v_cndmask_b32_e32 v0, 1.0, v23, vcc
	v_mul_lo_u32 v4, v17, s8
	s_cmp_eq_u32 s8, 1
	s_mov_b64 s[0:1], -1
	s_cbranch_scc1 .LBB226_39
; %bb.36:
	s_and_b32 s2, s8, 0x7ffffffe
	v_mov_b32_e32 v1, v0
	v_mov_b32_e32 v5, s17
	s_mov_b32 s3, s2
	v_mov_b32_e32 v2, v4
.LBB226_37:                             ; =>This Inner Loop Header: Depth=1
	v_ashrrev_i32_e32 v3, 31, v2
	v_lshlrev_b64 v[6:7], 2, v[2:3]
	v_add_co_u32_e32 v6, vcc, s16, v6
	v_addc_co_u32_e32 v7, vcc, v5, v7, vcc
	global_load_dwordx2 v[8:9], v[6:7], off
	s_add_i32 s3, s3, -2
	s_cmp_lg_u32 s3, 0
	v_add_u32_e32 v2, 2, v2
	s_waitcnt vmcnt(0)
	v_div_scale_f32 v3, s[0:1], v1, v1, v9
	v_div_scale_f32 v11, s[0:1], v0, v0, v8
	v_rcp_f32_e32 v12, v3
	v_rcp_f32_e32 v13, v11
	v_div_scale_f32 v10, vcc, v9, v1, v9
	v_fma_f32 v15, -v3, v12, 1.0
	v_fma_f32 v16, -v11, v13, 1.0
	v_fmac_f32_e32 v12, v15, v12
	v_div_scale_f32 v14, s[0:1], v8, v0, v8
	v_fmac_f32_e32 v13, v16, v13
	v_mul_f32_e32 v15, v10, v12
	v_mul_f32_e32 v16, v14, v13
	v_fma_f32 v17, -v3, v15, v10
	v_fma_f32 v18, -v11, v16, v14
	v_fmac_f32_e32 v15, v17, v12
	v_fmac_f32_e32 v16, v18, v13
	v_fma_f32 v3, -v3, v15, v10
	v_fma_f32 v10, -v11, v16, v14
	v_div_fmas_f32 v3, v3, v12, v15
	s_mov_b64 vcc, s[0:1]
	v_div_fixup_f32 v9, v3, v1, v9
	v_div_fmas_f32 v3, v10, v13, v16
	v_div_fixup_f32 v8, v3, v0, v8
	global_store_dwordx2 v[6:7], v[8:9], off
	s_cbranch_scc1 .LBB226_37
; %bb.38:
	s_cmp_lg_u32 s2, s8
	s_cselect_b64 s[0:1], -1, 0
.LBB226_39:
	s_and_b64 vcc, exec, s[0:1]
	s_cbranch_vccz .LBB226_42
; %bb.40:
	v_ashrrev_i32_e32 v1, 31, v4
	v_add_co_u32_e32 v2, vcc, s2, v4
	v_addc_co_u32_e32 v3, vcc, 0, v1, vcc
	v_lshlrev_b64 v[2:3], 2, v[2:3]
	v_mov_b32_e32 v1, s17
	v_add_co_u32_e32 v2, vcc, s16, v2
	s_sub_i32 s0, s8, s2
	v_addc_co_u32_e32 v3, vcc, v1, v3, vcc
.LBB226_41:                             ; =>This Inner Loop Header: Depth=1
	global_load_dword v1, v[2:3], off
	s_add_i32 s0, s0, -1
	s_cmp_lg_u32 s0, 0
	s_waitcnt vmcnt(0)
	v_div_scale_f32 v4, s[2:3], v0, v0, v1
	v_rcp_f32_e32 v5, v4
	v_div_scale_f32 v6, vcc, v1, v0, v1
	v_fma_f32 v7, -v4, v5, 1.0
	v_fmac_f32_e32 v5, v7, v5
	v_mul_f32_e32 v7, v6, v5
	v_fma_f32 v8, -v4, v7, v6
	v_fmac_f32_e32 v7, v8, v5
	v_fma_f32 v4, -v4, v7, v6
	v_div_fmas_f32 v4, v4, v5, v7
	v_div_fixup_f32 v1, v4, v0, v1
	global_store_dword v[2:3], v1, off
	v_add_co_u32_e32 v2, vcc, 4, v2
	v_addc_co_u32_e32 v3, vcc, 0, v3, vcc
	s_cbranch_scc1 .LBB226_41
.LBB226_42:
	s_endpgm
	.section	.rodata,"a",@progbits
	.p2align	6, 0x0
	.amdhsa_kernel _ZN4vllm3moe10topkGatingILi8ELi256ELi4ELi16ELi32EjfLNS0_11ScoringFuncE1EEEvPKT5_PKbPfiPT4_PiiiibPKf
		.amdhsa_group_segment_fixed_size 0
		.amdhsa_private_segment_fixed_size 0
		.amdhsa_kernarg_size 72
		.amdhsa_user_sgpr_count 6
		.amdhsa_user_sgpr_private_segment_buffer 1
		.amdhsa_user_sgpr_dispatch_ptr 0
		.amdhsa_user_sgpr_queue_ptr 0
		.amdhsa_user_sgpr_kernarg_segment_ptr 1
		.amdhsa_user_sgpr_dispatch_id 0
		.amdhsa_user_sgpr_flat_scratch_init 0
		.amdhsa_user_sgpr_kernarg_preload_length 0
		.amdhsa_user_sgpr_kernarg_preload_offset 0
		.amdhsa_user_sgpr_private_segment_size 0
		.amdhsa_uses_dynamic_stack 0
		.amdhsa_system_sgpr_private_segment_wavefront_offset 0
		.amdhsa_system_sgpr_workgroup_id_x 1
		.amdhsa_system_sgpr_workgroup_id_y 0
		.amdhsa_system_sgpr_workgroup_id_z 0
		.amdhsa_system_sgpr_workgroup_info 0
		.amdhsa_system_vgpr_workitem_id 1
		.amdhsa_next_free_vgpr 41
		.amdhsa_next_free_sgpr 26
		.amdhsa_accum_offset 44
		.amdhsa_reserve_vcc 1
		.amdhsa_reserve_flat_scratch 0
		.amdhsa_float_round_mode_32 0
		.amdhsa_float_round_mode_16_64 0
		.amdhsa_float_denorm_mode_32 3
		.amdhsa_float_denorm_mode_16_64 3
		.amdhsa_dx10_clamp 1
		.amdhsa_ieee_mode 1
		.amdhsa_fp16_overflow 0
		.amdhsa_tg_split 0
		.amdhsa_exception_fp_ieee_invalid_op 0
		.amdhsa_exception_fp_denorm_src 0
		.amdhsa_exception_fp_ieee_div_zero 0
		.amdhsa_exception_fp_ieee_overflow 0
		.amdhsa_exception_fp_ieee_underflow 0
		.amdhsa_exception_fp_ieee_inexact 0
		.amdhsa_exception_int_div_zero 0
	.end_amdhsa_kernel
	.section	.text._ZN4vllm3moe10topkGatingILi8ELi256ELi4ELi16ELi32EjfLNS0_11ScoringFuncE1EEEvPKT5_PKbPfiPT4_PiiiibPKf,"axG",@progbits,_ZN4vllm3moe10topkGatingILi8ELi256ELi4ELi16ELi32EjfLNS0_11ScoringFuncE1EEEvPKT5_PKbPfiPT4_PiiiibPKf,comdat
.Lfunc_end226:
	.size	_ZN4vllm3moe10topkGatingILi8ELi256ELi4ELi16ELi32EjfLNS0_11ScoringFuncE1EEEvPKT5_PKbPfiPT4_PiiiibPKf, .Lfunc_end226-_ZN4vllm3moe10topkGatingILi8ELi256ELi4ELi16ELi32EjfLNS0_11ScoringFuncE1EEEvPKT5_PKbPfiPT4_PiiiibPKf
                                        ; -- End function
	.section	.AMDGPU.csdata,"",@progbits
; Kernel info:
; codeLenInByte = 3168
; NumSgprs: 30
; NumVgprs: 41
; NumAgprs: 0
; TotalNumVgprs: 41
; ScratchSize: 0
; MemoryBound: 0
; FloatMode: 240
; IeeeMode: 1
; LDSByteSize: 0 bytes/workgroup (compile time only)
; SGPRBlocks: 3
; VGPRBlocks: 5
; NumSGPRsForWavesPerEU: 30
; NumVGPRsForWavesPerEU: 41
; AccumOffset: 44
; Occupancy: 8
; WaveLimiterHint : 1
; COMPUTE_PGM_RSRC2:SCRATCH_EN: 0
; COMPUTE_PGM_RSRC2:USER_SGPR: 6
; COMPUTE_PGM_RSRC2:TRAP_HANDLER: 0
; COMPUTE_PGM_RSRC2:TGID_X_EN: 1
; COMPUTE_PGM_RSRC2:TGID_Y_EN: 0
; COMPUTE_PGM_RSRC2:TGID_Z_EN: 0
; COMPUTE_PGM_RSRC2:TIDIG_COMP_CNT: 1
; COMPUTE_PGM_RSRC3_GFX90A:ACCUM_OFFSET: 10
; COMPUTE_PGM_RSRC3_GFX90A:TG_SPLIT: 0
	.section	.text._ZN4vllm3moe10topkGatingILi8ELi512ELi4ELi16ELi64EjfLNS0_11ScoringFuncE1EEEvPKT5_PKbPfiPT4_PiiiibPKf,"axG",@progbits,_ZN4vllm3moe10topkGatingILi8ELi512ELi4ELi16ELi64EjfLNS0_11ScoringFuncE1EEEvPKT5_PKbPfiPT4_PiiiibPKf,comdat
	.protected	_ZN4vllm3moe10topkGatingILi8ELi512ELi4ELi16ELi64EjfLNS0_11ScoringFuncE1EEEvPKT5_PKbPfiPT4_PiiiibPKf ; -- Begin function _ZN4vllm3moe10topkGatingILi8ELi512ELi4ELi16ELi64EjfLNS0_11ScoringFuncE1EEEvPKT5_PKbPfiPT4_PiiiibPKf
	.globl	_ZN4vllm3moe10topkGatingILi8ELi512ELi4ELi16ELi64EjfLNS0_11ScoringFuncE1EEEvPKT5_PKbPfiPT4_PiiiibPKf
	.p2align	8
	.type	_ZN4vllm3moe10topkGatingILi8ELi512ELi4ELi16ELi64EjfLNS0_11ScoringFuncE1EEEvPKT5_PKbPfiPT4_PiiiibPKf,@function
_ZN4vllm3moe10topkGatingILi8ELi512ELi4ELi16ELi64EjfLNS0_11ScoringFuncE1EEEvPKT5_PKbPfiPT4_PiiiibPKf: ; @_ZN4vllm3moe10topkGatingILi8ELi512ELi4ELi16ELi64EjfLNS0_11ScoringFuncE1EEEvPKT5_PKbPfiPT4_PiiiibPKf
; %bb.0:
	s_load_dword s24, s[4:5], 0x18
	v_and_b32_e32 v1, 0x3ff, v0
	s_lshl_b32 s0, s6, 2
	v_lshrrev_b32_e32 v2, 6, v1
	v_bfe_u32 v0, v0, 10, 10
	v_add3_u32 v17, s0, v0, v2
	s_waitcnt lgkmcnt(0)
	v_cmp_gt_i32_e32 vcc, s24, v17
	s_and_saveexec_b64 s[0:1], vcc
	s_cbranch_execz .LBB227_46
; %bb.1:
	s_load_dwordx4 s[0:3], s[4:5], 0x0
	s_load_dwordx2 s[16:17], s[4:5], 0x10
	s_mov_b64 s[8:9], -1
	s_mov_b64 s[18:19], -1
	s_waitcnt lgkmcnt(0)
	s_cmp_eq_u64 s[2:3], 0
	s_cbranch_scc1 .LBB227_3
; %bb.2:
	v_ashrrev_i32_e32 v0, 31, v17
	v_mov_b32_e32 v3, s3
	v_add_co_u32_e32 v2, vcc, s2, v17
	v_addc_co_u32_e32 v3, vcc, v3, v0, vcc
	global_load_ubyte v0, v[2:3], off
	s_waitcnt vmcnt(0)
	v_and_b32_e32 v0, 1, v0
	v_cmp_eq_u32_e32 vcc, 1, v0
	s_xor_b64 s[2:3], vcc, -1
	s_orn2_b64 s[18:19], s[2:3], exec
.LBB227_3:
	v_lshlrev_b32_e32 v2, 9, v17
	v_ashrrev_i32_e32 v3, 31, v2
	v_lshlrev_b64 v[2:3], 2, v[2:3]
	v_mov_b32_e32 v0, s1
	v_add_co_u32_e32 v2, vcc, s0, v2
	v_and_b32_e32 v21, 63, v1
	v_addc_co_u32_e32 v0, vcc, v0, v3, vcc
	v_lshlrev_b32_e32 v1, 4, v21
	v_add_co_u32_e32 v8, vcc, v2, v1
	v_addc_co_u32_e32 v9, vcc, 0, v0, vcc
	global_load_dwordx4 v[0:3], v[8:9], off
	global_load_dwordx4 v[4:7], v[8:9], off offset:1024
	v_mov_b32_e32 v8, 0x207
	s_load_dwordx2 s[10:11], s[4:5], 0x40
	v_lshlrev_b32_e32 v22, 2, v21
	s_waitcnt lgkmcnt(0)
	s_cmp_eq_u64 s[10:11], 0
	s_waitcnt vmcnt(1)
	v_mul_f32_e32 v0, 0xbfb8aa3b, v0
	v_mul_f32_e32 v1, 0xbfb8aa3b, v1
	v_exp_f32_e32 v0, v0
	v_exp_f32_e32 v1, v1
	s_waitcnt vmcnt(0)
	v_mul_f32_e32 v4, 0xbfb8aa3b, v4
	v_mul_f32_e32 v5, 0xbfb8aa3b, v5
	v_exp_f32_e32 v4, v4
	v_exp_f32_e32 v5, v5
	v_mul_f32_e32 v2, 0xbfb8aa3b, v2
	v_mul_f32_e32 v3, 0xbfb8aa3b, v3
	v_exp_f32_e32 v2, v2
	v_exp_f32_e32 v3, v3
	v_pk_add_f32 v[0:1], v[0:1], 1.0 op_sel_hi:[1,0]
	v_div_scale_f32 v9, s[0:1], v1, v1, 1.0
	v_pk_add_f32 v[4:5], v[4:5], 1.0 op_sel_hi:[1,0]
	v_rcp_f32_e32 v19, v9
	v_div_scale_f32 v11, s[0:1], v0, v0, 1.0
	v_div_scale_f32 v18, s[12:13], v5, v5, 1.0
	v_pk_add_f32 v[2:3], v[2:3], 1.0 op_sel_hi:[1,0]
	v_rcp_f32_e32 v20, v11
	v_rcp_f32_e32 v25, v18
	v_div_scale_f32 v13, s[2:3], v3, v3, 1.0
	v_rcp_f32_e32 v23, v13
	v_fma_f32 v26, -v9, v19, 1.0
	v_div_scale_f32 v10, vcc, 1.0, v1, 1.0
	v_div_scale_f32 v15, s[6:7], v2, v2, 1.0
	v_fmac_f32_e32 v19, v26, v19
	v_rcp_f32_e32 v24, v15
	v_fma_f32 v27, -v11, v20, 1.0
	v_fma_f32 v30, -v18, v25, 1.0
	v_mul_f32_e32 v26, v10, v19
	v_div_scale_f32 v12, s[0:1], 1.0, v0, 1.0
	v_fmac_f32_e32 v20, v27, v20
	v_fmac_f32_e32 v25, v30, v25
	v_fma_f32 v30, -v9, v26, v10
	v_fma_f32 v28, -v13, v23, 1.0
	v_mul_f32_e32 v27, v12, v20
	v_fmac_f32_e32 v26, v30, v19
	v_div_scale_f32 v14, s[2:3], 1.0, v3, 1.0
	v_fmac_f32_e32 v23, v28, v23
	v_fma_f32 v31, -v11, v27, v12
	v_fma_f32 v9, -v9, v26, v10
	v_fma_f32 v29, -v15, v24, 1.0
	v_mul_f32_e32 v28, v14, v23
	v_fmac_f32_e32 v27, v31, v20
	v_div_fmas_f32 v9, v9, v19, v26
	v_div_scale_f32 v16, s[6:7], 1.0, v2, 1.0
	v_fmac_f32_e32 v24, v29, v24
	v_fma_f32 v32, -v13, v28, v14
	v_fma_f32 v10, -v11, v27, v12
	v_div_fixup_f32 v1, v9, v1, 1.0
	s_mov_b64 vcc, s[0:1]
	v_mul_f32_e32 v29, v16, v24
	v_fmac_f32_e32 v28, v32, v23
	v_div_fmas_f32 v9, v10, v20, v27
	v_cmp_class_f32_e32 vcc, v1, v8
	v_fma_f32 v33, -v15, v29, v16
	v_fma_f32 v11, -v13, v28, v14
	v_div_fixup_f32 v0, v9, v0, 1.0
	v_cndmask_b32_e64 v1, v1, 0, vcc
	s_mov_b64 vcc, s[2:3]
	v_fmac_f32_e32 v29, v33, v24
	v_div_fmas_f32 v9, v11, v23, v28
	v_cmp_class_f32_e32 vcc, v0, v8
	v_fma_f32 v12, -v15, v29, v16
	v_cndmask_b32_e64 v0, v0, 0, vcc
	s_mov_b64 vcc, s[6:7]
	v_div_fixup_f32 v3, v9, v3, 1.0
	v_div_fmas_f32 v9, v12, v24, v29
	v_div_fixup_f32 v2, v9, v2, 1.0
	v_cmp_class_f32_e32 vcc, v3, v8
	v_cndmask_b32_e64 v3, v3, 0, vcc
	v_cmp_class_f32_e32 vcc, v2, v8
	v_cndmask_b32_e64 v2, v2, 0, vcc
	v_div_scale_f32 v9, vcc, 1.0, v5, 1.0
	v_mul_f32_e32 v10, v9, v25
	v_fma_f32 v11, -v18, v10, v9
	v_fmac_f32_e32 v10, v11, v25
	v_div_scale_f32 v11, s[0:1], v4, v4, 1.0
	v_rcp_f32_e32 v12, v11
	v_fma_f32 v9, -v18, v10, v9
	v_div_fmas_f32 v9, v9, v25, v10
	v_div_fixup_f32 v5, v9, v5, 1.0
	v_fma_f32 v9, -v11, v12, 1.0
	v_mul_f32_e32 v6, 0xbfb8aa3b, v6
	v_mul_f32_e32 v7, 0xbfb8aa3b, v7
	v_fmac_f32_e32 v12, v9, v12
	v_div_scale_f32 v9, vcc, 1.0, v4, 1.0
	v_exp_f32_e32 v6, v6
	v_exp_f32_e32 v7, v7
	v_mul_f32_e32 v10, v9, v12
	v_fma_f32 v13, -v11, v10, v9
	v_fmac_f32_e32 v10, v13, v12
	v_fma_f32 v9, -v11, v10, v9
	v_div_fmas_f32 v9, v9, v12, v10
	v_pk_add_f32 v[6:7], v[6:7], 1.0 op_sel_hi:[1,0]
	v_div_fixup_f32 v4, v9, v4, 1.0
	v_div_scale_f32 v9, s[0:1], v7, v7, 1.0
	v_rcp_f32_e32 v10, v9
	v_cmp_class_f32_e32 vcc, v5, v8
	v_cndmask_b32_e64 v5, v5, 0, vcc
	v_cmp_class_f32_e32 vcc, v4, v8
	v_fma_f32 v11, -v9, v10, 1.0
	v_cndmask_b32_e64 v4, v4, 0, vcc
	v_fmac_f32_e32 v10, v11, v10
	v_div_scale_f32 v11, vcc, 1.0, v7, 1.0
	v_mul_f32_e32 v12, v11, v10
	v_fma_f32 v13, -v9, v12, v11
	v_fmac_f32_e32 v12, v13, v10
	v_fma_f32 v9, -v9, v12, v11
	v_div_scale_f32 v11, s[0:1], v6, v6, 1.0
	v_rcp_f32_e32 v13, v11
	v_div_fmas_f32 v9, v9, v10, v12
	v_div_fixup_f32 v7, v9, v7, 1.0
	v_fma_f32 v9, -v11, v13, 1.0
	v_fmac_f32_e32 v13, v9, v13
	v_div_scale_f32 v9, vcc, 1.0, v6, 1.0
	v_mul_f32_e32 v10, v9, v13
	v_fma_f32 v12, -v11, v10, v9
	v_fmac_f32_e32 v10, v12, v13
	v_fma_f32 v9, -v11, v10, v9
	v_div_fmas_f32 v9, v9, v13, v10
	v_div_fixup_f32 v6, v9, v6, 1.0
	v_cmp_class_f32_e32 vcc, v7, v8
	v_cndmask_b32_e64 v7, v7, 0, vcc
	v_cmp_class_f32_e32 vcc, v6, v8
	v_cndmask_b32_e64 v6, v6, 0, vcc
	s_cbranch_scc1 .LBB227_35
; %bb.4:
	v_lshlrev_b32_e32 v16, 2, v22
	global_load_dwordx4 v[8:11], v16, s[10:11]
	global_load_dwordx4 v[12:15], v16, s[10:11] offset:1024
	s_waitcnt vmcnt(1)
	v_pk_add_f32 v[8:9], v[8:9], v[0:1]
	v_pk_add_f32 v[10:11], v[10:11], v[2:3]
	s_waitcnt vmcnt(0)
	v_pk_add_f32 v[12:13], v[12:13], v[4:5]
	v_pk_add_f32 v[14:15], v[14:15], v[6:7]
	s_cbranch_execnz .LBB227_6
.LBB227_5:
	v_pk_mov_b32 v[14:15], v[6:7], v[6:7] op_sel:[0,1]
	v_pk_mov_b32 v[12:13], v[4:5], v[4:5] op_sel:[0,1]
	;; [unrolled: 1-line block ×4, first 2 shown]
.LBB227_6:
	s_load_dwordx4 s[8:11], s[4:5], 0x30
	s_mov_b32 s25, 0
	v_cmp_eq_u32_e64 s[0:1], 0, v21
	s_waitcnt lgkmcnt(0)
	s_bitcmp1_b32 s11, 0
	s_cselect_b64 vcc, -1, 0
	s_cmp_gt_i32 s8, 0
	s_cselect_b64 s[20:21], -1, 0
	s_cmp_lt_i32 s8, 1
	s_cbranch_scc1 .LBB227_36
; %bb.7:
	v_mbcnt_lo_u32_b32 v16, -1, 0
	v_mbcnt_hi_u32_b32 v16, -1, v16
	v_and_b32_e32 v18, 64, v16
	v_add_u32_e32 v18, 64, v18
	v_xor_b32_e32 v19, 32, v16
	v_cmp_lt_i32_e64 s[2:3], v19, v18
	v_cndmask_b32_e64 v19, v16, v19, s[2:3]
	v_lshlrev_b32_e32 v25, 2, v19
	v_xor_b32_e32 v19, 16, v16
	v_cmp_lt_i32_e64 s[2:3], v19, v18
	v_cndmask_b32_e64 v19, v16, v19, s[2:3]
	v_lshlrev_b32_e32 v26, 2, v19
	;; [unrolled: 4-line block ×4, first 2 shown]
	v_xor_b32_e32 v19, 2, v16
	v_cmp_lt_i32_e64 s[2:3], v19, v18
	s_load_dwordx4 s[12:15], s[4:5], 0x20
	v_cndmask_b32_e64 v19, v16, v19, s[2:3]
	v_lshlrev_b32_e32 v29, 2, v19
	v_xor_b32_e32 v19, 1, v16
	v_cmp_lt_i32_e64 s[2:3], v19, v18
	v_cndmask_b32_e64 v16, v16, v19, s[2:3]
	v_mul_lo_u32 v24, v17, s8
	v_lshlrev_b32_e32 v30, 2, v16
	v_mov_b32_e32 v23, 0
	v_mov_b32_e32 v31, 0x100
	;; [unrolled: 1-line block ×3, first 2 shown]
	v_bfrev_b32_e32 v33, 4.0
	v_bfrev_b32_e32 v34, -4.0
	v_mov_b32_e32 v35, 0x200
	v_mov_b32_e32 v36, 0xc61c4000
	;; [unrolled: 1-line block ×3, first 2 shown]
	s_branch .LBB227_10
.LBB227_8:                              ;   in Loop: Header=BB227_10 Depth=1
	s_or_b64 exec, exec, s[4:5]
.LBB227_9:                              ;   in Loop: Header=BB227_10 Depth=1
	s_cmp_eq_u32 s8, s25
	v_add_u32_e32 v37, s24, v37
	s_cbranch_scc1 .LBB227_37
.LBB227_10:                             ; =>This Inner Loop Header: Depth=1
	v_cmp_gt_f32_e64 s[2:3], v9, v8
	s_waitcnt lgkmcnt(0)
	v_cndmask_b32_e64 v19, v8, v9, s[2:3]
	v_cndmask_b32_e64 v16, 0, 1, s[2:3]
	v_cndmask_b32_e64 v18, v0, v1, s[2:3]
	v_cmp_gt_f32_e64 s[2:3], v10, v19
	v_cndmask_b32_e64 v19, v19, v10, s[2:3]
	v_cndmask_b32_e64 v16, v16, 2, s[2:3]
	v_cndmask_b32_e64 v18, v18, v2, s[2:3]
	v_cmp_gt_f32_e64 s[2:3], v11, v19
	v_cndmask_b32_e64 v19, v19, v11, s[2:3]
	v_cndmask_b32_e64 v16, v16, 3, s[2:3]
	v_cndmask_b32_e64 v18, v18, v3, s[2:3]
	v_cmp_gt_f32_e64 s[2:3], v12, v19
	v_cndmask_b32_e64 v19, v19, v12, s[2:3]
	v_cndmask_b32_e64 v16, v16, v31, s[2:3]
	v_cndmask_b32_e64 v18, v18, v4, s[2:3]
	v_cmp_gt_f32_e64 s[2:3], v13, v19
	v_cndmask_b32_e64 v19, v19, v13, s[2:3]
	v_cndmask_b32_e64 v16, v16, v32, s[2:3]
	v_cndmask_b32_e64 v18, v18, v5, s[2:3]
	v_cmp_gt_f32_e64 s[2:3], v14, v19
	v_cndmask_b32_e64 v19, v19, v14, s[2:3]
	v_cndmask_b32_e64 v16, v16, v33, s[2:3]
	v_cndmask_b32_e64 v18, v18, v6, s[2:3]
	v_cmp_gt_f32_e64 s[2:3], v15, v19
	v_cndmask_b32_e64 v16, v16, v34, s[2:3]
	v_cndmask_b32_e64 v38, v19, v15, s[2:3]
	v_or_b32_e32 v39, v22, v16
	v_cndmask_b32_e64 v16, v18, v7, s[2:3]
	ds_bpermute_b32 v41, v25, v38
	ds_bpermute_b32 v20, v25, v16
	;; [unrolled: 1-line block ×3, first 2 shown]
                                        ; implicit-def: $vgpr18_vgpr19
	s_waitcnt lgkmcnt(0)
	v_cmp_lt_f32_e64 s[6:7], v38, v41
	v_cmp_nlt_f32_e64 s[2:3], v38, v41
	s_and_saveexec_b64 s[22:23], s[2:3]
; %bb.11:                               ;   in Loop: Header=BB227_10 Depth=1
	v_cmp_eq_f32_e64 s[2:3], v38, v41
	v_cmp_lt_i32_e64 s[4:5], v40, v39
	s_and_b64 s[2:3], s[2:3], s[4:5]
	s_andn2_b64 s[4:5], s[6:7], exec
	s_and_b64 s[2:3], s[2:3], exec
	s_or_b64 s[6:7], s[4:5], s[2:3]
	v_pk_mov_b32 v[18:19], v[16:17], v[16:17] op_sel:[0,1]
; %bb.12:                               ;   in Loop: Header=BB227_10 Depth=1
	s_or_b64 exec, exec, s[22:23]
	s_and_saveexec_b64 s[2:3], s[6:7]
; %bb.13:                               ;   in Loop: Header=BB227_10 Depth=1
	v_mov_b32_e32 v38, v41
	v_mov_b32_e32 v16, v20
	;; [unrolled: 1-line block ×3, first 2 shown]
	v_pk_mov_b32 v[18:19], v[20:21], v[20:21] op_sel:[0,1]
; %bb.14:                               ;   in Loop: Header=BB227_10 Depth=1
	s_or_b64 exec, exec, s[2:3]
	ds_bpermute_b32 v40, v26, v38
	ds_bpermute_b32 v20, v26, v16
	;; [unrolled: 1-line block ×3, first 2 shown]
	s_waitcnt lgkmcnt(2)
	v_cmp_lt_f32_e64 s[6:7], v38, v40
	v_cmp_nlt_f32_e64 s[2:3], v38, v40
	s_and_saveexec_b64 s[22:23], s[2:3]
	s_cbranch_execz .LBB227_16
; %bb.15:                               ;   in Loop: Header=BB227_10 Depth=1
	v_cmp_eq_f32_e64 s[2:3], v38, v40
	s_waitcnt lgkmcnt(0)
	v_cmp_lt_i32_e64 s[4:5], v19, v39
	s_and_b64 s[2:3], s[2:3], s[4:5]
	s_andn2_b64 s[4:5], s[6:7], exec
	s_and_b64 s[2:3], s[2:3], exec
	s_or_b64 s[6:7], s[4:5], s[2:3]
.LBB227_16:                             ;   in Loop: Header=BB227_10 Depth=1
	s_or_b64 exec, exec, s[22:23]
	s_and_saveexec_b64 s[2:3], s[6:7]
	s_cbranch_execz .LBB227_18
; %bb.17:                               ;   in Loop: Header=BB227_10 Depth=1
	v_mov_b32_e32 v38, v40
	s_waitcnt lgkmcnt(1)
	v_mov_b32_e32 v16, v20
	s_waitcnt lgkmcnt(0)
	v_mov_b32_e32 v39, v19
	v_pk_mov_b32 v[18:19], v[20:21], v[20:21] op_sel:[0,1]
.LBB227_18:                             ;   in Loop: Header=BB227_10 Depth=1
	s_or_b64 exec, exec, s[2:3]
	ds_bpermute_b32 v40, v27, v38
	s_waitcnt lgkmcnt(2)
	ds_bpermute_b32 v20, v27, v16
	s_waitcnt lgkmcnt(2)
	ds_bpermute_b32 v19, v27, v39
	s_waitcnt lgkmcnt(2)
	v_cmp_lt_f32_e64 s[6:7], v38, v40
	v_cmp_nlt_f32_e64 s[2:3], v38, v40
	s_and_saveexec_b64 s[22:23], s[2:3]
	s_cbranch_execz .LBB227_20
; %bb.19:                               ;   in Loop: Header=BB227_10 Depth=1
	v_cmp_eq_f32_e64 s[2:3], v38, v40
	s_waitcnt lgkmcnt(0)
	v_cmp_lt_i32_e64 s[4:5], v19, v39
	s_and_b64 s[2:3], s[2:3], s[4:5]
	s_andn2_b64 s[4:5], s[6:7], exec
	s_and_b64 s[2:3], s[2:3], exec
	s_or_b64 s[6:7], s[4:5], s[2:3]
.LBB227_20:                             ;   in Loop: Header=BB227_10 Depth=1
	s_or_b64 exec, exec, s[22:23]
	s_and_saveexec_b64 s[2:3], s[6:7]
	s_cbranch_execz .LBB227_22
; %bb.21:                               ;   in Loop: Header=BB227_10 Depth=1
	v_mov_b32_e32 v38, v40
	s_waitcnt lgkmcnt(1)
	v_mov_b32_e32 v16, v20
	s_waitcnt lgkmcnt(0)
	v_mov_b32_e32 v39, v19
	v_pk_mov_b32 v[18:19], v[20:21], v[20:21] op_sel:[0,1]
.LBB227_22:                             ;   in Loop: Header=BB227_10 Depth=1
	s_or_b64 exec, exec, s[2:3]
	ds_bpermute_b32 v40, v28, v38
	s_waitcnt lgkmcnt(2)
	ds_bpermute_b32 v20, v28, v16
	s_waitcnt lgkmcnt(2)
	ds_bpermute_b32 v19, v28, v39
	;; [unrolled: 31-line block ×3, first 2 shown]
	s_waitcnt lgkmcnt(2)
	v_cmp_lt_f32_e64 s[6:7], v38, v40
	v_cmp_nlt_f32_e64 s[2:3], v38, v40
	s_and_saveexec_b64 s[22:23], s[2:3]
	s_cbranch_execz .LBB227_28
; %bb.27:                               ;   in Loop: Header=BB227_10 Depth=1
	v_cmp_eq_f32_e64 s[2:3], v38, v40
	s_waitcnt lgkmcnt(0)
	v_cmp_lt_i32_e64 s[4:5], v19, v39
	s_and_b64 s[2:3], s[2:3], s[4:5]
	s_andn2_b64 s[4:5], s[6:7], exec
	s_and_b64 s[2:3], s[2:3], exec
	s_or_b64 s[6:7], s[4:5], s[2:3]
.LBB227_28:                             ;   in Loop: Header=BB227_10 Depth=1
	s_or_b64 exec, exec, s[22:23]
	s_and_saveexec_b64 s[2:3], s[6:7]
	s_cbranch_execz .LBB227_30
; %bb.29:                               ;   in Loop: Header=BB227_10 Depth=1
	v_mov_b32_e32 v38, v40
	s_waitcnt lgkmcnt(1)
	v_mov_b32_e32 v16, v20
	s_waitcnt lgkmcnt(0)
	v_mov_b32_e32 v39, v19
	v_pk_mov_b32 v[18:19], v[20:21], v[20:21] op_sel:[0,1]
.LBB227_30:                             ;   in Loop: Header=BB227_10 Depth=1
	s_or_b64 exec, exec, s[2:3]
	s_waitcnt lgkmcnt(1)
	ds_bpermute_b32 v20, v30, v38
	ds_bpermute_b32 v40, v30, v39
	s_waitcnt lgkmcnt(2)
	ds_bpermute_b32 v19, v30, v16
	s_waitcnt lgkmcnt(2)
	v_cmp_eq_f32_e64 s[4:5], v38, v20
	s_waitcnt lgkmcnt(1)
	v_cmp_lt_i32_e64 s[6:7], v40, v39
	v_cmp_lt_f32_e64 s[2:3], v38, v20
	s_and_b64 s[4:5], s[4:5], s[6:7]
	s_or_b64 s[2:3], s[2:3], s[4:5]
	v_cndmask_b32_e64 v16, v39, v40, s[2:3]
	s_and_saveexec_b64 s[6:7], s[0:1]
	s_cbranch_execnz .LBB227_32
; %bb.31:                               ;   in Loop: Header=BB227_10 Depth=1
	s_or_b64 exec, exec, s[6:7]
	s_add_i32 s25, s25, 1
	s_cmp_ge_i32 s25, s8
	s_cbranch_scc1 .LBB227_9
	s_branch .LBB227_33
.LBB227_32:                             ;   in Loop: Header=BB227_10 Depth=1
	s_waitcnt lgkmcnt(0)
	v_cndmask_b32_e64 v20, v18, v19, s[2:3]
	v_add_u32_e32 v18, s25, v24
	v_ashrrev_i32_e32 v19, 31, v18
	v_cmp_le_i32_e64 s[2:3], s9, v16
	v_cmp_gt_i32_e64 s[4:5], s10, v16
	v_lshlrev_b64 v[18:19], 2, v[18:19]
	s_and_b64 s[4:5], s[2:3], s[4:5]
	v_mov_b32_e32 v39, s17
	v_add_co_u32_e64 v38, s[2:3], s16, v18
	v_addc_co_u32_e64 v39, s[2:3], v39, v19, s[2:3]
	global_store_dword v[38:39], v20, off
	v_subrev_u32_e32 v38, s9, v16
	s_and_b64 s[2:3], s[18:19], s[4:5]
	v_cndmask_b32_e64 v40, v35, v38, s[2:3]
	v_mov_b32_e32 v39, s13
	v_add_co_u32_e64 v38, s[2:3], s12, v18
	v_addc_co_u32_e64 v39, s[2:3], v39, v19, s[2:3]
	global_store_dword v[38:39], v40, off
	v_mov_b32_e32 v38, s15
	v_add_co_u32_e64 v18, s[2:3], s14, v18
	v_addc_co_u32_e64 v19, s[2:3], v38, v19, s[2:3]
	global_store_dword v[18:19], v37, off
	v_add_f32_e32 v18, v23, v20
	v_cndmask_b32_e32 v23, v23, v18, vcc
	s_or_b64 exec, exec, s[6:7]
	s_add_i32 s25, s25, 1
	s_cmp_ge_i32 s25, s8
	s_cbranch_scc1 .LBB227_9
.LBB227_33:                             ;   in Loop: Header=BB227_10 Depth=1
	v_ashrrev_i32_e32 v18, 31, v16
	s_waitcnt lgkmcnt(0)
	v_lshrrev_b32_e32 v19, 30, v18
	v_add_u32_e32 v20, v16, v19
	v_ashrrev_i32_e32 v19, 2, v20
	v_ashrrev_i32_e32 v20, 31, v20
	v_lshrrev_b32_e32 v20, 26, v20
	v_add_u32_e32 v20, v19, v20
	v_and_b32_e32 v20, 0xffffffc0, v20
	v_sub_u32_e32 v20, v19, v20
	v_cmp_eq_u32_e64 s[2:3], v21, v20
	s_and_saveexec_b64 s[4:5], s[2:3]
	s_cbranch_execz .LBB227_8
; %bb.34:                               ;   in Loop: Header=BB227_10 Depth=1
	v_add_u32_sdwa v18, v16, v18 dst_sel:DWORD dst_unused:UNUSED_PAD src0_sel:DWORD src1_sel:BYTE_3
	v_lshlrev_b32_e32 v19, 2, v19
	v_ashrrev_i32_e32 v18, 8, v18
	v_sub_u32_e32 v16, v16, v19
	v_lshl_add_u32 v16, v18, 2, v16
	v_cmp_ne_u32_e64 s[2:3], 7, v16
	v_cndmask_b32_e64 v15, v36, v15, s[2:3]
	v_cmp_ne_u32_e64 s[2:3], 6, v16
	v_cndmask_b32_e64 v14, v36, v14, s[2:3]
	;; [unrolled: 2-line block ×8, first 2 shown]
	s_branch .LBB227_8
.LBB227_35:
                                        ; implicit-def: $vgpr8_vgpr9_vgpr10_vgpr11_vgpr12_vgpr13_vgpr14_vgpr15
	s_andn2_b64 vcc, exec, s[8:9]
	s_cbranch_vccz .LBB227_5
	s_branch .LBB227_6
.LBB227_36:
	v_mov_b32_e32 v23, 0
.LBB227_37:
	v_cmp_eq_u32_e64 s[0:1], 0, v21
	s_and_b64 s[0:1], s[0:1], vcc
	s_and_b64 exec, exec, s[0:1]
	s_cbranch_execz .LBB227_46
; %bb.38:
	s_andn2_b64 vcc, exec, s[20:21]
	s_cbranch_vccnz .LBB227_46
; %bb.39:
	v_cmp_lt_f32_e32 vcc, 0, v23
	s_mov_b32 s2, 0
	v_cndmask_b32_e32 v0, 1.0, v23, vcc
	v_mul_lo_u32 v4, v17, s8
	s_cmp_eq_u32 s8, 1
	s_mov_b64 s[0:1], -1
	s_cbranch_scc1 .LBB227_43
; %bb.40:
	s_and_b32 s2, s8, 0x7ffffffe
	v_mov_b32_e32 v1, v0
	v_mov_b32_e32 v5, s17
	s_mov_b32 s3, s2
	v_mov_b32_e32 v2, v4
.LBB227_41:                             ; =>This Inner Loop Header: Depth=1
	v_ashrrev_i32_e32 v3, 31, v2
	v_lshlrev_b64 v[6:7], 2, v[2:3]
	v_add_co_u32_e32 v6, vcc, s16, v6
	v_addc_co_u32_e32 v7, vcc, v5, v7, vcc
	global_load_dwordx2 v[8:9], v[6:7], off
	s_add_i32 s3, s3, -2
	s_cmp_lg_u32 s3, 0
	v_add_u32_e32 v2, 2, v2
	s_waitcnt vmcnt(0)
	v_div_scale_f32 v3, s[0:1], v1, v1, v9
	v_div_scale_f32 v11, s[0:1], v0, v0, v8
	v_rcp_f32_e32 v12, v3
	v_rcp_f32_e32 v13, v11
	v_div_scale_f32 v10, vcc, v9, v1, v9
	v_fma_f32 v15, -v3, v12, 1.0
	v_fma_f32 v16, -v11, v13, 1.0
	v_fmac_f32_e32 v12, v15, v12
	v_div_scale_f32 v14, s[0:1], v8, v0, v8
	v_fmac_f32_e32 v13, v16, v13
	v_mul_f32_e32 v15, v10, v12
	v_mul_f32_e32 v16, v14, v13
	v_fma_f32 v17, -v3, v15, v10
	v_fma_f32 v18, -v11, v16, v14
	v_fmac_f32_e32 v15, v17, v12
	v_fmac_f32_e32 v16, v18, v13
	v_fma_f32 v3, -v3, v15, v10
	v_fma_f32 v10, -v11, v16, v14
	v_div_fmas_f32 v3, v3, v12, v15
	s_mov_b64 vcc, s[0:1]
	v_div_fixup_f32 v9, v3, v1, v9
	v_div_fmas_f32 v3, v10, v13, v16
	v_div_fixup_f32 v8, v3, v0, v8
	global_store_dwordx2 v[6:7], v[8:9], off
	s_cbranch_scc1 .LBB227_41
; %bb.42:
	s_cmp_lg_u32 s2, s8
	s_cselect_b64 s[0:1], -1, 0
.LBB227_43:
	s_and_b64 vcc, exec, s[0:1]
	s_cbranch_vccz .LBB227_46
; %bb.44:
	v_ashrrev_i32_e32 v1, 31, v4
	v_add_co_u32_e32 v2, vcc, s2, v4
	v_addc_co_u32_e32 v3, vcc, 0, v1, vcc
	v_lshlrev_b64 v[2:3], 2, v[2:3]
	v_mov_b32_e32 v1, s17
	v_add_co_u32_e32 v2, vcc, s16, v2
	s_sub_i32 s0, s8, s2
	v_addc_co_u32_e32 v3, vcc, v1, v3, vcc
.LBB227_45:                             ; =>This Inner Loop Header: Depth=1
	global_load_dword v1, v[2:3], off
	s_add_i32 s0, s0, -1
	s_cmp_lg_u32 s0, 0
	s_waitcnt vmcnt(0)
	v_div_scale_f32 v4, s[2:3], v0, v0, v1
	v_rcp_f32_e32 v5, v4
	v_div_scale_f32 v6, vcc, v1, v0, v1
	v_fma_f32 v7, -v4, v5, 1.0
	v_fmac_f32_e32 v5, v7, v5
	v_mul_f32_e32 v7, v6, v5
	v_fma_f32 v8, -v4, v7, v6
	v_fmac_f32_e32 v7, v8, v5
	v_fma_f32 v4, -v4, v7, v6
	v_div_fmas_f32 v4, v4, v5, v7
	v_div_fixup_f32 v1, v4, v0, v1
	global_store_dword v[2:3], v1, off
	v_add_co_u32_e32 v2, vcc, 4, v2
	v_addc_co_u32_e32 v3, vcc, 0, v3, vcc
	s_cbranch_scc1 .LBB227_45
.LBB227_46:
	s_endpgm
	.section	.rodata,"a",@progbits
	.p2align	6, 0x0
	.amdhsa_kernel _ZN4vllm3moe10topkGatingILi8ELi512ELi4ELi16ELi64EjfLNS0_11ScoringFuncE1EEEvPKT5_PKbPfiPT4_PiiiibPKf
		.amdhsa_group_segment_fixed_size 0
		.amdhsa_private_segment_fixed_size 0
		.amdhsa_kernarg_size 72
		.amdhsa_user_sgpr_count 6
		.amdhsa_user_sgpr_private_segment_buffer 1
		.amdhsa_user_sgpr_dispatch_ptr 0
		.amdhsa_user_sgpr_queue_ptr 0
		.amdhsa_user_sgpr_kernarg_segment_ptr 1
		.amdhsa_user_sgpr_dispatch_id 0
		.amdhsa_user_sgpr_flat_scratch_init 0
		.amdhsa_user_sgpr_kernarg_preload_length 0
		.amdhsa_user_sgpr_kernarg_preload_offset 0
		.amdhsa_user_sgpr_private_segment_size 0
		.amdhsa_uses_dynamic_stack 0
		.amdhsa_system_sgpr_private_segment_wavefront_offset 0
		.amdhsa_system_sgpr_workgroup_id_x 1
		.amdhsa_system_sgpr_workgroup_id_y 0
		.amdhsa_system_sgpr_workgroup_id_z 0
		.amdhsa_system_sgpr_workgroup_info 0
		.amdhsa_system_vgpr_workitem_id 1
		.amdhsa_next_free_vgpr 42
		.amdhsa_next_free_sgpr 26
		.amdhsa_accum_offset 44
		.amdhsa_reserve_vcc 1
		.amdhsa_reserve_flat_scratch 0
		.amdhsa_float_round_mode_32 0
		.amdhsa_float_round_mode_16_64 0
		.amdhsa_float_denorm_mode_32 3
		.amdhsa_float_denorm_mode_16_64 3
		.amdhsa_dx10_clamp 1
		.amdhsa_ieee_mode 1
		.amdhsa_fp16_overflow 0
		.amdhsa_tg_split 0
		.amdhsa_exception_fp_ieee_invalid_op 0
		.amdhsa_exception_fp_denorm_src 0
		.amdhsa_exception_fp_ieee_div_zero 0
		.amdhsa_exception_fp_ieee_overflow 0
		.amdhsa_exception_fp_ieee_underflow 0
		.amdhsa_exception_fp_ieee_inexact 0
		.amdhsa_exception_int_div_zero 0
	.end_amdhsa_kernel
	.section	.text._ZN4vllm3moe10topkGatingILi8ELi512ELi4ELi16ELi64EjfLNS0_11ScoringFuncE1EEEvPKT5_PKbPfiPT4_PiiiibPKf,"axG",@progbits,_ZN4vllm3moe10topkGatingILi8ELi512ELi4ELi16ELi64EjfLNS0_11ScoringFuncE1EEEvPKT5_PKbPfiPT4_PiiiibPKf,comdat
.Lfunc_end227:
	.size	_ZN4vllm3moe10topkGatingILi8ELi512ELi4ELi16ELi64EjfLNS0_11ScoringFuncE1EEEvPKT5_PKbPfiPT4_PiiiibPKf, .Lfunc_end227-_ZN4vllm3moe10topkGatingILi8ELi512ELi4ELi16ELi64EjfLNS0_11ScoringFuncE1EEEvPKT5_PKbPfiPT4_PiiiibPKf
                                        ; -- End function
	.section	.AMDGPU.csdata,"",@progbits
; Kernel info:
; codeLenInByte = 3320
; NumSgprs: 30
; NumVgprs: 42
; NumAgprs: 0
; TotalNumVgprs: 42
; ScratchSize: 0
; MemoryBound: 0
; FloatMode: 240
; IeeeMode: 1
; LDSByteSize: 0 bytes/workgroup (compile time only)
; SGPRBlocks: 3
; VGPRBlocks: 5
; NumSGPRsForWavesPerEU: 30
; NumVGPRsForWavesPerEU: 42
; AccumOffset: 44
; Occupancy: 8
; WaveLimiterHint : 1
; COMPUTE_PGM_RSRC2:SCRATCH_EN: 0
; COMPUTE_PGM_RSRC2:USER_SGPR: 6
; COMPUTE_PGM_RSRC2:TRAP_HANDLER: 0
; COMPUTE_PGM_RSRC2:TGID_X_EN: 1
; COMPUTE_PGM_RSRC2:TGID_Y_EN: 0
; COMPUTE_PGM_RSRC2:TGID_Z_EN: 0
; COMPUTE_PGM_RSRC2:TIDIG_COMP_CNT: 1
; COMPUTE_PGM_RSRC3_GFX90A:ACCUM_OFFSET: 10
; COMPUTE_PGM_RSRC3_GFX90A:TG_SPLIT: 0
	.section	.text._ZN4vllm3moe10topkGatingILi16ELi512ELi4ELi16ELi32EjfLNS0_11ScoringFuncE1EEEvPKT5_PKbPfiPT4_PiiiibPKf,"axG",@progbits,_ZN4vllm3moe10topkGatingILi16ELi512ELi4ELi16ELi32EjfLNS0_11ScoringFuncE1EEEvPKT5_PKbPfiPT4_PiiiibPKf,comdat
	.protected	_ZN4vllm3moe10topkGatingILi16ELi512ELi4ELi16ELi32EjfLNS0_11ScoringFuncE1EEEvPKT5_PKbPfiPT4_PiiiibPKf ; -- Begin function _ZN4vllm3moe10topkGatingILi16ELi512ELi4ELi16ELi32EjfLNS0_11ScoringFuncE1EEEvPKT5_PKbPfiPT4_PiiiibPKf
	.globl	_ZN4vllm3moe10topkGatingILi16ELi512ELi4ELi16ELi32EjfLNS0_11ScoringFuncE1EEEvPKT5_PKbPfiPT4_PiiiibPKf
	.p2align	8
	.type	_ZN4vllm3moe10topkGatingILi16ELi512ELi4ELi16ELi32EjfLNS0_11ScoringFuncE1EEEvPKT5_PKbPfiPT4_PiiiibPKf,@function
_ZN4vllm3moe10topkGatingILi16ELi512ELi4ELi16ELi32EjfLNS0_11ScoringFuncE1EEEvPKT5_PKbPfiPT4_PiiiibPKf: ; @_ZN4vllm3moe10topkGatingILi16ELi512ELi4ELi16ELi32EjfLNS0_11ScoringFuncE1EEEvPKT5_PKbPfiPT4_PiiiibPKf
; %bb.0:
	s_load_dword s24, s[4:5], 0x18
	v_and_b32_e32 v1, 0x3ff, v0
	s_lshl_b32 s0, s6, 2
	v_lshrrev_b32_e32 v2, 5, v1
	v_bfe_u32 v0, v0, 10, 10
	v_add3_u32 v33, s0, v0, v2
	s_waitcnt lgkmcnt(0)
	v_cmp_gt_i32_e32 vcc, s24, v33
	s_and_saveexec_b64 s[0:1], vcc
	s_cbranch_execz .LBB228_42
; %bb.1:
	s_load_dwordx4 s[0:3], s[4:5], 0x0
	s_load_dwordx2 s[16:17], s[4:5], 0x10
	s_mov_b64 s[6:7], -1
	s_mov_b64 s[18:19], -1
	s_waitcnt lgkmcnt(0)
	s_cmp_eq_u64 s[2:3], 0
	s_cbranch_scc1 .LBB228_3
; %bb.2:
	v_ashrrev_i32_e32 v0, 31, v33
	v_mov_b32_e32 v3, s3
	v_add_co_u32_e32 v2, vcc, s2, v33
	v_addc_co_u32_e32 v3, vcc, v3, v0, vcc
	global_load_ubyte v0, v[2:3], off
	s_waitcnt vmcnt(0)
	v_and_b32_e32 v0, 1, v0
	v_cmp_eq_u32_e32 vcc, 1, v0
	s_xor_b64 s[2:3], vcc, -1
	s_orn2_b64 s[18:19], s[2:3], exec
.LBB228_3:
	v_lshlrev_b32_e32 v2, 9, v33
	v_ashrrev_i32_e32 v3, 31, v2
	v_lshlrev_b64 v[2:3], 2, v[2:3]
	v_mov_b32_e32 v0, s1
	v_add_co_u32_e32 v2, vcc, s0, v2
	v_and_b32_e32 v37, 31, v1
	v_addc_co_u32_e32 v0, vcc, v0, v3, vcc
	v_lshlrev_b32_e32 v1, 4, v37
	v_add_co_u32_e32 v16, vcc, v2, v1
	v_addc_co_u32_e32 v17, vcc, 0, v0, vcc
	global_load_dwordx4 v[0:3], v[16:17], off
	global_load_dwordx4 v[4:7], v[16:17], off offset:512
	global_load_dwordx4 v[8:11], v[16:17], off offset:1024
	;; [unrolled: 1-line block ×3, first 2 shown]
	v_mov_b32_e32 v16, 0x207
	s_load_dwordx2 s[8:9], s[4:5], 0x40
	v_lshlrev_b32_e32 v38, 2, v37
	s_waitcnt lgkmcnt(0)
	s_cmp_eq_u64 s[8:9], 0
	s_waitcnt vmcnt(3)
	v_mul_f32_e32 v0, 0xbfb8aa3b, v0
	v_mul_f32_e32 v1, 0xbfb8aa3b, v1
	v_exp_f32_e32 v0, v0
	v_exp_f32_e32 v1, v1
	v_mul_f32_e32 v2, 0xbfb8aa3b, v2
	v_mul_f32_e32 v3, 0xbfb8aa3b, v3
	v_exp_f32_e32 v2, v2
	v_exp_f32_e32 v3, v3
	s_waitcnt vmcnt(1)
	v_mul_f32_e32 v10, 0xbfb8aa3b, v10
	s_waitcnt vmcnt(0)
	v_mul_f32_e32 v12, 0xbfb8aa3b, v12
	v_mul_f32_e32 v17, 0xbfb8aa3b, v14
	v_pk_add_f32 v[0:1], v[0:1], 1.0 op_sel_hi:[1,0]
	v_exp_f32_e32 v14, v10
	v_exp_f32_e32 v10, v12
	;; [unrolled: 1-line block ×3, first 2 shown]
	v_div_scale_f32 v17, s[0:1], v1, v1, 1.0
	v_pk_add_f32 v[2:3], v[2:3], 1.0 op_sel_hi:[1,0]
	v_rcp_f32_e32 v24, v17
	v_div_scale_f32 v19, s[0:1], v0, v0, 1.0
	v_div_scale_f32 v23, s[10:11], v2, v2, 1.0
	v_rcp_f32_e32 v25, v19
	v_rcp_f32_e32 v27, v23
	v_div_scale_f32 v21, s[2:3], v3, v3, 1.0
	v_mul_f32_e32 v11, 0xbfb8aa3b, v11
	v_mul_f32_e32 v13, 0xbfb8aa3b, v13
	;; [unrolled: 1-line block ×3, first 2 shown]
	v_rcp_f32_e32 v26, v21
	v_fma_f32 v28, -v17, v24, 1.0
	v_exp_f32_e32 v15, v11
	v_exp_f32_e32 v11, v13
	;; [unrolled: 1-line block ×3, first 2 shown]
	v_div_scale_f32 v18, vcc, 1.0, v1, 1.0
	v_fmac_f32_e32 v24, v28, v24
	v_fma_f32 v29, -v19, v25, 1.0
	v_fma_f32 v31, -v23, v27, 1.0
	v_mul_f32_e32 v28, v18, v24
	v_div_scale_f32 v20, s[0:1], 1.0, v0, 1.0
	v_fmac_f32_e32 v25, v29, v25
	v_fmac_f32_e32 v27, v31, v27
	v_fma_f32 v31, -v17, v28, v18
	v_fma_f32 v30, -v21, v26, 1.0
	v_mul_f32_e32 v29, v20, v25
	v_fmac_f32_e32 v28, v31, v24
	v_div_scale_f32 v22, s[2:3], 1.0, v3, 1.0
	v_fmac_f32_e32 v26, v30, v26
	v_fma_f32 v32, -v19, v29, v20
	v_fma_f32 v17, -v17, v28, v18
	v_mul_f32_e32 v30, v22, v26
	v_fmac_f32_e32 v29, v32, v25
	v_div_fmas_f32 v17, v17, v24, v28
	v_fma_f32 v34, -v21, v30, v22
	v_fma_f32 v18, -v19, v29, v20
	v_div_fixup_f32 v1, v17, v1, 1.0
	s_mov_b64 vcc, s[0:1]
	v_fmac_f32_e32 v30, v34, v26
	v_div_fmas_f32 v17, v18, v25, v29
	v_cmp_class_f32_e32 vcc, v1, v16
	v_fma_f32 v19, -v21, v30, v22
	v_div_fixup_f32 v0, v17, v0, 1.0
	v_cndmask_b32_e64 v1, v1, 0, vcc
	s_mov_b64 vcc, s[2:3]
	v_div_fmas_f32 v17, v19, v26, v30
	v_cmp_class_f32_e32 vcc, v0, v16
	v_mul_f32_e32 v4, 0xbfb8aa3b, v4
	v_mul_f32_e32 v5, 0xbfb8aa3b, v5
	v_cndmask_b32_e64 v0, v0, 0, vcc
	v_div_fixup_f32 v3, v17, v3, 1.0
	v_div_scale_f32 v17, vcc, 1.0, v2, 1.0
	v_exp_f32_e32 v4, v4
	v_exp_f32_e32 v5, v5
	v_mul_f32_e32 v18, v17, v27
	v_fma_f32 v19, -v23, v18, v17
	v_fmac_f32_e32 v18, v19, v27
	v_fma_f32 v17, -v23, v18, v17
	v_div_fmas_f32 v17, v17, v27, v18
	v_pk_add_f32 v[4:5], v[4:5], 1.0 op_sel_hi:[1,0]
	v_div_fixup_f32 v2, v17, v2, 1.0
	v_div_scale_f32 v17, s[0:1], v5, v5, 1.0
	v_rcp_f32_e32 v18, v17
	v_cmp_class_f32_e32 vcc, v3, v16
	v_cndmask_b32_e64 v3, v3, 0, vcc
	v_cmp_class_f32_e32 vcc, v2, v16
	v_fma_f32 v19, -v17, v18, 1.0
	v_cndmask_b32_e64 v2, v2, 0, vcc
	v_fmac_f32_e32 v18, v19, v18
	v_div_scale_f32 v19, vcc, 1.0, v5, 1.0
	v_mul_f32_e32 v20, v19, v18
	v_fma_f32 v21, -v17, v20, v19
	v_fmac_f32_e32 v20, v21, v18
	v_fma_f32 v17, -v17, v20, v19
	v_div_scale_f32 v19, s[0:1], v4, v4, 1.0
	v_rcp_f32_e32 v21, v19
	v_div_fmas_f32 v17, v17, v18, v20
	v_div_fixup_f32 v5, v17, v5, 1.0
	v_mul_f32_e32 v6, 0xbfb8aa3b, v6
	v_fma_f32 v17, -v19, v21, 1.0
	v_mul_f32_e32 v7, 0xbfb8aa3b, v7
	v_fmac_f32_e32 v21, v17, v21
	v_div_scale_f32 v17, vcc, 1.0, v4, 1.0
	v_exp_f32_e32 v6, v6
	v_exp_f32_e32 v7, v7
	v_mul_f32_e32 v18, v17, v21
	v_fma_f32 v20, -v19, v18, v17
	v_fmac_f32_e32 v18, v20, v21
	v_fma_f32 v17, -v19, v18, v17
	v_div_fmas_f32 v17, v17, v21, v18
	v_pk_add_f32 v[6:7], v[6:7], 1.0 op_sel_hi:[1,0]
	v_div_fixup_f32 v4, v17, v4, 1.0
	v_div_scale_f32 v17, s[0:1], v7, v7, 1.0
	v_rcp_f32_e32 v18, v17
	v_cmp_class_f32_e32 vcc, v5, v16
	v_cndmask_b32_e64 v5, v5, 0, vcc
	v_cmp_class_f32_e32 vcc, v4, v16
	v_fma_f32 v19, -v17, v18, 1.0
	v_cndmask_b32_e64 v4, v4, 0, vcc
	v_fmac_f32_e32 v18, v19, v18
	v_div_scale_f32 v19, vcc, 1.0, v7, 1.0
	v_mul_f32_e32 v20, v19, v18
	v_fma_f32 v21, -v17, v20, v19
	v_fmac_f32_e32 v20, v21, v18
	v_fma_f32 v17, -v17, v20, v19
	v_div_scale_f32 v19, s[0:1], v6, v6, 1.0
	v_rcp_f32_e32 v21, v19
	v_div_fmas_f32 v17, v17, v18, v20
	v_div_fixup_f32 v7, v17, v7, 1.0
	v_mul_f32_e32 v8, 0xbfb8aa3b, v8
	v_fma_f32 v17, -v19, v21, 1.0
	v_mul_f32_e32 v9, 0xbfb8aa3b, v9
	v_fmac_f32_e32 v21, v17, v21
	v_div_scale_f32 v17, vcc, 1.0, v6, 1.0
	v_exp_f32_e32 v8, v8
	v_exp_f32_e32 v9, v9
	v_mul_f32_e32 v18, v17, v21
	v_fma_f32 v20, -v19, v18, v17
	v_fmac_f32_e32 v18, v20, v21
	v_fma_f32 v17, -v19, v18, v17
	v_div_fmas_f32 v17, v17, v21, v18
	v_pk_add_f32 v[8:9], v[8:9], 1.0 op_sel_hi:[1,0]
	v_div_fixup_f32 v6, v17, v6, 1.0
	v_div_scale_f32 v17, s[0:1], v9, v9, 1.0
	v_rcp_f32_e32 v18, v17
	v_cmp_class_f32_e32 vcc, v7, v16
	v_cndmask_b32_e64 v7, v7, 0, vcc
	v_cmp_class_f32_e32 vcc, v6, v16
	v_fma_f32 v19, -v17, v18, 1.0
	v_cndmask_b32_e64 v6, v6, 0, vcc
	v_fmac_f32_e32 v18, v19, v18
	v_div_scale_f32 v19, vcc, 1.0, v9, 1.0
	v_mul_f32_e32 v20, v19, v18
	v_fma_f32 v21, -v17, v20, v19
	v_fmac_f32_e32 v20, v21, v18
	v_fma_f32 v17, -v17, v20, v19
	v_div_scale_f32 v19, s[0:1], v8, v8, 1.0
	v_rcp_f32_e32 v21, v19
	v_div_fmas_f32 v17, v17, v18, v20
	v_div_fixup_f32 v9, v17, v9, 1.0
	v_pk_add_f32 v[14:15], v[14:15], 1.0 op_sel_hi:[1,0]
	v_fma_f32 v17, -v19, v21, 1.0
	v_fmac_f32_e32 v21, v17, v21
	v_div_scale_f32 v17, vcc, 1.0, v8, 1.0
	v_mul_f32_e32 v18, v17, v21
	v_fma_f32 v20, -v19, v18, v17
	v_fmac_f32_e32 v18, v20, v21
	v_fma_f32 v17, -v19, v18, v17
	v_div_fmas_f32 v17, v17, v21, v18
	v_div_fixup_f32 v8, v17, v8, 1.0
	v_div_scale_f32 v17, s[0:1], v15, v15, 1.0
	v_rcp_f32_e32 v18, v17
	v_cmp_class_f32_e32 vcc, v9, v16
	v_cndmask_b32_e64 v9, v9, 0, vcc
	v_cmp_class_f32_e32 vcc, v8, v16
	v_fma_f32 v19, -v17, v18, 1.0
	v_cndmask_b32_e64 v8, v8, 0, vcc
	v_fmac_f32_e32 v18, v19, v18
	v_div_scale_f32 v19, vcc, 1.0, v15, 1.0
	v_mul_f32_e32 v20, v19, v18
	v_fma_f32 v21, -v17, v20, v19
	v_fmac_f32_e32 v20, v21, v18
	v_fma_f32 v17, -v17, v20, v19
	v_div_scale_f32 v19, s[0:1], v14, v14, 1.0
	v_rcp_f32_e32 v21, v19
	v_div_fmas_f32 v17, v17, v18, v20
	v_div_fixup_f32 v17, v17, v15, 1.0
	v_fma_f32 v15, -v19, v21, 1.0
	v_fmac_f32_e32 v21, v15, v21
	v_div_scale_f32 v15, vcc, 1.0, v14, 1.0
	v_mul_f32_e32 v18, v15, v21
	v_fma_f32 v20, -v19, v18, v15
	v_fmac_f32_e32 v18, v20, v21
	v_fma_f32 v15, -v19, v18, v15
	v_div_fmas_f32 v15, v15, v21, v18
	v_div_fixup_f32 v18, v15, v14, 1.0
	v_pk_add_f32 v[14:15], v[10:11], 1.0 op_sel_hi:[1,0]
	v_div_scale_f32 v19, s[0:1], v15, v15, 1.0
	v_rcp_f32_e32 v20, v19
	v_cmp_class_f32_e32 vcc, v17, v16
	v_cndmask_b32_e64 v11, v17, 0, vcc
	v_cmp_class_f32_e32 vcc, v18, v16
	v_fma_f32 v17, -v19, v20, 1.0
	v_cndmask_b32_e64 v10, v18, 0, vcc
	v_fmac_f32_e32 v20, v17, v20
	v_div_scale_f32 v17, vcc, 1.0, v15, 1.0
	v_mul_f32_e32 v18, v17, v20
	v_fma_f32 v21, -v19, v18, v17
	v_fmac_f32_e32 v18, v21, v20
	v_fma_f32 v17, -v19, v18, v17
	v_div_scale_f32 v19, s[0:1], v14, v14, 1.0
	v_rcp_f32_e32 v21, v19
	v_div_fmas_f32 v17, v17, v20, v18
	v_div_fixup_f32 v17, v17, v15, 1.0
	v_fma_f32 v15, -v19, v21, 1.0
	v_fmac_f32_e32 v21, v15, v21
	v_div_scale_f32 v15, vcc, 1.0, v14, 1.0
	v_mul_f32_e32 v18, v15, v21
	v_fma_f32 v20, -v19, v18, v15
	v_fmac_f32_e32 v18, v20, v21
	v_fma_f32 v15, -v19, v18, v15
	v_div_fmas_f32 v15, v15, v21, v18
	v_div_fixup_f32 v18, v15, v14, 1.0
	v_pk_add_f32 v[14:15], v[12:13], 1.0 op_sel_hi:[1,0]
	v_div_scale_f32 v19, s[0:1], v15, v15, 1.0
	v_rcp_f32_e32 v20, v19
	v_cmp_class_f32_e32 vcc, v17, v16
	v_cndmask_b32_e64 v13, v17, 0, vcc
	v_cmp_class_f32_e32 vcc, v18, v16
	v_fma_f32 v17, -v19, v20, 1.0
	v_cndmask_b32_e64 v12, v18, 0, vcc
	v_fmac_f32_e32 v20, v17, v20
	v_div_scale_f32 v17, vcc, 1.0, v15, 1.0
	v_mul_f32_e32 v18, v17, v20
	v_fma_f32 v21, -v19, v18, v17
	v_fmac_f32_e32 v18, v21, v20
	v_fma_f32 v17, -v19, v18, v17
	v_div_scale_f32 v19, s[0:1], v14, v14, 1.0
	v_rcp_f32_e32 v21, v19
	v_div_fmas_f32 v17, v17, v20, v18
	v_div_fixup_f32 v15, v17, v15, 1.0
	v_fma_f32 v17, -v19, v21, 1.0
	v_fmac_f32_e32 v21, v17, v21
	v_div_scale_f32 v17, vcc, 1.0, v14, 1.0
	v_mul_f32_e32 v18, v17, v21
	v_fma_f32 v20, -v19, v18, v17
	v_fmac_f32_e32 v18, v20, v21
	v_fma_f32 v17, -v19, v18, v17
	v_div_fmas_f32 v17, v17, v21, v18
	v_div_fixup_f32 v14, v17, v14, 1.0
	v_cmp_class_f32_e32 vcc, v15, v16
	v_cndmask_b32_e64 v15, v15, 0, vcc
	v_cmp_class_f32_e32 vcc, v14, v16
	v_cndmask_b32_e64 v14, v14, 0, vcc
	s_cbranch_scc1 .LBB228_31
; %bb.4:
	v_lshlrev_b32_e32 v32, 2, v38
	global_load_dwordx4 v[16:19], v32, s[8:9]
	global_load_dwordx4 v[20:23], v32, s[8:9] offset:512
	global_load_dwordx4 v[24:27], v32, s[8:9] offset:1024
	;; [unrolled: 1-line block ×3, first 2 shown]
	s_waitcnt vmcnt(3)
	v_pk_add_f32 v[16:17], v[16:17], v[0:1]
	v_pk_add_f32 v[18:19], v[18:19], v[2:3]
	s_waitcnt vmcnt(2)
	v_pk_add_f32 v[20:21], v[20:21], v[4:5]
	v_pk_add_f32 v[22:23], v[22:23], v[6:7]
	;; [unrolled: 3-line block ×4, first 2 shown]
	s_cbranch_execnz .LBB228_6
.LBB228_5:
	v_pk_mov_b32 v[30:31], v[14:15], v[14:15] op_sel:[0,1]
	v_pk_mov_b32 v[28:29], v[12:13], v[12:13] op_sel:[0,1]
	;; [unrolled: 1-line block ×8, first 2 shown]
.LBB228_6:
	s_load_dwordx4 s[8:11], s[4:5], 0x30
	s_mov_b32 s25, 0
	v_cmp_eq_u32_e64 s[0:1], 0, v37
	s_waitcnt lgkmcnt(0)
	s_bitcmp1_b32 s11, 0
	s_cselect_b64 vcc, -1, 0
	s_cmp_gt_i32 s8, 0
	s_cselect_b64 s[20:21], -1, 0
	s_cmp_lt_i32 s8, 1
	s_cbranch_scc1 .LBB228_32
; %bb.7:
	v_mbcnt_lo_u32_b32 v32, -1, 0
	v_mbcnt_hi_u32_b32 v32, -1, v32
	v_and_b32_e32 v34, 0x60, v32
	v_add_u32_e32 v34, 32, v34
	v_xor_b32_e32 v35, 16, v32
	v_cmp_lt_i32_e64 s[2:3], v35, v34
	v_cndmask_b32_e64 v35, v32, v35, s[2:3]
	v_lshlrev_b32_e32 v41, 2, v35
	v_xor_b32_e32 v35, 8, v32
	v_cmp_lt_i32_e64 s[2:3], v35, v34
	v_cndmask_b32_e64 v35, v32, v35, s[2:3]
	v_lshlrev_b32_e32 v42, 2, v35
	;; [unrolled: 4-line block ×3, first 2 shown]
	v_xor_b32_e32 v35, 2, v32
	v_cmp_lt_i32_e64 s[2:3], v35, v34
	s_load_dwordx4 s[12:15], s[4:5], 0x20
	v_cndmask_b32_e64 v35, v32, v35, s[2:3]
	v_lshlrev_b32_e32 v44, 2, v35
	v_xor_b32_e32 v35, 1, v32
	v_cmp_lt_i32_e64 s[2:3], v35, v34
	v_cndmask_b32_e64 v32, v32, v35, s[2:3]
	v_mul_lo_u32 v40, v33, s8
	v_lshlrev_b32_e32 v45, 2, v32
	v_mov_b32_e32 v39, 0
	v_mov_b32_e32 v46, 0x81
	;; [unrolled: 1-line block ×6, first 2 shown]
	v_bfrev_b32_e32 v51, 4.0
	v_bfrev_b32_e32 v52, -4.0
	v_mov_b32_e32 v53, 0x180
	v_mov_b32_e32 v54, 0x181
	;; [unrolled: 1-line block ×7, first 2 shown]
	s_branch .LBB228_10
.LBB228_8:                              ;   in Loop: Header=BB228_10 Depth=1
	s_or_b64 exec, exec, s[4:5]
.LBB228_9:                              ;   in Loop: Header=BB228_10 Depth=1
	s_cmp_eq_u32 s8, s25
	v_add_u32_e32 v59, s24, v59
	s_cbranch_scc1 .LBB228_33
.LBB228_10:                             ; =>This Inner Loop Header: Depth=1
	v_cmp_gt_f32_e64 s[2:3], v17, v16
	s_waitcnt lgkmcnt(0)
	v_cndmask_b32_e64 v35, v16, v17, s[2:3]
	v_cndmask_b32_e64 v32, 0, 1, s[2:3]
	v_cndmask_b32_e64 v34, v0, v1, s[2:3]
	v_cmp_gt_f32_e64 s[2:3], v18, v35
	v_cndmask_b32_e64 v35, v35, v18, s[2:3]
	v_cndmask_b32_e64 v32, v32, 2, s[2:3]
	v_cndmask_b32_e64 v34, v34, v2, s[2:3]
	v_cmp_gt_f32_e64 s[2:3], v19, v35
	;; [unrolled: 4-line block ×3, first 2 shown]
	v_mov_b32_e32 v36, 0x80
	v_cndmask_b32_e64 v35, v35, v20, s[2:3]
	v_cndmask_b32_e64 v32, v32, v36, s[2:3]
	v_cndmask_b32_e64 v34, v34, v4, s[2:3]
	v_cmp_gt_f32_e64 s[2:3], v21, v35
	v_cndmask_b32_e64 v35, v35, v21, s[2:3]
	v_cndmask_b32_e64 v32, v32, v46, s[2:3]
	v_cndmask_b32_e64 v34, v34, v5, s[2:3]
	v_cmp_gt_f32_e64 s[2:3], v22, v35
	;; [unrolled: 4-line block ×11, first 2 shown]
	v_cndmask_b32_e64 v32, v32, v56, s[2:3]
	v_cndmask_b32_e64 v60, v35, v31, s[2:3]
	v_or_b32_e32 v61, v38, v32
	v_cndmask_b32_e64 v32, v34, v15, s[2:3]
	ds_bpermute_b32 v63, v41, v60
	ds_bpermute_b32 v36, v41, v32
	;; [unrolled: 1-line block ×3, first 2 shown]
                                        ; implicit-def: $vgpr34_vgpr35
	s_waitcnt lgkmcnt(0)
	v_cmp_lt_f32_e64 s[6:7], v60, v63
	v_cmp_nlt_f32_e64 s[2:3], v60, v63
	s_and_saveexec_b64 s[22:23], s[2:3]
; %bb.11:                               ;   in Loop: Header=BB228_10 Depth=1
	v_cmp_eq_f32_e64 s[2:3], v60, v63
	v_cmp_lt_i32_e64 s[4:5], v62, v61
	s_and_b64 s[2:3], s[2:3], s[4:5]
	s_andn2_b64 s[4:5], s[6:7], exec
	s_and_b64 s[2:3], s[2:3], exec
	s_or_b64 s[6:7], s[4:5], s[2:3]
	v_pk_mov_b32 v[34:35], v[32:33], v[32:33] op_sel:[0,1]
; %bb.12:                               ;   in Loop: Header=BB228_10 Depth=1
	s_or_b64 exec, exec, s[22:23]
	s_and_saveexec_b64 s[2:3], s[6:7]
; %bb.13:                               ;   in Loop: Header=BB228_10 Depth=1
	v_mov_b32_e32 v60, v63
	v_mov_b32_e32 v32, v36
	;; [unrolled: 1-line block ×3, first 2 shown]
	v_pk_mov_b32 v[34:35], v[36:37], v[36:37] op_sel:[0,1]
; %bb.14:                               ;   in Loop: Header=BB228_10 Depth=1
	s_or_b64 exec, exec, s[2:3]
	ds_bpermute_b32 v62, v42, v60
	ds_bpermute_b32 v36, v42, v32
	;; [unrolled: 1-line block ×3, first 2 shown]
	s_waitcnt lgkmcnt(2)
	v_cmp_lt_f32_e64 s[6:7], v60, v62
	v_cmp_nlt_f32_e64 s[2:3], v60, v62
	s_and_saveexec_b64 s[22:23], s[2:3]
	s_cbranch_execz .LBB228_16
; %bb.15:                               ;   in Loop: Header=BB228_10 Depth=1
	v_cmp_eq_f32_e64 s[2:3], v60, v62
	s_waitcnt lgkmcnt(0)
	v_cmp_lt_i32_e64 s[4:5], v35, v61
	s_and_b64 s[2:3], s[2:3], s[4:5]
	s_andn2_b64 s[4:5], s[6:7], exec
	s_and_b64 s[2:3], s[2:3], exec
	s_or_b64 s[6:7], s[4:5], s[2:3]
.LBB228_16:                             ;   in Loop: Header=BB228_10 Depth=1
	s_or_b64 exec, exec, s[22:23]
	s_and_saveexec_b64 s[2:3], s[6:7]
	s_cbranch_execz .LBB228_18
; %bb.17:                               ;   in Loop: Header=BB228_10 Depth=1
	v_mov_b32_e32 v60, v62
	s_waitcnt lgkmcnt(1)
	v_mov_b32_e32 v32, v36
	s_waitcnt lgkmcnt(0)
	v_mov_b32_e32 v61, v35
	v_pk_mov_b32 v[34:35], v[36:37], v[36:37] op_sel:[0,1]
.LBB228_18:                             ;   in Loop: Header=BB228_10 Depth=1
	s_or_b64 exec, exec, s[2:3]
	ds_bpermute_b32 v62, v43, v60
	s_waitcnt lgkmcnt(2)
	ds_bpermute_b32 v36, v43, v32
	s_waitcnt lgkmcnt(2)
	;; [unrolled: 2-line block ×3, first 2 shown]
	v_cmp_lt_f32_e64 s[6:7], v60, v62
	v_cmp_nlt_f32_e64 s[2:3], v60, v62
	s_and_saveexec_b64 s[22:23], s[2:3]
	s_cbranch_execz .LBB228_20
; %bb.19:                               ;   in Loop: Header=BB228_10 Depth=1
	v_cmp_eq_f32_e64 s[2:3], v60, v62
	s_waitcnt lgkmcnt(0)
	v_cmp_lt_i32_e64 s[4:5], v35, v61
	s_and_b64 s[2:3], s[2:3], s[4:5]
	s_andn2_b64 s[4:5], s[6:7], exec
	s_and_b64 s[2:3], s[2:3], exec
	s_or_b64 s[6:7], s[4:5], s[2:3]
.LBB228_20:                             ;   in Loop: Header=BB228_10 Depth=1
	s_or_b64 exec, exec, s[22:23]
	s_and_saveexec_b64 s[2:3], s[6:7]
	s_cbranch_execz .LBB228_22
; %bb.21:                               ;   in Loop: Header=BB228_10 Depth=1
	v_mov_b32_e32 v60, v62
	s_waitcnt lgkmcnt(1)
	v_mov_b32_e32 v32, v36
	s_waitcnt lgkmcnt(0)
	v_mov_b32_e32 v61, v35
	v_pk_mov_b32 v[34:35], v[36:37], v[36:37] op_sel:[0,1]
.LBB228_22:                             ;   in Loop: Header=BB228_10 Depth=1
	s_or_b64 exec, exec, s[2:3]
	ds_bpermute_b32 v62, v44, v60
	s_waitcnt lgkmcnt(2)
	ds_bpermute_b32 v36, v44, v32
	s_waitcnt lgkmcnt(2)
	;; [unrolled: 2-line block ×3, first 2 shown]
	v_cmp_lt_f32_e64 s[6:7], v60, v62
	v_cmp_nlt_f32_e64 s[2:3], v60, v62
	s_and_saveexec_b64 s[22:23], s[2:3]
	s_cbranch_execz .LBB228_24
; %bb.23:                               ;   in Loop: Header=BB228_10 Depth=1
	v_cmp_eq_f32_e64 s[2:3], v60, v62
	s_waitcnt lgkmcnt(0)
	v_cmp_lt_i32_e64 s[4:5], v35, v61
	s_and_b64 s[2:3], s[2:3], s[4:5]
	s_andn2_b64 s[4:5], s[6:7], exec
	s_and_b64 s[2:3], s[2:3], exec
	s_or_b64 s[6:7], s[4:5], s[2:3]
.LBB228_24:                             ;   in Loop: Header=BB228_10 Depth=1
	s_or_b64 exec, exec, s[22:23]
	s_and_saveexec_b64 s[2:3], s[6:7]
	s_cbranch_execz .LBB228_26
; %bb.25:                               ;   in Loop: Header=BB228_10 Depth=1
	v_mov_b32_e32 v60, v62
	s_waitcnt lgkmcnt(1)
	v_mov_b32_e32 v32, v36
	s_waitcnt lgkmcnt(0)
	v_mov_b32_e32 v61, v35
	v_pk_mov_b32 v[34:35], v[36:37], v[36:37] op_sel:[0,1]
.LBB228_26:                             ;   in Loop: Header=BB228_10 Depth=1
	s_or_b64 exec, exec, s[2:3]
	s_waitcnt lgkmcnt(1)
	ds_bpermute_b32 v36, v45, v60
	ds_bpermute_b32 v62, v45, v61
	s_waitcnt lgkmcnt(2)
	ds_bpermute_b32 v35, v45, v32
	s_waitcnt lgkmcnt(2)
	v_cmp_eq_f32_e64 s[4:5], v60, v36
	s_waitcnt lgkmcnt(1)
	v_cmp_lt_i32_e64 s[6:7], v62, v61
	v_cmp_lt_f32_e64 s[2:3], v60, v36
	s_and_b64 s[4:5], s[4:5], s[6:7]
	s_or_b64 s[2:3], s[2:3], s[4:5]
	v_cndmask_b32_e64 v32, v61, v62, s[2:3]
	s_and_saveexec_b64 s[6:7], s[0:1]
	s_cbranch_execnz .LBB228_28
; %bb.27:                               ;   in Loop: Header=BB228_10 Depth=1
	s_or_b64 exec, exec, s[6:7]
	s_add_i32 s25, s25, 1
	s_cmp_ge_i32 s25, s8
	s_cbranch_scc1 .LBB228_9
	s_branch .LBB228_29
.LBB228_28:                             ;   in Loop: Header=BB228_10 Depth=1
	s_waitcnt lgkmcnt(0)
	v_cndmask_b32_e64 v36, v34, v35, s[2:3]
	v_add_u32_e32 v34, s25, v40
	v_ashrrev_i32_e32 v35, 31, v34
	v_cmp_le_i32_e64 s[2:3], s9, v32
	v_cmp_gt_i32_e64 s[4:5], s10, v32
	v_lshlrev_b64 v[34:35], 2, v[34:35]
	s_and_b64 s[4:5], s[2:3], s[4:5]
	v_mov_b32_e32 v61, s17
	v_add_co_u32_e64 v60, s[2:3], s16, v34
	v_addc_co_u32_e64 v61, s[2:3], v61, v35, s[2:3]
	global_store_dword v[60:61], v36, off
	v_subrev_u32_e32 v60, s9, v32
	s_and_b64 s[2:3], s[18:19], s[4:5]
	v_cndmask_b32_e64 v62, v57, v60, s[2:3]
	v_mov_b32_e32 v61, s13
	v_add_co_u32_e64 v60, s[2:3], s12, v34
	v_addc_co_u32_e64 v61, s[2:3], v61, v35, s[2:3]
	global_store_dword v[60:61], v62, off
	v_mov_b32_e32 v60, s15
	v_add_co_u32_e64 v34, s[2:3], s14, v34
	v_addc_co_u32_e64 v35, s[2:3], v60, v35, s[2:3]
	global_store_dword v[34:35], v59, off
	v_add_f32_e32 v34, v39, v36
	v_cndmask_b32_e32 v39, v39, v34, vcc
	s_or_b64 exec, exec, s[6:7]
	s_add_i32 s25, s25, 1
	s_cmp_ge_i32 s25, s8
	s_cbranch_scc1 .LBB228_9
.LBB228_29:                             ;   in Loop: Header=BB228_10 Depth=1
	s_waitcnt lgkmcnt(0)
	v_ashrrev_i32_e32 v35, 31, v32
	v_lshrrev_b32_e32 v34, 30, v35
	v_add_u32_e32 v36, v32, v34
	v_ashrrev_i32_e32 v34, 2, v36
	v_ashrrev_i32_e32 v36, 31, v36
	v_lshrrev_b32_e32 v36, 27, v36
	v_add_u32_e32 v36, v34, v36
	v_and_b32_e32 v36, 0xffffffe0, v36
	v_sub_u32_e32 v36, v34, v36
	v_cmp_eq_u32_e64 s[2:3], v37, v36
	s_and_saveexec_b64 s[4:5], s[2:3]
	s_cbranch_execz .LBB228_8
; %bb.30:                               ;   in Loop: Header=BB228_10 Depth=1
	v_lshrrev_b32_e32 v35, 25, v35
	v_add_u32_e32 v35, v32, v35
	v_lshlrev_b32_e32 v34, 2, v34
	v_ashrrev_i32_e32 v35, 7, v35
	v_sub_u32_e32 v32, v32, v34
	v_lshl_add_u32 v32, v35, 2, v32
	v_cmp_ne_u32_e64 s[2:3], 15, v32
	v_cndmask_b32_e64 v31, v58, v31, s[2:3]
	v_cmp_ne_u32_e64 s[2:3], 14, v32
	v_cndmask_b32_e64 v30, v58, v30, s[2:3]
	;; [unrolled: 2-line block ×16, first 2 shown]
	s_branch .LBB228_8
.LBB228_31:
                                        ; implicit-def: $vgpr16_vgpr17_vgpr18_vgpr19_vgpr20_vgpr21_vgpr22_vgpr23_vgpr24_vgpr25_vgpr26_vgpr27_vgpr28_vgpr29_vgpr30_vgpr31
	s_andn2_b64 vcc, exec, s[6:7]
	s_cbranch_vccz .LBB228_5
	s_branch .LBB228_6
.LBB228_32:
	v_mov_b32_e32 v39, 0
.LBB228_33:
	v_cmp_eq_u32_e64 s[0:1], 0, v37
	s_and_b64 s[0:1], s[0:1], vcc
	s_and_b64 exec, exec, s[0:1]
	s_cbranch_execz .LBB228_42
; %bb.34:
	s_andn2_b64 vcc, exec, s[20:21]
	s_cbranch_vccnz .LBB228_42
; %bb.35:
	v_cmp_lt_f32_e32 vcc, 0, v39
	s_mov_b32 s2, 0
	v_cndmask_b32_e32 v0, 1.0, v39, vcc
	v_mul_lo_u32 v4, v33, s8
	s_cmp_eq_u32 s8, 1
	s_mov_b64 s[0:1], -1
	s_cbranch_scc1 .LBB228_39
; %bb.36:
	s_and_b32 s2, s8, 0x7ffffffe
	v_mov_b32_e32 v1, v0
	v_mov_b32_e32 v5, s17
	s_mov_b32 s3, s2
	v_mov_b32_e32 v2, v4
.LBB228_37:                             ; =>This Inner Loop Header: Depth=1
	v_ashrrev_i32_e32 v3, 31, v2
	v_lshlrev_b64 v[6:7], 2, v[2:3]
	v_add_co_u32_e32 v6, vcc, s16, v6
	v_addc_co_u32_e32 v7, vcc, v5, v7, vcc
	global_load_dwordx2 v[8:9], v[6:7], off
	s_add_i32 s3, s3, -2
	s_cmp_lg_u32 s3, 0
	v_add_u32_e32 v2, 2, v2
	s_waitcnt vmcnt(0)
	v_div_scale_f32 v3, s[0:1], v1, v1, v9
	v_div_scale_f32 v11, s[0:1], v0, v0, v8
	v_rcp_f32_e32 v12, v3
	v_rcp_f32_e32 v13, v11
	v_div_scale_f32 v10, vcc, v9, v1, v9
	v_fma_f32 v15, -v3, v12, 1.0
	v_fma_f32 v16, -v11, v13, 1.0
	v_fmac_f32_e32 v12, v15, v12
	v_div_scale_f32 v14, s[0:1], v8, v0, v8
	v_fmac_f32_e32 v13, v16, v13
	v_mul_f32_e32 v15, v10, v12
	v_mul_f32_e32 v16, v14, v13
	v_fma_f32 v17, -v3, v15, v10
	v_fma_f32 v18, -v11, v16, v14
	v_fmac_f32_e32 v15, v17, v12
	v_fmac_f32_e32 v16, v18, v13
	v_fma_f32 v3, -v3, v15, v10
	v_fma_f32 v10, -v11, v16, v14
	v_div_fmas_f32 v3, v3, v12, v15
	s_mov_b64 vcc, s[0:1]
	v_div_fixup_f32 v9, v3, v1, v9
	v_div_fmas_f32 v3, v10, v13, v16
	v_div_fixup_f32 v8, v3, v0, v8
	global_store_dwordx2 v[6:7], v[8:9], off
	s_cbranch_scc1 .LBB228_37
; %bb.38:
	s_cmp_lg_u32 s2, s8
	s_cselect_b64 s[0:1], -1, 0
.LBB228_39:
	s_and_b64 vcc, exec, s[0:1]
	s_cbranch_vccz .LBB228_42
; %bb.40:
	v_ashrrev_i32_e32 v1, 31, v4
	v_add_co_u32_e32 v2, vcc, s2, v4
	v_addc_co_u32_e32 v3, vcc, 0, v1, vcc
	v_lshlrev_b64 v[2:3], 2, v[2:3]
	v_mov_b32_e32 v1, s17
	v_add_co_u32_e32 v2, vcc, s16, v2
	s_sub_i32 s0, s8, s2
	v_addc_co_u32_e32 v3, vcc, v1, v3, vcc
.LBB228_41:                             ; =>This Inner Loop Header: Depth=1
	global_load_dword v1, v[2:3], off
	s_add_i32 s0, s0, -1
	s_cmp_lg_u32 s0, 0
	s_waitcnt vmcnt(0)
	v_div_scale_f32 v4, s[2:3], v0, v0, v1
	v_rcp_f32_e32 v5, v4
	v_div_scale_f32 v6, vcc, v1, v0, v1
	v_fma_f32 v7, -v4, v5, 1.0
	v_fmac_f32_e32 v5, v7, v5
	v_mul_f32_e32 v7, v6, v5
	v_fma_f32 v8, -v4, v7, v6
	v_fmac_f32_e32 v7, v8, v5
	v_fma_f32 v4, -v4, v7, v6
	v_div_fmas_f32 v4, v4, v5, v7
	v_div_fixup_f32 v1, v4, v0, v1
	global_store_dword v[2:3], v1, off
	v_add_co_u32_e32 v2, vcc, 4, v2
	v_addc_co_u32_e32 v3, vcc, 0, v3, vcc
	s_cbranch_scc1 .LBB228_41
.LBB228_42:
	s_endpgm
	.section	.rodata,"a",@progbits
	.p2align	6, 0x0
	.amdhsa_kernel _ZN4vllm3moe10topkGatingILi16ELi512ELi4ELi16ELi32EjfLNS0_11ScoringFuncE1EEEvPKT5_PKbPfiPT4_PiiiibPKf
		.amdhsa_group_segment_fixed_size 0
		.amdhsa_private_segment_fixed_size 0
		.amdhsa_kernarg_size 72
		.amdhsa_user_sgpr_count 6
		.amdhsa_user_sgpr_private_segment_buffer 1
		.amdhsa_user_sgpr_dispatch_ptr 0
		.amdhsa_user_sgpr_queue_ptr 0
		.amdhsa_user_sgpr_kernarg_segment_ptr 1
		.amdhsa_user_sgpr_dispatch_id 0
		.amdhsa_user_sgpr_flat_scratch_init 0
		.amdhsa_user_sgpr_kernarg_preload_length 0
		.amdhsa_user_sgpr_kernarg_preload_offset 0
		.amdhsa_user_sgpr_private_segment_size 0
		.amdhsa_uses_dynamic_stack 0
		.amdhsa_system_sgpr_private_segment_wavefront_offset 0
		.amdhsa_system_sgpr_workgroup_id_x 1
		.amdhsa_system_sgpr_workgroup_id_y 0
		.amdhsa_system_sgpr_workgroup_id_z 0
		.amdhsa_system_sgpr_workgroup_info 0
		.amdhsa_system_vgpr_workitem_id 1
		.amdhsa_next_free_vgpr 64
		.amdhsa_next_free_sgpr 26
		.amdhsa_accum_offset 64
		.amdhsa_reserve_vcc 1
		.amdhsa_reserve_flat_scratch 0
		.amdhsa_float_round_mode_32 0
		.amdhsa_float_round_mode_16_64 0
		.amdhsa_float_denorm_mode_32 3
		.amdhsa_float_denorm_mode_16_64 3
		.amdhsa_dx10_clamp 1
		.amdhsa_ieee_mode 1
		.amdhsa_fp16_overflow 0
		.amdhsa_tg_split 0
		.amdhsa_exception_fp_ieee_invalid_op 0
		.amdhsa_exception_fp_denorm_src 0
		.amdhsa_exception_fp_ieee_div_zero 0
		.amdhsa_exception_fp_ieee_overflow 0
		.amdhsa_exception_fp_ieee_underflow 0
		.amdhsa_exception_fp_ieee_inexact 0
		.amdhsa_exception_int_div_zero 0
	.end_amdhsa_kernel
	.section	.text._ZN4vllm3moe10topkGatingILi16ELi512ELi4ELi16ELi32EjfLNS0_11ScoringFuncE1EEEvPKT5_PKbPfiPT4_PiiiibPKf,"axG",@progbits,_ZN4vllm3moe10topkGatingILi16ELi512ELi4ELi16ELi32EjfLNS0_11ScoringFuncE1EEEvPKT5_PKbPfiPT4_PiiiibPKf,comdat
.Lfunc_end228:
	.size	_ZN4vllm3moe10topkGatingILi16ELi512ELi4ELi16ELi32EjfLNS0_11ScoringFuncE1EEEvPKT5_PKbPfiPT4_PiiiibPKf, .Lfunc_end228-_ZN4vllm3moe10topkGatingILi16ELi512ELi4ELi16ELi32EjfLNS0_11ScoringFuncE1EEEvPKT5_PKbPfiPT4_PiiiibPKf
                                        ; -- End function
	.section	.AMDGPU.csdata,"",@progbits
; Kernel info:
; codeLenInByte = 4512
; NumSgprs: 30
; NumVgprs: 64
; NumAgprs: 0
; TotalNumVgprs: 64
; ScratchSize: 0
; MemoryBound: 0
; FloatMode: 240
; IeeeMode: 1
; LDSByteSize: 0 bytes/workgroup (compile time only)
; SGPRBlocks: 3
; VGPRBlocks: 7
; NumSGPRsForWavesPerEU: 30
; NumVGPRsForWavesPerEU: 64
; AccumOffset: 64
; Occupancy: 8
; WaveLimiterHint : 1
; COMPUTE_PGM_RSRC2:SCRATCH_EN: 0
; COMPUTE_PGM_RSRC2:USER_SGPR: 6
; COMPUTE_PGM_RSRC2:TRAP_HANDLER: 0
; COMPUTE_PGM_RSRC2:TGID_X_EN: 1
; COMPUTE_PGM_RSRC2:TGID_Y_EN: 0
; COMPUTE_PGM_RSRC2:TGID_Z_EN: 0
; COMPUTE_PGM_RSRC2:TIDIG_COMP_CNT: 1
; COMPUTE_PGM_RSRC3_GFX90A:ACCUM_OFFSET: 15
; COMPUTE_PGM_RSRC3_GFX90A:TG_SPLIT: 0
	.section	.text._ZN4vllm3moe10topkGatingILi1ELi1ELi4ELi4ELi64ElfLNS0_11ScoringFuncE1EEEvPKT5_PKbPfiPT4_PiiiibPKf,"axG",@progbits,_ZN4vllm3moe10topkGatingILi1ELi1ELi4ELi4ELi64ElfLNS0_11ScoringFuncE1EEEvPKT5_PKbPfiPT4_PiiiibPKf,comdat
	.protected	_ZN4vllm3moe10topkGatingILi1ELi1ELi4ELi4ELi64ElfLNS0_11ScoringFuncE1EEEvPKT5_PKbPfiPT4_PiiiibPKf ; -- Begin function _ZN4vllm3moe10topkGatingILi1ELi1ELi4ELi4ELi64ElfLNS0_11ScoringFuncE1EEEvPKT5_PKbPfiPT4_PiiiibPKf
	.globl	_ZN4vllm3moe10topkGatingILi1ELi1ELi4ELi4ELi64ElfLNS0_11ScoringFuncE1EEEvPKT5_PKbPfiPT4_PiiiibPKf
	.p2align	8
	.type	_ZN4vllm3moe10topkGatingILi1ELi1ELi4ELi4ELi64ElfLNS0_11ScoringFuncE1EEEvPKT5_PKbPfiPT4_PiiiibPKf,@function
_ZN4vllm3moe10topkGatingILi1ELi1ELi4ELi4ELi64ElfLNS0_11ScoringFuncE1EEEvPKT5_PKbPfiPT4_PiiiibPKf: ; @_ZN4vllm3moe10topkGatingILi1ELi1ELi4ELi4ELi64ElfLNS0_11ScoringFuncE1EEEvPKT5_PKbPfiPT4_PiiiibPKf
; %bb.0:
	s_load_dword s18, s[4:5], 0x18
	v_bfe_u32 v1, v0, 10, 10
	s_lshl_b32 s0, s6, 8
	v_lshlrev_b32_e32 v1, 6, v1
	v_and_b32_e32 v0, 0x3ff, v0
	v_add3_u32 v0, v1, v0, s0
	s_waitcnt lgkmcnt(0)
	v_cmp_gt_i32_e32 vcc, s18, v0
	s_and_saveexec_b64 s[0:1], vcc
	s_cbranch_execz .LBB229_17
; %bb.1:
	s_load_dwordx4 s[12:15], s[4:5], 0x0
	s_load_dwordx2 s[2:3], s[4:5], 0x10
	v_ashrrev_i32_e32 v1, 31, v0
	s_waitcnt lgkmcnt(0)
	s_cmp_eq_u64 s[14:15], 0
	s_cbranch_scc1 .LBB229_3
; %bb.2:
	v_mov_b32_e32 v3, s15
	v_add_co_u32_e32 v2, vcc, s14, v0
	v_addc_co_u32_e32 v3, vcc, v3, v1, vcc
	global_load_ubyte v2, v[2:3], off
	s_waitcnt vmcnt(0)
	v_and_b32_e32 v2, 1, v2
	v_cmp_eq_u32_e32 vcc, 1, v2
	s_xor_b64 s[0:1], vcc, -1
	s_orn2_b64 s[16:17], s[0:1], exec
	s_branch .LBB229_4
.LBB229_3:
	s_mov_b64 s[16:17], -1
.LBB229_4:
	s_load_dwordx4 s[8:11], s[4:5], 0x30
	s_waitcnt lgkmcnt(0)
	s_bitcmp1_b32 s11, 0
	s_cselect_b64 s[0:1], -1, 0
	s_cmp_gt_i32 s8, 0
	s_cselect_b64 s[14:15], -1, 0
	s_cmp_lt_i32 s8, 1
	s_cbranch_scc1 .LBB229_8
; %bb.5:
	v_lshlrev_b64 v[2:3], 2, v[0:1]
	v_mov_b32_e32 v1, s13
	v_add_co_u32_e32 v2, vcc, s12, v2
	v_addc_co_u32_e32 v3, vcc, v1, v3, vcc
	global_load_dword v11, v[2:3], off
	v_mul_lo_u32 v2, v0, s8
	s_load_dwordx4 s[4:7], s[4:5], 0x20
	s_cmp_lt_i32 s9, 1
	v_ashrrev_i32_e32 v3, 31, v2
	s_cselect_b64 s[12:13], -1, 0
	s_cmp_gt_i32 s10, 0
	v_lshlrev_b64 v[8:9], 2, v[2:3]
	v_mov_b32_e32 v4, s3
	s_cselect_b64 s[10:11], -1, 0
	s_sub_i32 s9, 0, s9
	v_lshlrev_b64 v[6:7], 3, v[2:3]
	v_add_co_u32_e32 v2, vcc, s2, v8
	s_and_b64 s[10:11], s[12:13], s[10:11]
	s_ashr_i32 s12, s9, 31
	v_addc_co_u32_e32 v3, vcc, v4, v9, vcc
	v_mov_b32_e32 v12, s9
	v_mov_b32_e32 v4, s12
	s_and_b64 vcc, s[16:17], s[10:11]
	v_cndmask_b32_e32 v5, 0, v4, vcc
	v_cndmask_b32_e32 v4, 1, v12, vcc
	s_waitcnt lgkmcnt(0)
	v_mov_b32_e32 v12, s5
	v_add_co_u32_e32 v6, vcc, s4, v6
	v_addc_co_u32_e32 v7, vcc, v12, v7, vcc
	v_mov_b32_e32 v13, s7
	v_add_co_u32_e32 v8, vcc, s6, v8
	v_addc_co_u32_e32 v9, vcc, v13, v9, vcc
	s_movk_i32 s19, 0x1f8
	v_mov_b32_e32 v1, 0
	v_mov_b32_e32 v10, v0
	s_waitcnt vmcnt(0)
	v_mul_f32_e32 v11, 0xbfb8aa3b, v11
	v_exp_f32_e32 v11, v11
	v_add_f32_e32 v11, 1.0, v11
	v_div_scale_f32 v12, s[4:5], v11, v11, 1.0
	v_rcp_f32_e32 v14, v12
	v_div_scale_f32 v13, vcc, 1.0, v11, 1.0
	s_mov_b32 s4, s8
	v_fma_f32 v15, -v12, v14, 1.0
	v_fmac_f32_e32 v14, v15, v14
	v_mul_f32_e32 v15, v13, v14
	v_fma_f32 v16, -v12, v15, v13
	v_fmac_f32_e32 v15, v16, v14
	v_fma_f32 v12, -v12, v15, v13
	v_div_fmas_f32 v12, v12, v14, v15
	v_div_fixup_f32 v11, v12, v11, 1.0
	v_cmp_class_f32_e64 vcc, v11, s19
	v_cndmask_b32_e32 v11, 0, v11, vcc
.LBB229_6:                              ; =>This Inner Loop Header: Depth=1
	global_store_dword v[2:3], v11, off
	global_store_dwordx2 v[6:7], v[4:5], off
	global_store_dword v[8:9], v10, off
	v_add_co_u32_e32 v2, vcc, 4, v2
	v_addc_co_u32_e32 v3, vcc, 0, v3, vcc
	v_add_co_u32_e32 v6, vcc, 8, v6
	v_addc_co_u32_e32 v7, vcc, 0, v7, vcc
	v_add_f32_e32 v12, v1, v11
	s_add_i32 s4, s4, -1
	v_add_co_u32_e32 v8, vcc, 4, v8
	v_cndmask_b32_e64 v1, v1, v12, s[0:1]
	v_add_u32_e32 v10, s18, v10
	s_cmp_lg_u32 s4, 0
	v_addc_co_u32_e32 v9, vcc, 0, v9, vcc
	s_cbranch_scc1 .LBB229_6
; %bb.7:
	s_andn2_b64 vcc, exec, s[0:1]
	s_cbranch_vccz .LBB229_9
	s_branch .LBB229_17
.LBB229_8:
	v_mov_b32_e32 v1, 0
	s_andn2_b64 vcc, exec, s[0:1]
	s_cbranch_vccnz .LBB229_17
.LBB229_9:
	s_andn2_b64 vcc, exec, s[14:15]
	s_cbranch_vccnz .LBB229_17
; %bb.10:
	v_cmp_lt_f32_e32 vcc, 0, v1
	s_mov_b32 s4, 0
	v_cndmask_b32_e32 v2, 1.0, v1, vcc
	v_mul_lo_u32 v0, v0, s8
	s_cmp_eq_u32 s8, 1
	s_mov_b64 s[0:1], -1
	s_cbranch_scc1 .LBB229_14
; %bb.11:
	s_and_b32 s4, s8, 0x7ffffffe
	v_mov_b32_e32 v1, v2
	v_mov_b32_e32 v3, s3
	s_mov_b32 s5, s4
	v_mov_b32_e32 v4, v0
.LBB229_12:                             ; =>This Inner Loop Header: Depth=1
	v_ashrrev_i32_e32 v5, 31, v4
	v_lshlrev_b64 v[6:7], 2, v[4:5]
	v_add_co_u32_e32 v6, vcc, s2, v6
	v_addc_co_u32_e32 v7, vcc, v3, v7, vcc
	global_load_dwordx2 v[8:9], v[6:7], off
	s_add_i32 s5, s5, -2
	s_cmp_lg_u32 s5, 0
	v_add_u32_e32 v4, 2, v4
	s_waitcnt vmcnt(0)
	v_div_scale_f32 v5, s[0:1], v1, v1, v9
	v_div_scale_f32 v11, s[0:1], v2, v2, v8
	v_rcp_f32_e32 v12, v5
	v_rcp_f32_e32 v13, v11
	v_div_scale_f32 v10, vcc, v9, v1, v9
	v_fma_f32 v15, -v5, v12, 1.0
	v_fma_f32 v16, -v11, v13, 1.0
	v_fmac_f32_e32 v12, v15, v12
	v_div_scale_f32 v14, s[0:1], v8, v2, v8
	v_fmac_f32_e32 v13, v16, v13
	v_mul_f32_e32 v15, v10, v12
	v_mul_f32_e32 v16, v14, v13
	v_fma_f32 v17, -v5, v15, v10
	v_fma_f32 v18, -v11, v16, v14
	v_fmac_f32_e32 v15, v17, v12
	v_fmac_f32_e32 v16, v18, v13
	v_fma_f32 v5, -v5, v15, v10
	v_fma_f32 v10, -v11, v16, v14
	v_div_fmas_f32 v5, v5, v12, v15
	s_mov_b64 vcc, s[0:1]
	v_div_fixup_f32 v9, v5, v1, v9
	v_div_fmas_f32 v5, v10, v13, v16
	v_div_fixup_f32 v8, v5, v2, v8
	global_store_dwordx2 v[6:7], v[8:9], off
	s_cbranch_scc1 .LBB229_12
; %bb.13:
	s_cmp_lg_u32 s4, s8
	s_cselect_b64 s[0:1], -1, 0
.LBB229_14:
	s_and_b64 vcc, exec, s[0:1]
	s_cbranch_vccz .LBB229_17
; %bb.15:
	v_ashrrev_i32_e32 v1, 31, v0
	v_add_co_u32_e32 v0, vcc, s4, v0
	v_addc_co_u32_e32 v1, vcc, 0, v1, vcc
	v_lshlrev_b64 v[0:1], 2, v[0:1]
	v_mov_b32_e32 v3, s3
	v_add_co_u32_e32 v0, vcc, s2, v0
	s_sub_i32 s0, s8, s4
	v_addc_co_u32_e32 v1, vcc, v3, v1, vcc
.LBB229_16:                             ; =>This Inner Loop Header: Depth=1
	global_load_dword v3, v[0:1], off
	s_add_i32 s0, s0, -1
	s_cmp_lg_u32 s0, 0
	s_waitcnt vmcnt(0)
	v_div_scale_f32 v4, s[2:3], v2, v2, v3
	v_rcp_f32_e32 v5, v4
	v_div_scale_f32 v6, vcc, v3, v2, v3
	v_fma_f32 v7, -v4, v5, 1.0
	v_fmac_f32_e32 v5, v7, v5
	v_mul_f32_e32 v7, v6, v5
	v_fma_f32 v8, -v4, v7, v6
	v_fmac_f32_e32 v7, v8, v5
	v_fma_f32 v4, -v4, v7, v6
	v_div_fmas_f32 v4, v4, v5, v7
	v_div_fixup_f32 v3, v4, v2, v3
	global_store_dword v[0:1], v3, off
	v_add_co_u32_e32 v0, vcc, 4, v0
	v_addc_co_u32_e32 v1, vcc, 0, v1, vcc
	s_cbranch_scc1 .LBB229_16
.LBB229_17:
	s_endpgm
	.section	.rodata,"a",@progbits
	.p2align	6, 0x0
	.amdhsa_kernel _ZN4vllm3moe10topkGatingILi1ELi1ELi4ELi4ELi64ElfLNS0_11ScoringFuncE1EEEvPKT5_PKbPfiPT4_PiiiibPKf
		.amdhsa_group_segment_fixed_size 0
		.amdhsa_private_segment_fixed_size 0
		.amdhsa_kernarg_size 72
		.amdhsa_user_sgpr_count 6
		.amdhsa_user_sgpr_private_segment_buffer 1
		.amdhsa_user_sgpr_dispatch_ptr 0
		.amdhsa_user_sgpr_queue_ptr 0
		.amdhsa_user_sgpr_kernarg_segment_ptr 1
		.amdhsa_user_sgpr_dispatch_id 0
		.amdhsa_user_sgpr_flat_scratch_init 0
		.amdhsa_user_sgpr_kernarg_preload_length 0
		.amdhsa_user_sgpr_kernarg_preload_offset 0
		.amdhsa_user_sgpr_private_segment_size 0
		.amdhsa_uses_dynamic_stack 0
		.amdhsa_system_sgpr_private_segment_wavefront_offset 0
		.amdhsa_system_sgpr_workgroup_id_x 1
		.amdhsa_system_sgpr_workgroup_id_y 0
		.amdhsa_system_sgpr_workgroup_id_z 0
		.amdhsa_system_sgpr_workgroup_info 0
		.amdhsa_system_vgpr_workitem_id 1
		.amdhsa_next_free_vgpr 19
		.amdhsa_next_free_sgpr 20
		.amdhsa_accum_offset 20
		.amdhsa_reserve_vcc 1
		.amdhsa_reserve_flat_scratch 0
		.amdhsa_float_round_mode_32 0
		.amdhsa_float_round_mode_16_64 0
		.amdhsa_float_denorm_mode_32 3
		.amdhsa_float_denorm_mode_16_64 3
		.amdhsa_dx10_clamp 1
		.amdhsa_ieee_mode 1
		.amdhsa_fp16_overflow 0
		.amdhsa_tg_split 0
		.amdhsa_exception_fp_ieee_invalid_op 0
		.amdhsa_exception_fp_denorm_src 0
		.amdhsa_exception_fp_ieee_div_zero 0
		.amdhsa_exception_fp_ieee_overflow 0
		.amdhsa_exception_fp_ieee_underflow 0
		.amdhsa_exception_fp_ieee_inexact 0
		.amdhsa_exception_int_div_zero 0
	.end_amdhsa_kernel
	.section	.text._ZN4vllm3moe10topkGatingILi1ELi1ELi4ELi4ELi64ElfLNS0_11ScoringFuncE1EEEvPKT5_PKbPfiPT4_PiiiibPKf,"axG",@progbits,_ZN4vllm3moe10topkGatingILi1ELi1ELi4ELi4ELi64ElfLNS0_11ScoringFuncE1EEEvPKT5_PKbPfiPT4_PiiiibPKf,comdat
.Lfunc_end229:
	.size	_ZN4vllm3moe10topkGatingILi1ELi1ELi4ELi4ELi64ElfLNS0_11ScoringFuncE1EEEvPKT5_PKbPfiPT4_PiiiibPKf, .Lfunc_end229-_ZN4vllm3moe10topkGatingILi1ELi1ELi4ELi4ELi64ElfLNS0_11ScoringFuncE1EEEvPKT5_PKbPfiPT4_PiiiibPKf
                                        ; -- End function
	.section	.AMDGPU.csdata,"",@progbits
; Kernel info:
; codeLenInByte = 980
; NumSgprs: 24
; NumVgprs: 19
; NumAgprs: 0
; TotalNumVgprs: 19
; ScratchSize: 0
; MemoryBound: 0
; FloatMode: 240
; IeeeMode: 1
; LDSByteSize: 0 bytes/workgroup (compile time only)
; SGPRBlocks: 2
; VGPRBlocks: 2
; NumSGPRsForWavesPerEU: 24
; NumVGPRsForWavesPerEU: 19
; AccumOffset: 20
; Occupancy: 8
; WaveLimiterHint : 0
; COMPUTE_PGM_RSRC2:SCRATCH_EN: 0
; COMPUTE_PGM_RSRC2:USER_SGPR: 6
; COMPUTE_PGM_RSRC2:TRAP_HANDLER: 0
; COMPUTE_PGM_RSRC2:TGID_X_EN: 1
; COMPUTE_PGM_RSRC2:TGID_Y_EN: 0
; COMPUTE_PGM_RSRC2:TGID_Z_EN: 0
; COMPUTE_PGM_RSRC2:TIDIG_COMP_CNT: 1
; COMPUTE_PGM_RSRC3_GFX90A:ACCUM_OFFSET: 4
; COMPUTE_PGM_RSRC3_GFX90A:TG_SPLIT: 0
	.section	.text._ZN4vllm3moe10topkGatingILi1ELi1ELi4ELi4ELi32ElfLNS0_11ScoringFuncE1EEEvPKT5_PKbPfiPT4_PiiiibPKf,"axG",@progbits,_ZN4vllm3moe10topkGatingILi1ELi1ELi4ELi4ELi32ElfLNS0_11ScoringFuncE1EEEvPKT5_PKbPfiPT4_PiiiibPKf,comdat
	.protected	_ZN4vllm3moe10topkGatingILi1ELi1ELi4ELi4ELi32ElfLNS0_11ScoringFuncE1EEEvPKT5_PKbPfiPT4_PiiiibPKf ; -- Begin function _ZN4vllm3moe10topkGatingILi1ELi1ELi4ELi4ELi32ElfLNS0_11ScoringFuncE1EEEvPKT5_PKbPfiPT4_PiiiibPKf
	.globl	_ZN4vllm3moe10topkGatingILi1ELi1ELi4ELi4ELi32ElfLNS0_11ScoringFuncE1EEEvPKT5_PKbPfiPT4_PiiiibPKf
	.p2align	8
	.type	_ZN4vllm3moe10topkGatingILi1ELi1ELi4ELi4ELi32ElfLNS0_11ScoringFuncE1EEEvPKT5_PKbPfiPT4_PiiiibPKf,@function
_ZN4vllm3moe10topkGatingILi1ELi1ELi4ELi4ELi32ElfLNS0_11ScoringFuncE1EEEvPKT5_PKbPfiPT4_PiiiibPKf: ; @_ZN4vllm3moe10topkGatingILi1ELi1ELi4ELi4ELi32ElfLNS0_11ScoringFuncE1EEEvPKT5_PKbPfiPT4_PiiiibPKf
; %bb.0:
	s_load_dword s18, s[4:5], 0x18
	v_bfe_u32 v1, v0, 10, 10
	s_lshl_b32 s0, s6, 7
	v_lshlrev_b32_e32 v1, 5, v1
	v_and_b32_e32 v0, 0x3ff, v0
	v_add3_u32 v0, v1, v0, s0
	s_waitcnt lgkmcnt(0)
	v_cmp_gt_i32_e32 vcc, s18, v0
	s_and_saveexec_b64 s[0:1], vcc
	s_cbranch_execz .LBB230_17
; %bb.1:
	s_load_dwordx4 s[12:15], s[4:5], 0x0
	s_load_dwordx2 s[2:3], s[4:5], 0x10
	v_ashrrev_i32_e32 v1, 31, v0
	s_waitcnt lgkmcnt(0)
	s_cmp_eq_u64 s[14:15], 0
	s_cbranch_scc1 .LBB230_3
; %bb.2:
	v_mov_b32_e32 v3, s15
	v_add_co_u32_e32 v2, vcc, s14, v0
	v_addc_co_u32_e32 v3, vcc, v3, v1, vcc
	global_load_ubyte v2, v[2:3], off
	s_waitcnt vmcnt(0)
	v_and_b32_e32 v2, 1, v2
	v_cmp_eq_u32_e32 vcc, 1, v2
	s_xor_b64 s[0:1], vcc, -1
	s_orn2_b64 s[16:17], s[0:1], exec
	s_branch .LBB230_4
.LBB230_3:
	s_mov_b64 s[16:17], -1
.LBB230_4:
	s_load_dwordx4 s[8:11], s[4:5], 0x30
	s_waitcnt lgkmcnt(0)
	s_bitcmp1_b32 s11, 0
	s_cselect_b64 s[0:1], -1, 0
	s_cmp_gt_i32 s8, 0
	s_cselect_b64 s[14:15], -1, 0
	s_cmp_lt_i32 s8, 1
	s_cbranch_scc1 .LBB230_8
; %bb.5:
	v_lshlrev_b64 v[2:3], 2, v[0:1]
	v_mov_b32_e32 v1, s13
	v_add_co_u32_e32 v2, vcc, s12, v2
	v_addc_co_u32_e32 v3, vcc, v1, v3, vcc
	global_load_dword v11, v[2:3], off
	v_mul_lo_u32 v2, v0, s8
	s_load_dwordx4 s[4:7], s[4:5], 0x20
	s_cmp_lt_i32 s9, 1
	v_ashrrev_i32_e32 v3, 31, v2
	s_cselect_b64 s[12:13], -1, 0
	s_cmp_gt_i32 s10, 0
	v_lshlrev_b64 v[8:9], 2, v[2:3]
	v_mov_b32_e32 v4, s3
	s_cselect_b64 s[10:11], -1, 0
	s_sub_i32 s9, 0, s9
	v_lshlrev_b64 v[6:7], 3, v[2:3]
	v_add_co_u32_e32 v2, vcc, s2, v8
	s_and_b64 s[10:11], s[12:13], s[10:11]
	s_ashr_i32 s12, s9, 31
	v_addc_co_u32_e32 v3, vcc, v4, v9, vcc
	v_mov_b32_e32 v12, s9
	v_mov_b32_e32 v4, s12
	s_and_b64 vcc, s[16:17], s[10:11]
	v_cndmask_b32_e32 v5, 0, v4, vcc
	v_cndmask_b32_e32 v4, 1, v12, vcc
	s_waitcnt lgkmcnt(0)
	v_mov_b32_e32 v12, s5
	v_add_co_u32_e32 v6, vcc, s4, v6
	v_addc_co_u32_e32 v7, vcc, v12, v7, vcc
	v_mov_b32_e32 v13, s7
	v_add_co_u32_e32 v8, vcc, s6, v8
	v_addc_co_u32_e32 v9, vcc, v13, v9, vcc
	s_movk_i32 s19, 0x1f8
	v_mov_b32_e32 v1, 0
	v_mov_b32_e32 v10, v0
	s_waitcnt vmcnt(0)
	v_mul_f32_e32 v11, 0xbfb8aa3b, v11
	v_exp_f32_e32 v11, v11
	v_add_f32_e32 v11, 1.0, v11
	v_div_scale_f32 v12, s[4:5], v11, v11, 1.0
	v_rcp_f32_e32 v14, v12
	v_div_scale_f32 v13, vcc, 1.0, v11, 1.0
	s_mov_b32 s4, s8
	v_fma_f32 v15, -v12, v14, 1.0
	v_fmac_f32_e32 v14, v15, v14
	v_mul_f32_e32 v15, v13, v14
	v_fma_f32 v16, -v12, v15, v13
	v_fmac_f32_e32 v15, v16, v14
	v_fma_f32 v12, -v12, v15, v13
	v_div_fmas_f32 v12, v12, v14, v15
	v_div_fixup_f32 v11, v12, v11, 1.0
	v_cmp_class_f32_e64 vcc, v11, s19
	v_cndmask_b32_e32 v11, 0, v11, vcc
.LBB230_6:                              ; =>This Inner Loop Header: Depth=1
	global_store_dword v[2:3], v11, off
	global_store_dwordx2 v[6:7], v[4:5], off
	global_store_dword v[8:9], v10, off
	v_add_co_u32_e32 v2, vcc, 4, v2
	v_addc_co_u32_e32 v3, vcc, 0, v3, vcc
	v_add_co_u32_e32 v6, vcc, 8, v6
	v_addc_co_u32_e32 v7, vcc, 0, v7, vcc
	v_add_f32_e32 v12, v1, v11
	s_add_i32 s4, s4, -1
	v_add_co_u32_e32 v8, vcc, 4, v8
	v_cndmask_b32_e64 v1, v1, v12, s[0:1]
	v_add_u32_e32 v10, s18, v10
	s_cmp_lg_u32 s4, 0
	v_addc_co_u32_e32 v9, vcc, 0, v9, vcc
	s_cbranch_scc1 .LBB230_6
; %bb.7:
	s_andn2_b64 vcc, exec, s[0:1]
	s_cbranch_vccz .LBB230_9
	s_branch .LBB230_17
.LBB230_8:
	v_mov_b32_e32 v1, 0
	s_andn2_b64 vcc, exec, s[0:1]
	s_cbranch_vccnz .LBB230_17
.LBB230_9:
	s_andn2_b64 vcc, exec, s[14:15]
	s_cbranch_vccnz .LBB230_17
; %bb.10:
	v_cmp_lt_f32_e32 vcc, 0, v1
	s_mov_b32 s4, 0
	v_cndmask_b32_e32 v2, 1.0, v1, vcc
	v_mul_lo_u32 v0, v0, s8
	s_cmp_eq_u32 s8, 1
	s_mov_b64 s[0:1], -1
	s_cbranch_scc1 .LBB230_14
; %bb.11:
	s_and_b32 s4, s8, 0x7ffffffe
	v_mov_b32_e32 v1, v2
	v_mov_b32_e32 v3, s3
	s_mov_b32 s5, s4
	v_mov_b32_e32 v4, v0
.LBB230_12:                             ; =>This Inner Loop Header: Depth=1
	v_ashrrev_i32_e32 v5, 31, v4
	v_lshlrev_b64 v[6:7], 2, v[4:5]
	v_add_co_u32_e32 v6, vcc, s2, v6
	v_addc_co_u32_e32 v7, vcc, v3, v7, vcc
	global_load_dwordx2 v[8:9], v[6:7], off
	s_add_i32 s5, s5, -2
	s_cmp_lg_u32 s5, 0
	v_add_u32_e32 v4, 2, v4
	s_waitcnt vmcnt(0)
	v_div_scale_f32 v5, s[0:1], v1, v1, v9
	v_div_scale_f32 v11, s[0:1], v2, v2, v8
	v_rcp_f32_e32 v12, v5
	v_rcp_f32_e32 v13, v11
	v_div_scale_f32 v10, vcc, v9, v1, v9
	v_fma_f32 v15, -v5, v12, 1.0
	v_fma_f32 v16, -v11, v13, 1.0
	v_fmac_f32_e32 v12, v15, v12
	v_div_scale_f32 v14, s[0:1], v8, v2, v8
	v_fmac_f32_e32 v13, v16, v13
	v_mul_f32_e32 v15, v10, v12
	v_mul_f32_e32 v16, v14, v13
	v_fma_f32 v17, -v5, v15, v10
	v_fma_f32 v18, -v11, v16, v14
	v_fmac_f32_e32 v15, v17, v12
	v_fmac_f32_e32 v16, v18, v13
	v_fma_f32 v5, -v5, v15, v10
	v_fma_f32 v10, -v11, v16, v14
	v_div_fmas_f32 v5, v5, v12, v15
	s_mov_b64 vcc, s[0:1]
	v_div_fixup_f32 v9, v5, v1, v9
	v_div_fmas_f32 v5, v10, v13, v16
	v_div_fixup_f32 v8, v5, v2, v8
	global_store_dwordx2 v[6:7], v[8:9], off
	s_cbranch_scc1 .LBB230_12
; %bb.13:
	s_cmp_lg_u32 s4, s8
	s_cselect_b64 s[0:1], -1, 0
.LBB230_14:
	s_and_b64 vcc, exec, s[0:1]
	s_cbranch_vccz .LBB230_17
; %bb.15:
	v_ashrrev_i32_e32 v1, 31, v0
	v_add_co_u32_e32 v0, vcc, s4, v0
	v_addc_co_u32_e32 v1, vcc, 0, v1, vcc
	v_lshlrev_b64 v[0:1], 2, v[0:1]
	v_mov_b32_e32 v3, s3
	v_add_co_u32_e32 v0, vcc, s2, v0
	s_sub_i32 s0, s8, s4
	v_addc_co_u32_e32 v1, vcc, v3, v1, vcc
.LBB230_16:                             ; =>This Inner Loop Header: Depth=1
	global_load_dword v3, v[0:1], off
	s_add_i32 s0, s0, -1
	s_cmp_lg_u32 s0, 0
	s_waitcnt vmcnt(0)
	v_div_scale_f32 v4, s[2:3], v2, v2, v3
	v_rcp_f32_e32 v5, v4
	v_div_scale_f32 v6, vcc, v3, v2, v3
	v_fma_f32 v7, -v4, v5, 1.0
	v_fmac_f32_e32 v5, v7, v5
	v_mul_f32_e32 v7, v6, v5
	v_fma_f32 v8, -v4, v7, v6
	v_fmac_f32_e32 v7, v8, v5
	v_fma_f32 v4, -v4, v7, v6
	v_div_fmas_f32 v4, v4, v5, v7
	v_div_fixup_f32 v3, v4, v2, v3
	global_store_dword v[0:1], v3, off
	v_add_co_u32_e32 v0, vcc, 4, v0
	v_addc_co_u32_e32 v1, vcc, 0, v1, vcc
	s_cbranch_scc1 .LBB230_16
.LBB230_17:
	s_endpgm
	.section	.rodata,"a",@progbits
	.p2align	6, 0x0
	.amdhsa_kernel _ZN4vllm3moe10topkGatingILi1ELi1ELi4ELi4ELi32ElfLNS0_11ScoringFuncE1EEEvPKT5_PKbPfiPT4_PiiiibPKf
		.amdhsa_group_segment_fixed_size 0
		.amdhsa_private_segment_fixed_size 0
		.amdhsa_kernarg_size 72
		.amdhsa_user_sgpr_count 6
		.amdhsa_user_sgpr_private_segment_buffer 1
		.amdhsa_user_sgpr_dispatch_ptr 0
		.amdhsa_user_sgpr_queue_ptr 0
		.amdhsa_user_sgpr_kernarg_segment_ptr 1
		.amdhsa_user_sgpr_dispatch_id 0
		.amdhsa_user_sgpr_flat_scratch_init 0
		.amdhsa_user_sgpr_kernarg_preload_length 0
		.amdhsa_user_sgpr_kernarg_preload_offset 0
		.amdhsa_user_sgpr_private_segment_size 0
		.amdhsa_uses_dynamic_stack 0
		.amdhsa_system_sgpr_private_segment_wavefront_offset 0
		.amdhsa_system_sgpr_workgroup_id_x 1
		.amdhsa_system_sgpr_workgroup_id_y 0
		.amdhsa_system_sgpr_workgroup_id_z 0
		.amdhsa_system_sgpr_workgroup_info 0
		.amdhsa_system_vgpr_workitem_id 1
		.amdhsa_next_free_vgpr 19
		.amdhsa_next_free_sgpr 20
		.amdhsa_accum_offset 20
		.amdhsa_reserve_vcc 1
		.amdhsa_reserve_flat_scratch 0
		.amdhsa_float_round_mode_32 0
		.amdhsa_float_round_mode_16_64 0
		.amdhsa_float_denorm_mode_32 3
		.amdhsa_float_denorm_mode_16_64 3
		.amdhsa_dx10_clamp 1
		.amdhsa_ieee_mode 1
		.amdhsa_fp16_overflow 0
		.amdhsa_tg_split 0
		.amdhsa_exception_fp_ieee_invalid_op 0
		.amdhsa_exception_fp_denorm_src 0
		.amdhsa_exception_fp_ieee_div_zero 0
		.amdhsa_exception_fp_ieee_overflow 0
		.amdhsa_exception_fp_ieee_underflow 0
		.amdhsa_exception_fp_ieee_inexact 0
		.amdhsa_exception_int_div_zero 0
	.end_amdhsa_kernel
	.section	.text._ZN4vllm3moe10topkGatingILi1ELi1ELi4ELi4ELi32ElfLNS0_11ScoringFuncE1EEEvPKT5_PKbPfiPT4_PiiiibPKf,"axG",@progbits,_ZN4vllm3moe10topkGatingILi1ELi1ELi4ELi4ELi32ElfLNS0_11ScoringFuncE1EEEvPKT5_PKbPfiPT4_PiiiibPKf,comdat
.Lfunc_end230:
	.size	_ZN4vllm3moe10topkGatingILi1ELi1ELi4ELi4ELi32ElfLNS0_11ScoringFuncE1EEEvPKT5_PKbPfiPT4_PiiiibPKf, .Lfunc_end230-_ZN4vllm3moe10topkGatingILi1ELi1ELi4ELi4ELi32ElfLNS0_11ScoringFuncE1EEEvPKT5_PKbPfiPT4_PiiiibPKf
                                        ; -- End function
	.section	.AMDGPU.csdata,"",@progbits
; Kernel info:
; codeLenInByte = 980
; NumSgprs: 24
; NumVgprs: 19
; NumAgprs: 0
; TotalNumVgprs: 19
; ScratchSize: 0
; MemoryBound: 0
; FloatMode: 240
; IeeeMode: 1
; LDSByteSize: 0 bytes/workgroup (compile time only)
; SGPRBlocks: 2
; VGPRBlocks: 2
; NumSGPRsForWavesPerEU: 24
; NumVGPRsForWavesPerEU: 19
; AccumOffset: 20
; Occupancy: 8
; WaveLimiterHint : 0
; COMPUTE_PGM_RSRC2:SCRATCH_EN: 0
; COMPUTE_PGM_RSRC2:USER_SGPR: 6
; COMPUTE_PGM_RSRC2:TRAP_HANDLER: 0
; COMPUTE_PGM_RSRC2:TGID_X_EN: 1
; COMPUTE_PGM_RSRC2:TGID_Y_EN: 0
; COMPUTE_PGM_RSRC2:TGID_Z_EN: 0
; COMPUTE_PGM_RSRC2:TIDIG_COMP_CNT: 1
; COMPUTE_PGM_RSRC3_GFX90A:ACCUM_OFFSET: 4
; COMPUTE_PGM_RSRC3_GFX90A:TG_SPLIT: 0
	.section	.text._ZN4vllm3moe10topkGatingILi2ELi2ELi4ELi8ELi64ElfLNS0_11ScoringFuncE1EEEvPKT5_PKbPfiPT4_PiiiibPKf,"axG",@progbits,_ZN4vllm3moe10topkGatingILi2ELi2ELi4ELi8ELi64ElfLNS0_11ScoringFuncE1EEEvPKT5_PKbPfiPT4_PiiiibPKf,comdat
	.protected	_ZN4vllm3moe10topkGatingILi2ELi2ELi4ELi8ELi64ElfLNS0_11ScoringFuncE1EEEvPKT5_PKbPfiPT4_PiiiibPKf ; -- Begin function _ZN4vllm3moe10topkGatingILi2ELi2ELi4ELi8ELi64ElfLNS0_11ScoringFuncE1EEEvPKT5_PKbPfiPT4_PiiiibPKf
	.globl	_ZN4vllm3moe10topkGatingILi2ELi2ELi4ELi8ELi64ElfLNS0_11ScoringFuncE1EEEvPKT5_PKbPfiPT4_PiiiibPKf
	.p2align	8
	.type	_ZN4vllm3moe10topkGatingILi2ELi2ELi4ELi8ELi64ElfLNS0_11ScoringFuncE1EEEvPKT5_PKbPfiPT4_PiiiibPKf,@function
_ZN4vllm3moe10topkGatingILi2ELi2ELi4ELi8ELi64ElfLNS0_11ScoringFuncE1EEEvPKT5_PKbPfiPT4_PiiiibPKf: ; @_ZN4vllm3moe10topkGatingILi2ELi2ELi4ELi8ELi64ElfLNS0_11ScoringFuncE1EEEvPKT5_PKbPfiPT4_PiiiibPKf
; %bb.0:
	s_load_dword s16, s[4:5], 0x18
	v_bfe_u32 v1, v0, 10, 10
	s_lshl_b32 s0, s6, 8
	v_lshlrev_b32_e32 v1, 6, v1
	v_and_b32_e32 v0, 0x3ff, v0
	v_add3_u32 v10, v1, v0, s0
	s_waitcnt lgkmcnt(0)
	v_cmp_gt_i32_e32 vcc, s16, v10
	s_and_saveexec_b64 s[0:1], vcc
	s_cbranch_execz .LBB231_19
; %bb.1:
	s_load_dwordx4 s[0:3], s[4:5], 0x0
	s_load_dwordx2 s[6:7], s[4:5], 0x10
	s_waitcnt lgkmcnt(0)
	s_cmp_eq_u64 s[2:3], 0
	s_cbranch_scc1 .LBB231_3
; %bb.2:
	v_ashrrev_i32_e32 v1, 31, v10
	v_mov_b32_e32 v2, s3
	v_add_co_u32_e32 v0, vcc, s2, v10
	v_addc_co_u32_e32 v1, vcc, v2, v1, vcc
	global_load_ubyte v0, v[0:1], off
	s_waitcnt vmcnt(0)
	v_and_b32_e32 v0, 1, v0
	v_cmp_eq_u32_e32 vcc, 1, v0
	s_xor_b64 s[2:3], vcc, -1
	s_orn2_b64 s[12:13], s[2:3], exec
	s_branch .LBB231_4
.LBB231_3:
	s_mov_b64 s[12:13], -1
.LBB231_4:
	v_lshlrev_b32_e32 v0, 1, v10
	v_ashrrev_i32_e32 v1, 31, v0
	v_lshlrev_b64 v[0:1], 2, v[0:1]
	v_mov_b32_e32 v2, s1
	v_add_co_u32_e32 v0, vcc, s0, v0
	v_addc_co_u32_e32 v1, vcc, v2, v1, vcc
	global_load_dwordx2 v[0:1], v[0:1], off
	s_load_dwordx2 s[2:3], s[4:5], 0x40
	s_movk_i32 s8, 0x1f8
	s_waitcnt lgkmcnt(0)
	s_cmp_eq_u64 s[2:3], 0
	s_waitcnt vmcnt(0)
	v_mul_f32_e32 v0, 0xbfb8aa3b, v0
	v_mul_f32_e32 v1, 0xbfb8aa3b, v1
	v_exp_f32_e32 v0, v0
	v_exp_f32_e32 v1, v1
	v_pk_add_f32 v[0:1], v[0:1], 1.0 op_sel_hi:[1,0]
	v_div_scale_f32 v2, s[0:1], v1, v1, 1.0
	v_div_scale_f32 v4, s[0:1], v0, v0, 1.0
	v_rcp_f32_e32 v5, v2
	v_rcp_f32_e32 v6, v4
	v_div_scale_f32 v3, vcc, 1.0, v1, 1.0
	v_fma_f32 v8, -v2, v5, 1.0
	v_fma_f32 v9, -v4, v6, 1.0
	v_fmac_f32_e32 v5, v8, v5
	v_div_scale_f32 v7, s[0:1], 1.0, v0, 1.0
	v_fmac_f32_e32 v6, v9, v6
	v_mul_f32_e32 v8, v3, v5
	v_mul_f32_e32 v9, v7, v6
	v_fma_f32 v11, -v2, v8, v3
	v_fma_f32 v12, -v4, v9, v7
	v_fmac_f32_e32 v8, v11, v5
	v_fmac_f32_e32 v9, v12, v6
	v_fma_f32 v2, -v2, v8, v3
	v_fma_f32 v3, -v4, v9, v7
	v_div_fmas_f32 v2, v2, v5, v8
	s_mov_b64 vcc, s[0:1]
	v_div_fixup_f32 v1, v2, v1, 1.0
	v_div_fmas_f32 v2, v3, v6, v9
	v_div_fixup_f32 v0, v2, v0, 1.0
	v_cmp_class_f32_e64 vcc, v1, s8
	v_cndmask_b32_e32 v1, 0, v1, vcc
	v_cmp_class_f32_e64 vcc, v0, s8
	v_cndmask_b32_e32 v0, 0, v0, vcc
	v_pk_mov_b32 v[2:3], v[0:1], v[0:1] op_sel:[0,1]
	s_cbranch_scc1 .LBB231_6
; %bb.5:
	s_load_dwordx2 s[0:1], s[2:3], 0x0
	s_waitcnt lgkmcnt(0)
	v_pk_add_f32 v[2:3], v[0:1], s[0:1]
.LBB231_6:
	s_load_dwordx4 s[8:11], s[4:5], 0x30
	s_waitcnt lgkmcnt(0)
	s_bitcmp1_b32 s11, 0
	s_cselect_b64 vcc, -1, 0
	s_cmp_gt_i32 s8, 0
	s_cselect_b64 s[14:15], -1, 0
	s_cmp_lt_i32 s8, 1
	s_cbranch_scc1 .LBB231_10
; %bb.7:
	s_load_dwordx4 s[20:23], s[4:5], 0x20
	v_mul_lo_u32 v6, v10, s8
	v_ashrrev_i32_e32 v7, 31, v6
	v_lshlrev_b64 v[8:9], 2, v[6:7]
	v_mov_b32_e32 v5, s7
	v_add_co_u32_e64 v4, s[0:1], s6, v8
	v_addc_co_u32_e64 v5, s[0:1], v5, v9, s[0:1]
	v_lshlrev_b64 v[6:7], 3, v[6:7]
	s_waitcnt lgkmcnt(0)
	v_mov_b32_e32 v11, s21
	v_add_co_u32_e64 v6, s[0:1], s20, v6
	v_addc_co_u32_e64 v7, s[0:1], v11, v7, s[0:1]
	v_mov_b32_e32 v11, s23
	v_add_co_u32_e64 v8, s[0:1], s22, v8
	v_addc_co_u32_e64 v9, s[0:1], v11, v9, s[0:1]
	s_mov_b32 s11, 0
	v_mov_b32_e32 v11, 0
	v_mov_b32_e32 v12, 0xc61c4000
	;; [unrolled: 1-line block ×3, first 2 shown]
.LBB231_8:                              ; =>This Inner Loop Header: Depth=1
	v_cmp_gt_f32_e64 s[0:1], v3, v2
	v_cndmask_b32_e64 v14, 0, 1, s[0:1]
	v_cmp_le_i32_e64 s[2:3], s9, v14
	v_cmp_gt_i32_e64 s[4:5], s10, v14
	s_and_b64 s[2:3], s[2:3], s[4:5]
	v_subrev_u32_e32 v14, s9, v14
	v_ashrrev_i32_e32 v15, 31, v14
	s_and_b64 s[2:3], s[12:13], s[2:3]
	v_cndmask_b32_e64 v16, v0, v1, s[0:1]
	v_cndmask_b32_e64 v15, 0, v15, s[2:3]
	;; [unrolled: 1-line block ×3, first 2 shown]
	s_add_i32 s11, s11, 1
	global_store_dword v[4:5], v16, off
	global_store_dwordx2 v[6:7], v[14:15], off
	global_store_dword v[8:9], v13, off
	v_add_f32_e32 v14, v11, v16
	s_cmp_lt_i32 s11, s8
	v_cndmask_b32_e32 v11, v11, v14, vcc
	v_cndmask_b32_e64 v14, v12, v2, s[0:1]
	v_cndmask_b32_e64 v15, v3, v12, s[0:1]
	s_cselect_b64 s[0:1], -1, 0
	v_cndmask_b32_e64 v3, v3, v15, s[0:1]
	v_cndmask_b32_e64 v2, v2, v14, s[0:1]
	v_add_co_u32_e64 v4, s[0:1], 4, v4
	v_addc_co_u32_e64 v5, s[0:1], 0, v5, s[0:1]
	v_add_co_u32_e64 v6, s[0:1], 8, v6
	v_addc_co_u32_e64 v7, s[0:1], 0, v7, s[0:1]
	v_add_co_u32_e64 v8, s[0:1], 4, v8
	v_add_u32_e32 v13, s16, v13
	s_cmp_eq_u32 s8, s11
	v_addc_co_u32_e64 v9, s[0:1], 0, v9, s[0:1]
	s_cbranch_scc0 .LBB231_8
; %bb.9:
	s_and_b64 vcc, exec, vcc
	s_cbranch_vccnz .LBB231_11
	s_branch .LBB231_19
.LBB231_10:
	v_mov_b32_e32 v11, 0
	s_and_b64 vcc, exec, vcc
	s_cbranch_vccz .LBB231_19
.LBB231_11:
	s_andn2_b64 vcc, exec, s[14:15]
	s_cbranch_vccnz .LBB231_19
; %bb.12:
	v_cmp_lt_f32_e32 vcc, 0, v11
	s_mov_b32 s2, 0
	v_cndmask_b32_e32 v0, 1.0, v11, vcc
	v_mul_lo_u32 v4, v10, s8
	s_cmp_eq_u32 s8, 1
	s_mov_b64 s[0:1], -1
	s_cbranch_scc1 .LBB231_16
; %bb.13:
	s_and_b32 s2, s8, 0x7ffffffe
	v_mov_b32_e32 v1, v0
	v_mov_b32_e32 v5, s7
	s_mov_b32 s3, s2
	v_mov_b32_e32 v2, v4
.LBB231_14:                             ; =>This Inner Loop Header: Depth=1
	v_ashrrev_i32_e32 v3, 31, v2
	v_lshlrev_b64 v[6:7], 2, v[2:3]
	v_add_co_u32_e32 v6, vcc, s6, v6
	v_addc_co_u32_e32 v7, vcc, v5, v7, vcc
	global_load_dwordx2 v[8:9], v[6:7], off
	s_add_i32 s3, s3, -2
	s_cmp_lg_u32 s3, 0
	v_add_u32_e32 v2, 2, v2
	s_waitcnt vmcnt(0)
	v_div_scale_f32 v3, s[0:1], v1, v1, v9
	v_div_scale_f32 v11, s[0:1], v0, v0, v8
	v_rcp_f32_e32 v12, v3
	v_rcp_f32_e32 v13, v11
	v_div_scale_f32 v10, vcc, v9, v1, v9
	v_fma_f32 v15, -v3, v12, 1.0
	v_fma_f32 v16, -v11, v13, 1.0
	v_fmac_f32_e32 v12, v15, v12
	v_div_scale_f32 v14, s[0:1], v8, v0, v8
	v_fmac_f32_e32 v13, v16, v13
	v_mul_f32_e32 v15, v10, v12
	v_mul_f32_e32 v16, v14, v13
	v_fma_f32 v17, -v3, v15, v10
	v_fma_f32 v18, -v11, v16, v14
	v_fmac_f32_e32 v15, v17, v12
	v_fmac_f32_e32 v16, v18, v13
	v_fma_f32 v3, -v3, v15, v10
	v_fma_f32 v10, -v11, v16, v14
	v_div_fmas_f32 v3, v3, v12, v15
	s_mov_b64 vcc, s[0:1]
	v_div_fixup_f32 v9, v3, v1, v9
	v_div_fmas_f32 v3, v10, v13, v16
	v_div_fixup_f32 v8, v3, v0, v8
	global_store_dwordx2 v[6:7], v[8:9], off
	s_cbranch_scc1 .LBB231_14
; %bb.15:
	s_cmp_lg_u32 s2, s8
	s_cselect_b64 s[0:1], -1, 0
.LBB231_16:
	s_and_b64 vcc, exec, s[0:1]
	s_cbranch_vccz .LBB231_19
; %bb.17:
	v_ashrrev_i32_e32 v1, 31, v4
	v_add_co_u32_e32 v2, vcc, s2, v4
	v_addc_co_u32_e32 v3, vcc, 0, v1, vcc
	v_lshlrev_b64 v[2:3], 2, v[2:3]
	v_mov_b32_e32 v1, s7
	v_add_co_u32_e32 v2, vcc, s6, v2
	s_sub_i32 s0, s8, s2
	v_addc_co_u32_e32 v3, vcc, v1, v3, vcc
.LBB231_18:                             ; =>This Inner Loop Header: Depth=1
	global_load_dword v1, v[2:3], off
	s_add_i32 s0, s0, -1
	s_cmp_lg_u32 s0, 0
	s_waitcnt vmcnt(0)
	v_div_scale_f32 v4, s[2:3], v0, v0, v1
	v_rcp_f32_e32 v5, v4
	v_div_scale_f32 v6, vcc, v1, v0, v1
	v_fma_f32 v7, -v4, v5, 1.0
	v_fmac_f32_e32 v5, v7, v5
	v_mul_f32_e32 v7, v6, v5
	v_fma_f32 v8, -v4, v7, v6
	v_fmac_f32_e32 v7, v8, v5
	v_fma_f32 v4, -v4, v7, v6
	v_div_fmas_f32 v4, v4, v5, v7
	v_div_fixup_f32 v1, v4, v0, v1
	global_store_dword v[2:3], v1, off
	v_add_co_u32_e32 v2, vcc, 4, v2
	v_addc_co_u32_e32 v3, vcc, 0, v3, vcc
	s_cbranch_scc1 .LBB231_18
.LBB231_19:
	s_endpgm
	.section	.rodata,"a",@progbits
	.p2align	6, 0x0
	.amdhsa_kernel _ZN4vllm3moe10topkGatingILi2ELi2ELi4ELi8ELi64ElfLNS0_11ScoringFuncE1EEEvPKT5_PKbPfiPT4_PiiiibPKf
		.amdhsa_group_segment_fixed_size 0
		.amdhsa_private_segment_fixed_size 0
		.amdhsa_kernarg_size 72
		.amdhsa_user_sgpr_count 6
		.amdhsa_user_sgpr_private_segment_buffer 1
		.amdhsa_user_sgpr_dispatch_ptr 0
		.amdhsa_user_sgpr_queue_ptr 0
		.amdhsa_user_sgpr_kernarg_segment_ptr 1
		.amdhsa_user_sgpr_dispatch_id 0
		.amdhsa_user_sgpr_flat_scratch_init 0
		.amdhsa_user_sgpr_kernarg_preload_length 0
		.amdhsa_user_sgpr_kernarg_preload_offset 0
		.amdhsa_user_sgpr_private_segment_size 0
		.amdhsa_uses_dynamic_stack 0
		.amdhsa_system_sgpr_private_segment_wavefront_offset 0
		.amdhsa_system_sgpr_workgroup_id_x 1
		.amdhsa_system_sgpr_workgroup_id_y 0
		.amdhsa_system_sgpr_workgroup_id_z 0
		.amdhsa_system_sgpr_workgroup_info 0
		.amdhsa_system_vgpr_workitem_id 1
		.amdhsa_next_free_vgpr 19
		.amdhsa_next_free_sgpr 24
		.amdhsa_accum_offset 20
		.amdhsa_reserve_vcc 1
		.amdhsa_reserve_flat_scratch 0
		.amdhsa_float_round_mode_32 0
		.amdhsa_float_round_mode_16_64 0
		.amdhsa_float_denorm_mode_32 3
		.amdhsa_float_denorm_mode_16_64 3
		.amdhsa_dx10_clamp 1
		.amdhsa_ieee_mode 1
		.amdhsa_fp16_overflow 0
		.amdhsa_tg_split 0
		.amdhsa_exception_fp_ieee_invalid_op 0
		.amdhsa_exception_fp_denorm_src 0
		.amdhsa_exception_fp_ieee_div_zero 0
		.amdhsa_exception_fp_ieee_overflow 0
		.amdhsa_exception_fp_ieee_underflow 0
		.amdhsa_exception_fp_ieee_inexact 0
		.amdhsa_exception_int_div_zero 0
	.end_amdhsa_kernel
	.section	.text._ZN4vllm3moe10topkGatingILi2ELi2ELi4ELi8ELi64ElfLNS0_11ScoringFuncE1EEEvPKT5_PKbPfiPT4_PiiiibPKf,"axG",@progbits,_ZN4vllm3moe10topkGatingILi2ELi2ELi4ELi8ELi64ElfLNS0_11ScoringFuncE1EEEvPKT5_PKbPfiPT4_PiiiibPKf,comdat
.Lfunc_end231:
	.size	_ZN4vllm3moe10topkGatingILi2ELi2ELi4ELi8ELi64ElfLNS0_11ScoringFuncE1EEEvPKT5_PKbPfiPT4_PiiiibPKf, .Lfunc_end231-_ZN4vllm3moe10topkGatingILi2ELi2ELi4ELi8ELi64ElfLNS0_11ScoringFuncE1EEEvPKT5_PKbPfiPT4_PiiiibPKf
                                        ; -- End function
	.section	.AMDGPU.csdata,"",@progbits
; Kernel info:
; codeLenInByte = 1256
; NumSgprs: 28
; NumVgprs: 19
; NumAgprs: 0
; TotalNumVgprs: 19
; ScratchSize: 0
; MemoryBound: 1
; FloatMode: 240
; IeeeMode: 1
; LDSByteSize: 0 bytes/workgroup (compile time only)
; SGPRBlocks: 3
; VGPRBlocks: 2
; NumSGPRsForWavesPerEU: 28
; NumVGPRsForWavesPerEU: 19
; AccumOffset: 20
; Occupancy: 8
; WaveLimiterHint : 0
; COMPUTE_PGM_RSRC2:SCRATCH_EN: 0
; COMPUTE_PGM_RSRC2:USER_SGPR: 6
; COMPUTE_PGM_RSRC2:TRAP_HANDLER: 0
; COMPUTE_PGM_RSRC2:TGID_X_EN: 1
; COMPUTE_PGM_RSRC2:TGID_Y_EN: 0
; COMPUTE_PGM_RSRC2:TGID_Z_EN: 0
; COMPUTE_PGM_RSRC2:TIDIG_COMP_CNT: 1
; COMPUTE_PGM_RSRC3_GFX90A:ACCUM_OFFSET: 4
; COMPUTE_PGM_RSRC3_GFX90A:TG_SPLIT: 0
	.section	.text._ZN4vllm3moe10topkGatingILi2ELi2ELi4ELi8ELi32ElfLNS0_11ScoringFuncE1EEEvPKT5_PKbPfiPT4_PiiiibPKf,"axG",@progbits,_ZN4vllm3moe10topkGatingILi2ELi2ELi4ELi8ELi32ElfLNS0_11ScoringFuncE1EEEvPKT5_PKbPfiPT4_PiiiibPKf,comdat
	.protected	_ZN4vllm3moe10topkGatingILi2ELi2ELi4ELi8ELi32ElfLNS0_11ScoringFuncE1EEEvPKT5_PKbPfiPT4_PiiiibPKf ; -- Begin function _ZN4vllm3moe10topkGatingILi2ELi2ELi4ELi8ELi32ElfLNS0_11ScoringFuncE1EEEvPKT5_PKbPfiPT4_PiiiibPKf
	.globl	_ZN4vllm3moe10topkGatingILi2ELi2ELi4ELi8ELi32ElfLNS0_11ScoringFuncE1EEEvPKT5_PKbPfiPT4_PiiiibPKf
	.p2align	8
	.type	_ZN4vllm3moe10topkGatingILi2ELi2ELi4ELi8ELi32ElfLNS0_11ScoringFuncE1EEEvPKT5_PKbPfiPT4_PiiiibPKf,@function
_ZN4vllm3moe10topkGatingILi2ELi2ELi4ELi8ELi32ElfLNS0_11ScoringFuncE1EEEvPKT5_PKbPfiPT4_PiiiibPKf: ; @_ZN4vllm3moe10topkGatingILi2ELi2ELi4ELi8ELi32ElfLNS0_11ScoringFuncE1EEEvPKT5_PKbPfiPT4_PiiiibPKf
; %bb.0:
	s_load_dword s16, s[4:5], 0x18
	v_bfe_u32 v1, v0, 10, 10
	s_lshl_b32 s0, s6, 7
	v_lshlrev_b32_e32 v1, 5, v1
	v_and_b32_e32 v0, 0x3ff, v0
	v_add3_u32 v10, v1, v0, s0
	s_waitcnt lgkmcnt(0)
	v_cmp_gt_i32_e32 vcc, s16, v10
	s_and_saveexec_b64 s[0:1], vcc
	s_cbranch_execz .LBB232_19
; %bb.1:
	s_load_dwordx4 s[0:3], s[4:5], 0x0
	s_load_dwordx2 s[6:7], s[4:5], 0x10
	s_waitcnt lgkmcnt(0)
	s_cmp_eq_u64 s[2:3], 0
	s_cbranch_scc1 .LBB232_3
; %bb.2:
	v_ashrrev_i32_e32 v1, 31, v10
	v_mov_b32_e32 v2, s3
	v_add_co_u32_e32 v0, vcc, s2, v10
	v_addc_co_u32_e32 v1, vcc, v2, v1, vcc
	global_load_ubyte v0, v[0:1], off
	s_waitcnt vmcnt(0)
	v_and_b32_e32 v0, 1, v0
	v_cmp_eq_u32_e32 vcc, 1, v0
	s_xor_b64 s[2:3], vcc, -1
	s_orn2_b64 s[12:13], s[2:3], exec
	s_branch .LBB232_4
.LBB232_3:
	s_mov_b64 s[12:13], -1
.LBB232_4:
	v_lshlrev_b32_e32 v0, 1, v10
	v_ashrrev_i32_e32 v1, 31, v0
	v_lshlrev_b64 v[0:1], 2, v[0:1]
	v_mov_b32_e32 v2, s1
	v_add_co_u32_e32 v0, vcc, s0, v0
	v_addc_co_u32_e32 v1, vcc, v2, v1, vcc
	global_load_dwordx2 v[0:1], v[0:1], off
	s_load_dwordx2 s[2:3], s[4:5], 0x40
	s_movk_i32 s8, 0x1f8
	s_waitcnt lgkmcnt(0)
	s_cmp_eq_u64 s[2:3], 0
	s_waitcnt vmcnt(0)
	v_mul_f32_e32 v0, 0xbfb8aa3b, v0
	v_mul_f32_e32 v1, 0xbfb8aa3b, v1
	v_exp_f32_e32 v0, v0
	v_exp_f32_e32 v1, v1
	v_pk_add_f32 v[0:1], v[0:1], 1.0 op_sel_hi:[1,0]
	v_div_scale_f32 v2, s[0:1], v1, v1, 1.0
	v_div_scale_f32 v4, s[0:1], v0, v0, 1.0
	v_rcp_f32_e32 v5, v2
	v_rcp_f32_e32 v6, v4
	v_div_scale_f32 v3, vcc, 1.0, v1, 1.0
	v_fma_f32 v8, -v2, v5, 1.0
	v_fma_f32 v9, -v4, v6, 1.0
	v_fmac_f32_e32 v5, v8, v5
	v_div_scale_f32 v7, s[0:1], 1.0, v0, 1.0
	v_fmac_f32_e32 v6, v9, v6
	v_mul_f32_e32 v8, v3, v5
	v_mul_f32_e32 v9, v7, v6
	v_fma_f32 v11, -v2, v8, v3
	v_fma_f32 v12, -v4, v9, v7
	v_fmac_f32_e32 v8, v11, v5
	v_fmac_f32_e32 v9, v12, v6
	v_fma_f32 v2, -v2, v8, v3
	v_fma_f32 v3, -v4, v9, v7
	v_div_fmas_f32 v2, v2, v5, v8
	s_mov_b64 vcc, s[0:1]
	v_div_fixup_f32 v1, v2, v1, 1.0
	v_div_fmas_f32 v2, v3, v6, v9
	v_div_fixup_f32 v0, v2, v0, 1.0
	v_cmp_class_f32_e64 vcc, v1, s8
	v_cndmask_b32_e32 v1, 0, v1, vcc
	v_cmp_class_f32_e64 vcc, v0, s8
	v_cndmask_b32_e32 v0, 0, v0, vcc
	v_pk_mov_b32 v[2:3], v[0:1], v[0:1] op_sel:[0,1]
	s_cbranch_scc1 .LBB232_6
; %bb.5:
	s_load_dwordx2 s[0:1], s[2:3], 0x0
	s_waitcnt lgkmcnt(0)
	v_pk_add_f32 v[2:3], v[0:1], s[0:1]
.LBB232_6:
	s_load_dwordx4 s[8:11], s[4:5], 0x30
	s_waitcnt lgkmcnt(0)
	s_bitcmp1_b32 s11, 0
	s_cselect_b64 vcc, -1, 0
	s_cmp_gt_i32 s8, 0
	s_cselect_b64 s[14:15], -1, 0
	s_cmp_lt_i32 s8, 1
	s_cbranch_scc1 .LBB232_10
; %bb.7:
	s_load_dwordx4 s[20:23], s[4:5], 0x20
	v_mul_lo_u32 v6, v10, s8
	v_ashrrev_i32_e32 v7, 31, v6
	v_lshlrev_b64 v[8:9], 2, v[6:7]
	v_mov_b32_e32 v5, s7
	v_add_co_u32_e64 v4, s[0:1], s6, v8
	v_addc_co_u32_e64 v5, s[0:1], v5, v9, s[0:1]
	v_lshlrev_b64 v[6:7], 3, v[6:7]
	s_waitcnt lgkmcnt(0)
	v_mov_b32_e32 v11, s21
	v_add_co_u32_e64 v6, s[0:1], s20, v6
	v_addc_co_u32_e64 v7, s[0:1], v11, v7, s[0:1]
	v_mov_b32_e32 v11, s23
	v_add_co_u32_e64 v8, s[0:1], s22, v8
	v_addc_co_u32_e64 v9, s[0:1], v11, v9, s[0:1]
	s_mov_b32 s11, 0
	v_mov_b32_e32 v11, 0
	v_mov_b32_e32 v12, 0xc61c4000
	;; [unrolled: 1-line block ×3, first 2 shown]
.LBB232_8:                              ; =>This Inner Loop Header: Depth=1
	v_cmp_gt_f32_e64 s[0:1], v3, v2
	v_cndmask_b32_e64 v14, 0, 1, s[0:1]
	v_cmp_le_i32_e64 s[2:3], s9, v14
	v_cmp_gt_i32_e64 s[4:5], s10, v14
	s_and_b64 s[2:3], s[2:3], s[4:5]
	v_subrev_u32_e32 v14, s9, v14
	v_ashrrev_i32_e32 v15, 31, v14
	s_and_b64 s[2:3], s[12:13], s[2:3]
	v_cndmask_b32_e64 v16, v0, v1, s[0:1]
	v_cndmask_b32_e64 v15, 0, v15, s[2:3]
	;; [unrolled: 1-line block ×3, first 2 shown]
	s_add_i32 s11, s11, 1
	global_store_dword v[4:5], v16, off
	global_store_dwordx2 v[6:7], v[14:15], off
	global_store_dword v[8:9], v13, off
	v_add_f32_e32 v14, v11, v16
	s_cmp_lt_i32 s11, s8
	v_cndmask_b32_e32 v11, v11, v14, vcc
	v_cndmask_b32_e64 v14, v12, v2, s[0:1]
	v_cndmask_b32_e64 v15, v3, v12, s[0:1]
	s_cselect_b64 s[0:1], -1, 0
	v_cndmask_b32_e64 v3, v3, v15, s[0:1]
	v_cndmask_b32_e64 v2, v2, v14, s[0:1]
	v_add_co_u32_e64 v4, s[0:1], 4, v4
	v_addc_co_u32_e64 v5, s[0:1], 0, v5, s[0:1]
	v_add_co_u32_e64 v6, s[0:1], 8, v6
	v_addc_co_u32_e64 v7, s[0:1], 0, v7, s[0:1]
	v_add_co_u32_e64 v8, s[0:1], 4, v8
	v_add_u32_e32 v13, s16, v13
	s_cmp_eq_u32 s8, s11
	v_addc_co_u32_e64 v9, s[0:1], 0, v9, s[0:1]
	s_cbranch_scc0 .LBB232_8
; %bb.9:
	s_and_b64 vcc, exec, vcc
	s_cbranch_vccnz .LBB232_11
	s_branch .LBB232_19
.LBB232_10:
	v_mov_b32_e32 v11, 0
	s_and_b64 vcc, exec, vcc
	s_cbranch_vccz .LBB232_19
.LBB232_11:
	s_andn2_b64 vcc, exec, s[14:15]
	s_cbranch_vccnz .LBB232_19
; %bb.12:
	v_cmp_lt_f32_e32 vcc, 0, v11
	s_mov_b32 s2, 0
	v_cndmask_b32_e32 v0, 1.0, v11, vcc
	v_mul_lo_u32 v4, v10, s8
	s_cmp_eq_u32 s8, 1
	s_mov_b64 s[0:1], -1
	s_cbranch_scc1 .LBB232_16
; %bb.13:
	s_and_b32 s2, s8, 0x7ffffffe
	v_mov_b32_e32 v1, v0
	v_mov_b32_e32 v5, s7
	s_mov_b32 s3, s2
	v_mov_b32_e32 v2, v4
.LBB232_14:                             ; =>This Inner Loop Header: Depth=1
	v_ashrrev_i32_e32 v3, 31, v2
	v_lshlrev_b64 v[6:7], 2, v[2:3]
	v_add_co_u32_e32 v6, vcc, s6, v6
	v_addc_co_u32_e32 v7, vcc, v5, v7, vcc
	global_load_dwordx2 v[8:9], v[6:7], off
	s_add_i32 s3, s3, -2
	s_cmp_lg_u32 s3, 0
	v_add_u32_e32 v2, 2, v2
	s_waitcnt vmcnt(0)
	v_div_scale_f32 v3, s[0:1], v1, v1, v9
	v_div_scale_f32 v11, s[0:1], v0, v0, v8
	v_rcp_f32_e32 v12, v3
	v_rcp_f32_e32 v13, v11
	v_div_scale_f32 v10, vcc, v9, v1, v9
	v_fma_f32 v15, -v3, v12, 1.0
	v_fma_f32 v16, -v11, v13, 1.0
	v_fmac_f32_e32 v12, v15, v12
	v_div_scale_f32 v14, s[0:1], v8, v0, v8
	v_fmac_f32_e32 v13, v16, v13
	v_mul_f32_e32 v15, v10, v12
	v_mul_f32_e32 v16, v14, v13
	v_fma_f32 v17, -v3, v15, v10
	v_fma_f32 v18, -v11, v16, v14
	v_fmac_f32_e32 v15, v17, v12
	v_fmac_f32_e32 v16, v18, v13
	v_fma_f32 v3, -v3, v15, v10
	v_fma_f32 v10, -v11, v16, v14
	v_div_fmas_f32 v3, v3, v12, v15
	s_mov_b64 vcc, s[0:1]
	v_div_fixup_f32 v9, v3, v1, v9
	v_div_fmas_f32 v3, v10, v13, v16
	v_div_fixup_f32 v8, v3, v0, v8
	global_store_dwordx2 v[6:7], v[8:9], off
	s_cbranch_scc1 .LBB232_14
; %bb.15:
	s_cmp_lg_u32 s2, s8
	s_cselect_b64 s[0:1], -1, 0
.LBB232_16:
	s_and_b64 vcc, exec, s[0:1]
	s_cbranch_vccz .LBB232_19
; %bb.17:
	v_ashrrev_i32_e32 v1, 31, v4
	v_add_co_u32_e32 v2, vcc, s2, v4
	v_addc_co_u32_e32 v3, vcc, 0, v1, vcc
	v_lshlrev_b64 v[2:3], 2, v[2:3]
	v_mov_b32_e32 v1, s7
	v_add_co_u32_e32 v2, vcc, s6, v2
	s_sub_i32 s0, s8, s2
	v_addc_co_u32_e32 v3, vcc, v1, v3, vcc
.LBB232_18:                             ; =>This Inner Loop Header: Depth=1
	global_load_dword v1, v[2:3], off
	s_add_i32 s0, s0, -1
	s_cmp_lg_u32 s0, 0
	s_waitcnt vmcnt(0)
	v_div_scale_f32 v4, s[2:3], v0, v0, v1
	v_rcp_f32_e32 v5, v4
	v_div_scale_f32 v6, vcc, v1, v0, v1
	v_fma_f32 v7, -v4, v5, 1.0
	v_fmac_f32_e32 v5, v7, v5
	v_mul_f32_e32 v7, v6, v5
	v_fma_f32 v8, -v4, v7, v6
	v_fmac_f32_e32 v7, v8, v5
	v_fma_f32 v4, -v4, v7, v6
	v_div_fmas_f32 v4, v4, v5, v7
	v_div_fixup_f32 v1, v4, v0, v1
	global_store_dword v[2:3], v1, off
	v_add_co_u32_e32 v2, vcc, 4, v2
	v_addc_co_u32_e32 v3, vcc, 0, v3, vcc
	s_cbranch_scc1 .LBB232_18
.LBB232_19:
	s_endpgm
	.section	.rodata,"a",@progbits
	.p2align	6, 0x0
	.amdhsa_kernel _ZN4vllm3moe10topkGatingILi2ELi2ELi4ELi8ELi32ElfLNS0_11ScoringFuncE1EEEvPKT5_PKbPfiPT4_PiiiibPKf
		.amdhsa_group_segment_fixed_size 0
		.amdhsa_private_segment_fixed_size 0
		.amdhsa_kernarg_size 72
		.amdhsa_user_sgpr_count 6
		.amdhsa_user_sgpr_private_segment_buffer 1
		.amdhsa_user_sgpr_dispatch_ptr 0
		.amdhsa_user_sgpr_queue_ptr 0
		.amdhsa_user_sgpr_kernarg_segment_ptr 1
		.amdhsa_user_sgpr_dispatch_id 0
		.amdhsa_user_sgpr_flat_scratch_init 0
		.amdhsa_user_sgpr_kernarg_preload_length 0
		.amdhsa_user_sgpr_kernarg_preload_offset 0
		.amdhsa_user_sgpr_private_segment_size 0
		.amdhsa_uses_dynamic_stack 0
		.amdhsa_system_sgpr_private_segment_wavefront_offset 0
		.amdhsa_system_sgpr_workgroup_id_x 1
		.amdhsa_system_sgpr_workgroup_id_y 0
		.amdhsa_system_sgpr_workgroup_id_z 0
		.amdhsa_system_sgpr_workgroup_info 0
		.amdhsa_system_vgpr_workitem_id 1
		.amdhsa_next_free_vgpr 19
		.amdhsa_next_free_sgpr 24
		.amdhsa_accum_offset 20
		.amdhsa_reserve_vcc 1
		.amdhsa_reserve_flat_scratch 0
		.amdhsa_float_round_mode_32 0
		.amdhsa_float_round_mode_16_64 0
		.amdhsa_float_denorm_mode_32 3
		.amdhsa_float_denorm_mode_16_64 3
		.amdhsa_dx10_clamp 1
		.amdhsa_ieee_mode 1
		.amdhsa_fp16_overflow 0
		.amdhsa_tg_split 0
		.amdhsa_exception_fp_ieee_invalid_op 0
		.amdhsa_exception_fp_denorm_src 0
		.amdhsa_exception_fp_ieee_div_zero 0
		.amdhsa_exception_fp_ieee_overflow 0
		.amdhsa_exception_fp_ieee_underflow 0
		.amdhsa_exception_fp_ieee_inexact 0
		.amdhsa_exception_int_div_zero 0
	.end_amdhsa_kernel
	.section	.text._ZN4vllm3moe10topkGatingILi2ELi2ELi4ELi8ELi32ElfLNS0_11ScoringFuncE1EEEvPKT5_PKbPfiPT4_PiiiibPKf,"axG",@progbits,_ZN4vllm3moe10topkGatingILi2ELi2ELi4ELi8ELi32ElfLNS0_11ScoringFuncE1EEEvPKT5_PKbPfiPT4_PiiiibPKf,comdat
.Lfunc_end232:
	.size	_ZN4vllm3moe10topkGatingILi2ELi2ELi4ELi8ELi32ElfLNS0_11ScoringFuncE1EEEvPKT5_PKbPfiPT4_PiiiibPKf, .Lfunc_end232-_ZN4vllm3moe10topkGatingILi2ELi2ELi4ELi8ELi32ElfLNS0_11ScoringFuncE1EEEvPKT5_PKbPfiPT4_PiiiibPKf
                                        ; -- End function
	.section	.AMDGPU.csdata,"",@progbits
; Kernel info:
; codeLenInByte = 1256
; NumSgprs: 28
; NumVgprs: 19
; NumAgprs: 0
; TotalNumVgprs: 19
; ScratchSize: 0
; MemoryBound: 1
; FloatMode: 240
; IeeeMode: 1
; LDSByteSize: 0 bytes/workgroup (compile time only)
; SGPRBlocks: 3
; VGPRBlocks: 2
; NumSGPRsForWavesPerEU: 28
; NumVGPRsForWavesPerEU: 19
; AccumOffset: 20
; Occupancy: 8
; WaveLimiterHint : 0
; COMPUTE_PGM_RSRC2:SCRATCH_EN: 0
; COMPUTE_PGM_RSRC2:USER_SGPR: 6
; COMPUTE_PGM_RSRC2:TRAP_HANDLER: 0
; COMPUTE_PGM_RSRC2:TGID_X_EN: 1
; COMPUTE_PGM_RSRC2:TGID_Y_EN: 0
; COMPUTE_PGM_RSRC2:TGID_Z_EN: 0
; COMPUTE_PGM_RSRC2:TIDIG_COMP_CNT: 1
; COMPUTE_PGM_RSRC3_GFX90A:ACCUM_OFFSET: 4
; COMPUTE_PGM_RSRC3_GFX90A:TG_SPLIT: 0
	.section	.text._ZN4vllm3moe10topkGatingILi4ELi4ELi4ELi16ELi64ElfLNS0_11ScoringFuncE1EEEvPKT5_PKbPfiPT4_PiiiibPKf,"axG",@progbits,_ZN4vllm3moe10topkGatingILi4ELi4ELi4ELi16ELi64ElfLNS0_11ScoringFuncE1EEEvPKT5_PKbPfiPT4_PiiiibPKf,comdat
	.protected	_ZN4vllm3moe10topkGatingILi4ELi4ELi4ELi16ELi64ElfLNS0_11ScoringFuncE1EEEvPKT5_PKbPfiPT4_PiiiibPKf ; -- Begin function _ZN4vllm3moe10topkGatingILi4ELi4ELi4ELi16ELi64ElfLNS0_11ScoringFuncE1EEEvPKT5_PKbPfiPT4_PiiiibPKf
	.globl	_ZN4vllm3moe10topkGatingILi4ELi4ELi4ELi16ELi64ElfLNS0_11ScoringFuncE1EEEvPKT5_PKbPfiPT4_PiiiibPKf
	.p2align	8
	.type	_ZN4vllm3moe10topkGatingILi4ELi4ELi4ELi16ELi64ElfLNS0_11ScoringFuncE1EEEvPKT5_PKbPfiPT4_PiiiibPKf,@function
_ZN4vllm3moe10topkGatingILi4ELi4ELi4ELi16ELi64ElfLNS0_11ScoringFuncE1EEEvPKT5_PKbPfiPT4_PiiiibPKf: ; @_ZN4vllm3moe10topkGatingILi4ELi4ELi4ELi16ELi64ElfLNS0_11ScoringFuncE1EEEvPKT5_PKbPfiPT4_PiiiibPKf
; %bb.0:
	s_load_dword s16, s[4:5], 0x18
	v_bfe_u32 v1, v0, 10, 10
	s_lshl_b32 s0, s6, 8
	v_lshlrev_b32_e32 v1, 6, v1
	v_and_b32_e32 v0, 0x3ff, v0
	v_add3_u32 v14, v1, v0, s0
	s_waitcnt lgkmcnt(0)
	v_cmp_gt_i32_e32 vcc, s16, v14
	s_and_saveexec_b64 s[0:1], vcc
	s_cbranch_execz .LBB233_20
; %bb.1:
	s_load_dwordx4 s[0:3], s[4:5], 0x0
	s_load_dwordx2 s[12:13], s[4:5], 0x10
	s_mov_b64 s[8:9], -1
	s_mov_b64 s[14:15], -1
	s_waitcnt lgkmcnt(0)
	s_cmp_eq_u64 s[2:3], 0
	s_cbranch_scc1 .LBB233_3
; %bb.2:
	v_ashrrev_i32_e32 v1, 31, v14
	v_mov_b32_e32 v2, s3
	v_add_co_u32_e32 v0, vcc, s2, v14
	v_addc_co_u32_e32 v1, vcc, v2, v1, vcc
	global_load_ubyte v0, v[0:1], off
	s_waitcnt vmcnt(0)
	v_and_b32_e32 v0, 1, v0
	v_cmp_eq_u32_e32 vcc, 1, v0
	s_xor_b64 s[2:3], vcc, -1
	s_orn2_b64 s[14:15], s[2:3], exec
.LBB233_3:
	v_lshlrev_b32_e32 v0, 2, v14
	v_ashrrev_i32_e32 v1, 31, v0
	v_lshlrev_b64 v[0:1], 2, v[0:1]
	v_mov_b32_e32 v2, s1
	v_add_co_u32_e32 v0, vcc, s0, v0
	v_addc_co_u32_e32 v1, vcc, v2, v1, vcc
	global_load_dwordx4 v[0:3], v[0:1], off
	v_mov_b32_e32 v4, 0x207
	s_load_dwordx2 s[10:11], s[4:5], 0x40
	s_waitcnt lgkmcnt(0)
	s_cmp_eq_u64 s[10:11], 0
	s_waitcnt vmcnt(0)
	v_mul_f32_e32 v0, 0xbfb8aa3b, v0
	v_mul_f32_e32 v1, 0xbfb8aa3b, v1
	v_exp_f32_e32 v0, v0
	v_exp_f32_e32 v1, v1
	v_mul_f32_e32 v2, 0xbfb8aa3b, v2
	v_mul_f32_e32 v3, 0xbfb8aa3b, v3
	v_exp_f32_e32 v2, v2
	v_exp_f32_e32 v3, v3
	v_pk_add_f32 v[0:1], v[0:1], 1.0 op_sel_hi:[1,0]
	v_div_scale_f32 v5, s[0:1], v1, v1, 1.0
	v_rcp_f32_e32 v13, v5
	v_div_scale_f32 v7, s[0:1], v0, v0, 1.0
	v_pk_add_f32 v[2:3], v[2:3], 1.0 op_sel_hi:[1,0]
	v_rcp_f32_e32 v15, v7
	v_div_scale_f32 v9, s[2:3], v3, v3, 1.0
	v_rcp_f32_e32 v16, v9
	v_fma_f32 v18, -v5, v13, 1.0
	v_div_scale_f32 v6, vcc, 1.0, v1, 1.0
	v_div_scale_f32 v11, s[6:7], v2, v2, 1.0
	v_fmac_f32_e32 v13, v18, v13
	v_rcp_f32_e32 v17, v11
	v_fma_f32 v19, -v7, v15, 1.0
	v_mul_f32_e32 v18, v6, v13
	v_div_scale_f32 v8, s[0:1], 1.0, v0, 1.0
	v_fmac_f32_e32 v15, v19, v15
	v_fma_f32 v22, -v5, v18, v6
	v_fma_f32 v20, -v9, v16, 1.0
	v_mul_f32_e32 v19, v8, v15
	v_fmac_f32_e32 v18, v22, v13
	v_div_scale_f32 v10, s[2:3], 1.0, v3, 1.0
	v_fmac_f32_e32 v16, v20, v16
	v_fma_f32 v23, -v7, v19, v8
	v_fma_f32 v5, -v5, v18, v6
	v_fma_f32 v21, -v11, v17, 1.0
	v_mul_f32_e32 v20, v10, v16
	v_fmac_f32_e32 v19, v23, v15
	v_div_fmas_f32 v5, v5, v13, v18
	v_div_scale_f32 v12, s[6:7], 1.0, v2, 1.0
	v_fmac_f32_e32 v17, v21, v17
	v_fma_f32 v24, -v9, v20, v10
	v_fma_f32 v6, -v7, v19, v8
	v_div_fixup_f32 v1, v5, v1, 1.0
	s_mov_b64 vcc, s[0:1]
	v_mul_f32_e32 v21, v12, v17
	v_fmac_f32_e32 v20, v24, v16
	v_div_fmas_f32 v5, v6, v15, v19
	v_cmp_class_f32_e32 vcc, v1, v4
	v_fma_f32 v25, -v11, v21, v12
	v_fma_f32 v7, -v9, v20, v10
	v_div_fixup_f32 v0, v5, v0, 1.0
	v_cndmask_b32_e64 v1, v1, 0, vcc
	s_mov_b64 vcc, s[2:3]
	v_fmac_f32_e32 v21, v25, v17
	v_div_fmas_f32 v5, v7, v16, v20
	v_cmp_class_f32_e32 vcc, v0, v4
	v_fma_f32 v8, -v11, v21, v12
	v_cndmask_b32_e64 v0, v0, 0, vcc
	s_mov_b64 vcc, s[6:7]
	v_div_fixup_f32 v3, v5, v3, 1.0
	v_div_fmas_f32 v5, v8, v17, v21
	v_div_fixup_f32 v2, v5, v2, 1.0
	v_cmp_class_f32_e32 vcc, v3, v4
	v_cndmask_b32_e64 v3, v3, 0, vcc
	v_cmp_class_f32_e32 vcc, v2, v4
	v_cndmask_b32_e64 v2, v2, 0, vcc
	s_cbranch_scc1 .LBB233_10
; %bb.4:
	s_load_dwordx4 s[0:3], s[10:11], 0x0
	s_waitcnt lgkmcnt(0)
	v_pk_add_f32 v[4:5], s[0:1], v[0:1]
	v_pk_add_f32 v[6:7], s[2:3], v[2:3]
	s_cbranch_execnz .LBB233_6
.LBB233_5:
	v_pk_mov_b32 v[6:7], v[2:3], v[2:3] op_sel:[0,1]
	v_pk_mov_b32 v[4:5], v[0:1], v[0:1] op_sel:[0,1]
.LBB233_6:
	s_load_dwordx4 s[8:11], s[4:5], 0x30
	s_waitcnt lgkmcnt(0)
	s_bitcmp1_b32 s11, 0
	s_cselect_b64 vcc, -1, 0
	s_cmp_gt_i32 s8, 0
	s_cselect_b64 s[6:7], -1, 0
	s_cmp_lt_i32 s8, 1
	s_mov_b32 s11, 0
	s_cbranch_scc1 .LBB233_11
; %bb.7:
	s_load_dwordx4 s[20:23], s[4:5], 0x20
	v_mul_lo_u32 v10, v14, s8
	v_ashrrev_i32_e32 v11, 31, v10
	v_lshlrev_b64 v[12:13], 2, v[10:11]
	v_mov_b32_e32 v9, s13
	v_add_co_u32_e64 v8, s[0:1], s12, v12
	v_addc_co_u32_e64 v9, s[0:1], v9, v13, s[0:1]
	v_lshlrev_b64 v[10:11], 3, v[10:11]
	s_waitcnt lgkmcnt(0)
	v_mov_b32_e32 v15, s21
	v_add_co_u32_e64 v10, s[0:1], s20, v10
	v_addc_co_u32_e64 v11, s[0:1], v15, v11, s[0:1]
	v_mov_b32_e32 v15, s23
	v_add_co_u32_e64 v12, s[0:1], s22, v12
	v_addc_co_u32_e64 v13, s[0:1], v15, v13, s[0:1]
	v_mov_b32_e32 v15, 0
	v_mov_b32_e32 v16, 0xc61c4000
	v_mov_b32_e32 v17, v14
.LBB233_8:                              ; =>This Inner Loop Header: Depth=1
	v_cmp_gt_f32_e64 s[0:1], v5, v4
	v_cndmask_b32_e64 v20, v4, v5, s[0:1]
	v_cndmask_b32_e64 v18, 0, 1, s[0:1]
	;; [unrolled: 1-line block ×3, first 2 shown]
	v_cmp_gt_f32_e64 s[0:1], v6, v20
	v_cndmask_b32_e64 v20, v20, v6, s[0:1]
	v_cndmask_b32_e64 v18, v18, 2, s[0:1]
	;; [unrolled: 1-line block ×3, first 2 shown]
	v_cmp_gt_f32_e64 s[0:1], v7, v20
	v_cndmask_b32_e64 v20, v18, 3, s[0:1]
	v_cndmask_b32_e64 v21, v19, v3, s[0:1]
	v_cmp_le_i32_e64 s[0:1], s9, v20
	v_cmp_gt_i32_e64 s[2:3], s10, v20
	s_and_b64 s[0:1], s[0:1], s[2:3]
	v_subrev_u32_e32 v18, s9, v20
	v_ashrrev_i32_e32 v19, 31, v18
	s_and_b64 s[0:1], s[14:15], s[0:1]
	v_cndmask_b32_e64 v19, 0, v19, s[0:1]
	v_cndmask_b32_e64 v18, 4, v18, s[0:1]
	global_store_dword v[8:9], v21, off
	global_store_dwordx2 v[10:11], v[18:19], off
	global_store_dword v[12:13], v17, off
	v_add_f32_e32 v18, v15, v21
	v_cmp_ne_u32_e64 s[0:1], 0, v20
	v_cndmask_b32_e32 v15, v15, v18, vcc
	v_cndmask_b32_e64 v18, v16, v4, s[0:1]
	v_cmp_ne_u32_e64 s[0:1], 1, v20
	s_add_i32 s11, s11, 1
	v_cndmask_b32_e64 v19, v16, v5, s[0:1]
	v_cmp_ne_u32_e64 s[0:1], 2, v20
	s_cmp_lt_i32 s11, s8
	v_cndmask_b32_e64 v21, v16, v6, s[0:1]
	v_cmp_ne_u32_e64 s[0:1], 3, v20
	v_cndmask_b32_e64 v20, v16, v7, s[0:1]
	s_cselect_b64 s[0:1], -1, 0
	v_cndmask_b32_e64 v7, v7, v20, s[0:1]
	v_cndmask_b32_e64 v6, v6, v21, s[0:1]
	v_cndmask_b32_e64 v5, v5, v19, s[0:1]
	v_cndmask_b32_e64 v4, v4, v18, s[0:1]
	v_add_co_u32_e64 v8, s[0:1], 4, v8
	v_addc_co_u32_e64 v9, s[0:1], 0, v9, s[0:1]
	v_add_co_u32_e64 v10, s[0:1], 8, v10
	v_addc_co_u32_e64 v11, s[0:1], 0, v11, s[0:1]
	v_add_co_u32_e64 v12, s[0:1], 4, v12
	v_add_u32_e32 v17, s16, v17
	s_cmp_eq_u32 s8, s11
	v_addc_co_u32_e64 v13, s[0:1], 0, v13, s[0:1]
	s_cbranch_scc0 .LBB233_8
; %bb.9:
	s_and_b64 vcc, exec, vcc
	s_cbranch_vccnz .LBB233_12
	s_branch .LBB233_20
.LBB233_10:
                                        ; implicit-def: $vgpr4_vgpr5_vgpr6_vgpr7
	s_andn2_b64 vcc, exec, s[8:9]
	s_cbranch_vccz .LBB233_5
	s_branch .LBB233_6
.LBB233_11:
	v_mov_b32_e32 v15, 0
	s_and_b64 vcc, exec, vcc
	s_cbranch_vccz .LBB233_20
.LBB233_12:
	s_andn2_b64 vcc, exec, s[6:7]
	s_cbranch_vccnz .LBB233_20
; %bb.13:
	v_cmp_lt_f32_e32 vcc, 0, v15
	s_mov_b32 s2, 0
	v_cndmask_b32_e32 v0, 1.0, v15, vcc
	v_mul_lo_u32 v4, v14, s8
	s_cmp_eq_u32 s8, 1
	s_mov_b64 s[0:1], -1
	s_cbranch_scc1 .LBB233_17
; %bb.14:
	s_and_b32 s2, s8, 0x7ffffffe
	v_mov_b32_e32 v1, v0
	v_mov_b32_e32 v5, s13
	s_mov_b32 s3, s2
	v_mov_b32_e32 v2, v4
.LBB233_15:                             ; =>This Inner Loop Header: Depth=1
	v_ashrrev_i32_e32 v3, 31, v2
	v_lshlrev_b64 v[6:7], 2, v[2:3]
	v_add_co_u32_e32 v6, vcc, s12, v6
	v_addc_co_u32_e32 v7, vcc, v5, v7, vcc
	global_load_dwordx2 v[8:9], v[6:7], off
	s_add_i32 s3, s3, -2
	s_cmp_lg_u32 s3, 0
	v_add_u32_e32 v2, 2, v2
	s_waitcnt vmcnt(0)
	v_div_scale_f32 v3, s[0:1], v1, v1, v9
	v_div_scale_f32 v11, s[0:1], v0, v0, v8
	v_rcp_f32_e32 v12, v3
	v_rcp_f32_e32 v13, v11
	v_div_scale_f32 v10, vcc, v9, v1, v9
	v_fma_f32 v15, -v3, v12, 1.0
	v_fma_f32 v16, -v11, v13, 1.0
	v_fmac_f32_e32 v12, v15, v12
	v_div_scale_f32 v14, s[0:1], v8, v0, v8
	v_fmac_f32_e32 v13, v16, v13
	v_mul_f32_e32 v15, v10, v12
	v_mul_f32_e32 v16, v14, v13
	v_fma_f32 v17, -v3, v15, v10
	v_fma_f32 v18, -v11, v16, v14
	v_fmac_f32_e32 v15, v17, v12
	v_fmac_f32_e32 v16, v18, v13
	v_fma_f32 v3, -v3, v15, v10
	v_fma_f32 v10, -v11, v16, v14
	v_div_fmas_f32 v3, v3, v12, v15
	s_mov_b64 vcc, s[0:1]
	v_div_fixup_f32 v9, v3, v1, v9
	v_div_fmas_f32 v3, v10, v13, v16
	v_div_fixup_f32 v8, v3, v0, v8
	global_store_dwordx2 v[6:7], v[8:9], off
	s_cbranch_scc1 .LBB233_15
; %bb.16:
	s_cmp_lg_u32 s2, s8
	s_cselect_b64 s[0:1], -1, 0
.LBB233_17:
	s_and_b64 vcc, exec, s[0:1]
	s_cbranch_vccz .LBB233_20
; %bb.18:
	v_ashrrev_i32_e32 v1, 31, v4
	v_add_co_u32_e32 v2, vcc, s2, v4
	v_addc_co_u32_e32 v3, vcc, 0, v1, vcc
	v_lshlrev_b64 v[2:3], 2, v[2:3]
	v_mov_b32_e32 v1, s13
	v_add_co_u32_e32 v2, vcc, s12, v2
	s_sub_i32 s0, s8, s2
	v_addc_co_u32_e32 v3, vcc, v1, v3, vcc
.LBB233_19:                             ; =>This Inner Loop Header: Depth=1
	global_load_dword v1, v[2:3], off
	s_add_i32 s0, s0, -1
	s_cmp_lg_u32 s0, 0
	s_waitcnt vmcnt(0)
	v_div_scale_f32 v4, s[2:3], v0, v0, v1
	v_rcp_f32_e32 v5, v4
	v_div_scale_f32 v6, vcc, v1, v0, v1
	v_fma_f32 v7, -v4, v5, 1.0
	v_fmac_f32_e32 v5, v7, v5
	v_mul_f32_e32 v7, v6, v5
	v_fma_f32 v8, -v4, v7, v6
	v_fmac_f32_e32 v7, v8, v5
	v_fma_f32 v4, -v4, v7, v6
	v_div_fmas_f32 v4, v4, v5, v7
	v_div_fixup_f32 v1, v4, v0, v1
	global_store_dword v[2:3], v1, off
	v_add_co_u32_e32 v2, vcc, 4, v2
	v_addc_co_u32_e32 v3, vcc, 0, v3, vcc
	s_cbranch_scc1 .LBB233_19
.LBB233_20:
	s_endpgm
	.section	.rodata,"a",@progbits
	.p2align	6, 0x0
	.amdhsa_kernel _ZN4vllm3moe10topkGatingILi4ELi4ELi4ELi16ELi64ElfLNS0_11ScoringFuncE1EEEvPKT5_PKbPfiPT4_PiiiibPKf
		.amdhsa_group_segment_fixed_size 0
		.amdhsa_private_segment_fixed_size 0
		.amdhsa_kernarg_size 72
		.amdhsa_user_sgpr_count 6
		.amdhsa_user_sgpr_private_segment_buffer 1
		.amdhsa_user_sgpr_dispatch_ptr 0
		.amdhsa_user_sgpr_queue_ptr 0
		.amdhsa_user_sgpr_kernarg_segment_ptr 1
		.amdhsa_user_sgpr_dispatch_id 0
		.amdhsa_user_sgpr_flat_scratch_init 0
		.amdhsa_user_sgpr_kernarg_preload_length 0
		.amdhsa_user_sgpr_kernarg_preload_offset 0
		.amdhsa_user_sgpr_private_segment_size 0
		.amdhsa_uses_dynamic_stack 0
		.amdhsa_system_sgpr_private_segment_wavefront_offset 0
		.amdhsa_system_sgpr_workgroup_id_x 1
		.amdhsa_system_sgpr_workgroup_id_y 0
		.amdhsa_system_sgpr_workgroup_id_z 0
		.amdhsa_system_sgpr_workgroup_info 0
		.amdhsa_system_vgpr_workitem_id 1
		.amdhsa_next_free_vgpr 26
		.amdhsa_next_free_sgpr 24
		.amdhsa_accum_offset 28
		.amdhsa_reserve_vcc 1
		.amdhsa_reserve_flat_scratch 0
		.amdhsa_float_round_mode_32 0
		.amdhsa_float_round_mode_16_64 0
		.amdhsa_float_denorm_mode_32 3
		.amdhsa_float_denorm_mode_16_64 3
		.amdhsa_dx10_clamp 1
		.amdhsa_ieee_mode 1
		.amdhsa_fp16_overflow 0
		.amdhsa_tg_split 0
		.amdhsa_exception_fp_ieee_invalid_op 0
		.amdhsa_exception_fp_denorm_src 0
		.amdhsa_exception_fp_ieee_div_zero 0
		.amdhsa_exception_fp_ieee_overflow 0
		.amdhsa_exception_fp_ieee_underflow 0
		.amdhsa_exception_fp_ieee_inexact 0
		.amdhsa_exception_int_div_zero 0
	.end_amdhsa_kernel
	.section	.text._ZN4vllm3moe10topkGatingILi4ELi4ELi4ELi16ELi64ElfLNS0_11ScoringFuncE1EEEvPKT5_PKbPfiPT4_PiiiibPKf,"axG",@progbits,_ZN4vllm3moe10topkGatingILi4ELi4ELi4ELi16ELi64ElfLNS0_11ScoringFuncE1EEEvPKT5_PKbPfiPT4_PiiiibPKf,comdat
.Lfunc_end233:
	.size	_ZN4vllm3moe10topkGatingILi4ELi4ELi4ELi16ELi64ElfLNS0_11ScoringFuncE1EEEvPKT5_PKbPfiPT4_PiiiibPKf, .Lfunc_end233-_ZN4vllm3moe10topkGatingILi4ELi4ELi4ELi16ELi64ElfLNS0_11ScoringFuncE1EEEvPKT5_PKbPfiPT4_PiiiibPKf
                                        ; -- End function
	.section	.AMDGPU.csdata,"",@progbits
; Kernel info:
; codeLenInByte = 1628
; NumSgprs: 28
; NumVgprs: 26
; NumAgprs: 0
; TotalNumVgprs: 26
; ScratchSize: 0
; MemoryBound: 1
; FloatMode: 240
; IeeeMode: 1
; LDSByteSize: 0 bytes/workgroup (compile time only)
; SGPRBlocks: 3
; VGPRBlocks: 3
; NumSGPRsForWavesPerEU: 28
; NumVGPRsForWavesPerEU: 26
; AccumOffset: 28
; Occupancy: 8
; WaveLimiterHint : 0
; COMPUTE_PGM_RSRC2:SCRATCH_EN: 0
; COMPUTE_PGM_RSRC2:USER_SGPR: 6
; COMPUTE_PGM_RSRC2:TRAP_HANDLER: 0
; COMPUTE_PGM_RSRC2:TGID_X_EN: 1
; COMPUTE_PGM_RSRC2:TGID_Y_EN: 0
; COMPUTE_PGM_RSRC2:TGID_Z_EN: 0
; COMPUTE_PGM_RSRC2:TIDIG_COMP_CNT: 1
; COMPUTE_PGM_RSRC3_GFX90A:ACCUM_OFFSET: 6
; COMPUTE_PGM_RSRC3_GFX90A:TG_SPLIT: 0
	.section	.text._ZN4vllm3moe10topkGatingILi4ELi4ELi4ELi16ELi32ElfLNS0_11ScoringFuncE1EEEvPKT5_PKbPfiPT4_PiiiibPKf,"axG",@progbits,_ZN4vllm3moe10topkGatingILi4ELi4ELi4ELi16ELi32ElfLNS0_11ScoringFuncE1EEEvPKT5_PKbPfiPT4_PiiiibPKf,comdat
	.protected	_ZN4vllm3moe10topkGatingILi4ELi4ELi4ELi16ELi32ElfLNS0_11ScoringFuncE1EEEvPKT5_PKbPfiPT4_PiiiibPKf ; -- Begin function _ZN4vllm3moe10topkGatingILi4ELi4ELi4ELi16ELi32ElfLNS0_11ScoringFuncE1EEEvPKT5_PKbPfiPT4_PiiiibPKf
	.globl	_ZN4vllm3moe10topkGatingILi4ELi4ELi4ELi16ELi32ElfLNS0_11ScoringFuncE1EEEvPKT5_PKbPfiPT4_PiiiibPKf
	.p2align	8
	.type	_ZN4vllm3moe10topkGatingILi4ELi4ELi4ELi16ELi32ElfLNS0_11ScoringFuncE1EEEvPKT5_PKbPfiPT4_PiiiibPKf,@function
_ZN4vllm3moe10topkGatingILi4ELi4ELi4ELi16ELi32ElfLNS0_11ScoringFuncE1EEEvPKT5_PKbPfiPT4_PiiiibPKf: ; @_ZN4vllm3moe10topkGatingILi4ELi4ELi4ELi16ELi32ElfLNS0_11ScoringFuncE1EEEvPKT5_PKbPfiPT4_PiiiibPKf
; %bb.0:
	s_load_dword s16, s[4:5], 0x18
	v_bfe_u32 v1, v0, 10, 10
	s_lshl_b32 s0, s6, 7
	v_lshlrev_b32_e32 v1, 5, v1
	v_and_b32_e32 v0, 0x3ff, v0
	v_add3_u32 v14, v1, v0, s0
	s_waitcnt lgkmcnt(0)
	v_cmp_gt_i32_e32 vcc, s16, v14
	s_and_saveexec_b64 s[0:1], vcc
	s_cbranch_execz .LBB234_20
; %bb.1:
	s_load_dwordx4 s[0:3], s[4:5], 0x0
	s_load_dwordx2 s[12:13], s[4:5], 0x10
	s_mov_b64 s[8:9], -1
	s_mov_b64 s[14:15], -1
	s_waitcnt lgkmcnt(0)
	s_cmp_eq_u64 s[2:3], 0
	s_cbranch_scc1 .LBB234_3
; %bb.2:
	v_ashrrev_i32_e32 v1, 31, v14
	v_mov_b32_e32 v2, s3
	v_add_co_u32_e32 v0, vcc, s2, v14
	v_addc_co_u32_e32 v1, vcc, v2, v1, vcc
	global_load_ubyte v0, v[0:1], off
	s_waitcnt vmcnt(0)
	v_and_b32_e32 v0, 1, v0
	v_cmp_eq_u32_e32 vcc, 1, v0
	s_xor_b64 s[2:3], vcc, -1
	s_orn2_b64 s[14:15], s[2:3], exec
.LBB234_3:
	v_lshlrev_b32_e32 v0, 2, v14
	v_ashrrev_i32_e32 v1, 31, v0
	v_lshlrev_b64 v[0:1], 2, v[0:1]
	v_mov_b32_e32 v2, s1
	v_add_co_u32_e32 v0, vcc, s0, v0
	v_addc_co_u32_e32 v1, vcc, v2, v1, vcc
	global_load_dwordx4 v[0:3], v[0:1], off
	v_mov_b32_e32 v4, 0x207
	s_load_dwordx2 s[10:11], s[4:5], 0x40
	s_waitcnt lgkmcnt(0)
	s_cmp_eq_u64 s[10:11], 0
	s_waitcnt vmcnt(0)
	v_mul_f32_e32 v0, 0xbfb8aa3b, v0
	v_mul_f32_e32 v1, 0xbfb8aa3b, v1
	v_exp_f32_e32 v0, v0
	v_exp_f32_e32 v1, v1
	v_mul_f32_e32 v2, 0xbfb8aa3b, v2
	v_mul_f32_e32 v3, 0xbfb8aa3b, v3
	v_exp_f32_e32 v2, v2
	v_exp_f32_e32 v3, v3
	v_pk_add_f32 v[0:1], v[0:1], 1.0 op_sel_hi:[1,0]
	v_div_scale_f32 v5, s[0:1], v1, v1, 1.0
	v_rcp_f32_e32 v13, v5
	v_div_scale_f32 v7, s[0:1], v0, v0, 1.0
	v_pk_add_f32 v[2:3], v[2:3], 1.0 op_sel_hi:[1,0]
	v_rcp_f32_e32 v15, v7
	v_div_scale_f32 v9, s[2:3], v3, v3, 1.0
	v_rcp_f32_e32 v16, v9
	v_fma_f32 v18, -v5, v13, 1.0
	v_div_scale_f32 v6, vcc, 1.0, v1, 1.0
	v_div_scale_f32 v11, s[6:7], v2, v2, 1.0
	v_fmac_f32_e32 v13, v18, v13
	v_rcp_f32_e32 v17, v11
	v_fma_f32 v19, -v7, v15, 1.0
	v_mul_f32_e32 v18, v6, v13
	v_div_scale_f32 v8, s[0:1], 1.0, v0, 1.0
	v_fmac_f32_e32 v15, v19, v15
	v_fma_f32 v22, -v5, v18, v6
	v_fma_f32 v20, -v9, v16, 1.0
	v_mul_f32_e32 v19, v8, v15
	v_fmac_f32_e32 v18, v22, v13
	v_div_scale_f32 v10, s[2:3], 1.0, v3, 1.0
	v_fmac_f32_e32 v16, v20, v16
	v_fma_f32 v23, -v7, v19, v8
	v_fma_f32 v5, -v5, v18, v6
	v_fma_f32 v21, -v11, v17, 1.0
	v_mul_f32_e32 v20, v10, v16
	v_fmac_f32_e32 v19, v23, v15
	v_div_fmas_f32 v5, v5, v13, v18
	v_div_scale_f32 v12, s[6:7], 1.0, v2, 1.0
	v_fmac_f32_e32 v17, v21, v17
	v_fma_f32 v24, -v9, v20, v10
	v_fma_f32 v6, -v7, v19, v8
	v_div_fixup_f32 v1, v5, v1, 1.0
	s_mov_b64 vcc, s[0:1]
	v_mul_f32_e32 v21, v12, v17
	v_fmac_f32_e32 v20, v24, v16
	v_div_fmas_f32 v5, v6, v15, v19
	v_cmp_class_f32_e32 vcc, v1, v4
	v_fma_f32 v25, -v11, v21, v12
	v_fma_f32 v7, -v9, v20, v10
	v_div_fixup_f32 v0, v5, v0, 1.0
	v_cndmask_b32_e64 v1, v1, 0, vcc
	s_mov_b64 vcc, s[2:3]
	v_fmac_f32_e32 v21, v25, v17
	v_div_fmas_f32 v5, v7, v16, v20
	v_cmp_class_f32_e32 vcc, v0, v4
	v_fma_f32 v8, -v11, v21, v12
	v_cndmask_b32_e64 v0, v0, 0, vcc
	s_mov_b64 vcc, s[6:7]
	v_div_fixup_f32 v3, v5, v3, 1.0
	v_div_fmas_f32 v5, v8, v17, v21
	v_div_fixup_f32 v2, v5, v2, 1.0
	v_cmp_class_f32_e32 vcc, v3, v4
	v_cndmask_b32_e64 v3, v3, 0, vcc
	v_cmp_class_f32_e32 vcc, v2, v4
	v_cndmask_b32_e64 v2, v2, 0, vcc
	s_cbranch_scc1 .LBB234_10
; %bb.4:
	s_load_dwordx4 s[0:3], s[10:11], 0x0
	s_waitcnt lgkmcnt(0)
	v_pk_add_f32 v[4:5], s[0:1], v[0:1]
	v_pk_add_f32 v[6:7], s[2:3], v[2:3]
	s_cbranch_execnz .LBB234_6
.LBB234_5:
	v_pk_mov_b32 v[6:7], v[2:3], v[2:3] op_sel:[0,1]
	v_pk_mov_b32 v[4:5], v[0:1], v[0:1] op_sel:[0,1]
.LBB234_6:
	s_load_dwordx4 s[8:11], s[4:5], 0x30
	s_waitcnt lgkmcnt(0)
	s_bitcmp1_b32 s11, 0
	s_cselect_b64 vcc, -1, 0
	s_cmp_gt_i32 s8, 0
	s_cselect_b64 s[6:7], -1, 0
	s_cmp_lt_i32 s8, 1
	s_mov_b32 s11, 0
	s_cbranch_scc1 .LBB234_11
; %bb.7:
	s_load_dwordx4 s[20:23], s[4:5], 0x20
	v_mul_lo_u32 v10, v14, s8
	v_ashrrev_i32_e32 v11, 31, v10
	v_lshlrev_b64 v[12:13], 2, v[10:11]
	v_mov_b32_e32 v9, s13
	v_add_co_u32_e64 v8, s[0:1], s12, v12
	v_addc_co_u32_e64 v9, s[0:1], v9, v13, s[0:1]
	v_lshlrev_b64 v[10:11], 3, v[10:11]
	s_waitcnt lgkmcnt(0)
	v_mov_b32_e32 v15, s21
	v_add_co_u32_e64 v10, s[0:1], s20, v10
	v_addc_co_u32_e64 v11, s[0:1], v15, v11, s[0:1]
	v_mov_b32_e32 v15, s23
	v_add_co_u32_e64 v12, s[0:1], s22, v12
	v_addc_co_u32_e64 v13, s[0:1], v15, v13, s[0:1]
	v_mov_b32_e32 v15, 0
	v_mov_b32_e32 v16, 0xc61c4000
	;; [unrolled: 1-line block ×3, first 2 shown]
.LBB234_8:                              ; =>This Inner Loop Header: Depth=1
	v_cmp_gt_f32_e64 s[0:1], v5, v4
	v_cndmask_b32_e64 v20, v4, v5, s[0:1]
	v_cndmask_b32_e64 v18, 0, 1, s[0:1]
	;; [unrolled: 1-line block ×3, first 2 shown]
	v_cmp_gt_f32_e64 s[0:1], v6, v20
	v_cndmask_b32_e64 v20, v20, v6, s[0:1]
	v_cndmask_b32_e64 v18, v18, 2, s[0:1]
	;; [unrolled: 1-line block ×3, first 2 shown]
	v_cmp_gt_f32_e64 s[0:1], v7, v20
	v_cndmask_b32_e64 v20, v18, 3, s[0:1]
	v_cndmask_b32_e64 v21, v19, v3, s[0:1]
	v_cmp_le_i32_e64 s[0:1], s9, v20
	v_cmp_gt_i32_e64 s[2:3], s10, v20
	s_and_b64 s[0:1], s[0:1], s[2:3]
	v_subrev_u32_e32 v18, s9, v20
	v_ashrrev_i32_e32 v19, 31, v18
	s_and_b64 s[0:1], s[14:15], s[0:1]
	v_cndmask_b32_e64 v19, 0, v19, s[0:1]
	v_cndmask_b32_e64 v18, 4, v18, s[0:1]
	global_store_dword v[8:9], v21, off
	global_store_dwordx2 v[10:11], v[18:19], off
	global_store_dword v[12:13], v17, off
	v_add_f32_e32 v18, v15, v21
	v_cmp_ne_u32_e64 s[0:1], 0, v20
	v_cndmask_b32_e32 v15, v15, v18, vcc
	v_cndmask_b32_e64 v18, v16, v4, s[0:1]
	v_cmp_ne_u32_e64 s[0:1], 1, v20
	s_add_i32 s11, s11, 1
	v_cndmask_b32_e64 v19, v16, v5, s[0:1]
	v_cmp_ne_u32_e64 s[0:1], 2, v20
	s_cmp_lt_i32 s11, s8
	v_cndmask_b32_e64 v21, v16, v6, s[0:1]
	v_cmp_ne_u32_e64 s[0:1], 3, v20
	v_cndmask_b32_e64 v20, v16, v7, s[0:1]
	s_cselect_b64 s[0:1], -1, 0
	v_cndmask_b32_e64 v7, v7, v20, s[0:1]
	v_cndmask_b32_e64 v6, v6, v21, s[0:1]
	;; [unrolled: 1-line block ×4, first 2 shown]
	v_add_co_u32_e64 v8, s[0:1], 4, v8
	v_addc_co_u32_e64 v9, s[0:1], 0, v9, s[0:1]
	v_add_co_u32_e64 v10, s[0:1], 8, v10
	v_addc_co_u32_e64 v11, s[0:1], 0, v11, s[0:1]
	v_add_co_u32_e64 v12, s[0:1], 4, v12
	v_add_u32_e32 v17, s16, v17
	s_cmp_eq_u32 s8, s11
	v_addc_co_u32_e64 v13, s[0:1], 0, v13, s[0:1]
	s_cbranch_scc0 .LBB234_8
; %bb.9:
	s_and_b64 vcc, exec, vcc
	s_cbranch_vccnz .LBB234_12
	s_branch .LBB234_20
.LBB234_10:
                                        ; implicit-def: $vgpr4_vgpr5_vgpr6_vgpr7
	s_andn2_b64 vcc, exec, s[8:9]
	s_cbranch_vccz .LBB234_5
	s_branch .LBB234_6
.LBB234_11:
	v_mov_b32_e32 v15, 0
	s_and_b64 vcc, exec, vcc
	s_cbranch_vccz .LBB234_20
.LBB234_12:
	s_andn2_b64 vcc, exec, s[6:7]
	s_cbranch_vccnz .LBB234_20
; %bb.13:
	v_cmp_lt_f32_e32 vcc, 0, v15
	s_mov_b32 s2, 0
	v_cndmask_b32_e32 v0, 1.0, v15, vcc
	v_mul_lo_u32 v4, v14, s8
	s_cmp_eq_u32 s8, 1
	s_mov_b64 s[0:1], -1
	s_cbranch_scc1 .LBB234_17
; %bb.14:
	s_and_b32 s2, s8, 0x7ffffffe
	v_mov_b32_e32 v1, v0
	v_mov_b32_e32 v5, s13
	s_mov_b32 s3, s2
	v_mov_b32_e32 v2, v4
.LBB234_15:                             ; =>This Inner Loop Header: Depth=1
	v_ashrrev_i32_e32 v3, 31, v2
	v_lshlrev_b64 v[6:7], 2, v[2:3]
	v_add_co_u32_e32 v6, vcc, s12, v6
	v_addc_co_u32_e32 v7, vcc, v5, v7, vcc
	global_load_dwordx2 v[8:9], v[6:7], off
	s_add_i32 s3, s3, -2
	s_cmp_lg_u32 s3, 0
	v_add_u32_e32 v2, 2, v2
	s_waitcnt vmcnt(0)
	v_div_scale_f32 v3, s[0:1], v1, v1, v9
	v_div_scale_f32 v11, s[0:1], v0, v0, v8
	v_rcp_f32_e32 v12, v3
	v_rcp_f32_e32 v13, v11
	v_div_scale_f32 v10, vcc, v9, v1, v9
	v_fma_f32 v15, -v3, v12, 1.0
	v_fma_f32 v16, -v11, v13, 1.0
	v_fmac_f32_e32 v12, v15, v12
	v_div_scale_f32 v14, s[0:1], v8, v0, v8
	v_fmac_f32_e32 v13, v16, v13
	v_mul_f32_e32 v15, v10, v12
	v_mul_f32_e32 v16, v14, v13
	v_fma_f32 v17, -v3, v15, v10
	v_fma_f32 v18, -v11, v16, v14
	v_fmac_f32_e32 v15, v17, v12
	v_fmac_f32_e32 v16, v18, v13
	v_fma_f32 v3, -v3, v15, v10
	v_fma_f32 v10, -v11, v16, v14
	v_div_fmas_f32 v3, v3, v12, v15
	s_mov_b64 vcc, s[0:1]
	v_div_fixup_f32 v9, v3, v1, v9
	v_div_fmas_f32 v3, v10, v13, v16
	v_div_fixup_f32 v8, v3, v0, v8
	global_store_dwordx2 v[6:7], v[8:9], off
	s_cbranch_scc1 .LBB234_15
; %bb.16:
	s_cmp_lg_u32 s2, s8
	s_cselect_b64 s[0:1], -1, 0
.LBB234_17:
	s_and_b64 vcc, exec, s[0:1]
	s_cbranch_vccz .LBB234_20
; %bb.18:
	v_ashrrev_i32_e32 v1, 31, v4
	v_add_co_u32_e32 v2, vcc, s2, v4
	v_addc_co_u32_e32 v3, vcc, 0, v1, vcc
	v_lshlrev_b64 v[2:3], 2, v[2:3]
	v_mov_b32_e32 v1, s13
	v_add_co_u32_e32 v2, vcc, s12, v2
	s_sub_i32 s0, s8, s2
	v_addc_co_u32_e32 v3, vcc, v1, v3, vcc
.LBB234_19:                             ; =>This Inner Loop Header: Depth=1
	global_load_dword v1, v[2:3], off
	s_add_i32 s0, s0, -1
	s_cmp_lg_u32 s0, 0
	s_waitcnt vmcnt(0)
	v_div_scale_f32 v4, s[2:3], v0, v0, v1
	v_rcp_f32_e32 v5, v4
	v_div_scale_f32 v6, vcc, v1, v0, v1
	v_fma_f32 v7, -v4, v5, 1.0
	v_fmac_f32_e32 v5, v7, v5
	v_mul_f32_e32 v7, v6, v5
	v_fma_f32 v8, -v4, v7, v6
	v_fmac_f32_e32 v7, v8, v5
	v_fma_f32 v4, -v4, v7, v6
	v_div_fmas_f32 v4, v4, v5, v7
	v_div_fixup_f32 v1, v4, v0, v1
	global_store_dword v[2:3], v1, off
	v_add_co_u32_e32 v2, vcc, 4, v2
	v_addc_co_u32_e32 v3, vcc, 0, v3, vcc
	s_cbranch_scc1 .LBB234_19
.LBB234_20:
	s_endpgm
	.section	.rodata,"a",@progbits
	.p2align	6, 0x0
	.amdhsa_kernel _ZN4vllm3moe10topkGatingILi4ELi4ELi4ELi16ELi32ElfLNS0_11ScoringFuncE1EEEvPKT5_PKbPfiPT4_PiiiibPKf
		.amdhsa_group_segment_fixed_size 0
		.amdhsa_private_segment_fixed_size 0
		.amdhsa_kernarg_size 72
		.amdhsa_user_sgpr_count 6
		.amdhsa_user_sgpr_private_segment_buffer 1
		.amdhsa_user_sgpr_dispatch_ptr 0
		.amdhsa_user_sgpr_queue_ptr 0
		.amdhsa_user_sgpr_kernarg_segment_ptr 1
		.amdhsa_user_sgpr_dispatch_id 0
		.amdhsa_user_sgpr_flat_scratch_init 0
		.amdhsa_user_sgpr_kernarg_preload_length 0
		.amdhsa_user_sgpr_kernarg_preload_offset 0
		.amdhsa_user_sgpr_private_segment_size 0
		.amdhsa_uses_dynamic_stack 0
		.amdhsa_system_sgpr_private_segment_wavefront_offset 0
		.amdhsa_system_sgpr_workgroup_id_x 1
		.amdhsa_system_sgpr_workgroup_id_y 0
		.amdhsa_system_sgpr_workgroup_id_z 0
		.amdhsa_system_sgpr_workgroup_info 0
		.amdhsa_system_vgpr_workitem_id 1
		.amdhsa_next_free_vgpr 26
		.amdhsa_next_free_sgpr 24
		.amdhsa_accum_offset 28
		.amdhsa_reserve_vcc 1
		.amdhsa_reserve_flat_scratch 0
		.amdhsa_float_round_mode_32 0
		.amdhsa_float_round_mode_16_64 0
		.amdhsa_float_denorm_mode_32 3
		.amdhsa_float_denorm_mode_16_64 3
		.amdhsa_dx10_clamp 1
		.amdhsa_ieee_mode 1
		.amdhsa_fp16_overflow 0
		.amdhsa_tg_split 0
		.amdhsa_exception_fp_ieee_invalid_op 0
		.amdhsa_exception_fp_denorm_src 0
		.amdhsa_exception_fp_ieee_div_zero 0
		.amdhsa_exception_fp_ieee_overflow 0
		.amdhsa_exception_fp_ieee_underflow 0
		.amdhsa_exception_fp_ieee_inexact 0
		.amdhsa_exception_int_div_zero 0
	.end_amdhsa_kernel
	.section	.text._ZN4vllm3moe10topkGatingILi4ELi4ELi4ELi16ELi32ElfLNS0_11ScoringFuncE1EEEvPKT5_PKbPfiPT4_PiiiibPKf,"axG",@progbits,_ZN4vllm3moe10topkGatingILi4ELi4ELi4ELi16ELi32ElfLNS0_11ScoringFuncE1EEEvPKT5_PKbPfiPT4_PiiiibPKf,comdat
.Lfunc_end234:
	.size	_ZN4vllm3moe10topkGatingILi4ELi4ELi4ELi16ELi32ElfLNS0_11ScoringFuncE1EEEvPKT5_PKbPfiPT4_PiiiibPKf, .Lfunc_end234-_ZN4vllm3moe10topkGatingILi4ELi4ELi4ELi16ELi32ElfLNS0_11ScoringFuncE1EEEvPKT5_PKbPfiPT4_PiiiibPKf
                                        ; -- End function
	.section	.AMDGPU.csdata,"",@progbits
; Kernel info:
; codeLenInByte = 1628
; NumSgprs: 28
; NumVgprs: 26
; NumAgprs: 0
; TotalNumVgprs: 26
; ScratchSize: 0
; MemoryBound: 1
; FloatMode: 240
; IeeeMode: 1
; LDSByteSize: 0 bytes/workgroup (compile time only)
; SGPRBlocks: 3
; VGPRBlocks: 3
; NumSGPRsForWavesPerEU: 28
; NumVGPRsForWavesPerEU: 26
; AccumOffset: 28
; Occupancy: 8
; WaveLimiterHint : 0
; COMPUTE_PGM_RSRC2:SCRATCH_EN: 0
; COMPUTE_PGM_RSRC2:USER_SGPR: 6
; COMPUTE_PGM_RSRC2:TRAP_HANDLER: 0
; COMPUTE_PGM_RSRC2:TGID_X_EN: 1
; COMPUTE_PGM_RSRC2:TGID_Y_EN: 0
; COMPUTE_PGM_RSRC2:TGID_Z_EN: 0
; COMPUTE_PGM_RSRC2:TIDIG_COMP_CNT: 1
; COMPUTE_PGM_RSRC3_GFX90A:ACCUM_OFFSET: 6
; COMPUTE_PGM_RSRC3_GFX90A:TG_SPLIT: 0
	.section	.text._ZN4vllm3moe10topkGatingILi4ELi8ELi4ELi16ELi64ElfLNS0_11ScoringFuncE1EEEvPKT5_PKbPfiPT4_PiiiibPKf,"axG",@progbits,_ZN4vllm3moe10topkGatingILi4ELi8ELi4ELi16ELi64ElfLNS0_11ScoringFuncE1EEEvPKT5_PKbPfiPT4_PiiiibPKf,comdat
	.protected	_ZN4vllm3moe10topkGatingILi4ELi8ELi4ELi16ELi64ElfLNS0_11ScoringFuncE1EEEvPKT5_PKbPfiPT4_PiiiibPKf ; -- Begin function _ZN4vllm3moe10topkGatingILi4ELi8ELi4ELi16ELi64ElfLNS0_11ScoringFuncE1EEEvPKT5_PKbPfiPT4_PiiiibPKf
	.globl	_ZN4vllm3moe10topkGatingILi4ELi8ELi4ELi16ELi64ElfLNS0_11ScoringFuncE1EEEvPKT5_PKbPfiPT4_PiiiibPKf
	.p2align	8
	.type	_ZN4vllm3moe10topkGatingILi4ELi8ELi4ELi16ELi64ElfLNS0_11ScoringFuncE1EEEvPKT5_PKbPfiPT4_PiiiibPKf,@function
_ZN4vllm3moe10topkGatingILi4ELi8ELi4ELi16ELi64ElfLNS0_11ScoringFuncE1EEEvPKT5_PKbPfiPT4_PiiiibPKf: ; @_ZN4vllm3moe10topkGatingILi4ELi8ELi4ELi16ELi64ElfLNS0_11ScoringFuncE1EEEvPKT5_PKbPfiPT4_PiiiibPKf
; %bb.0:
	s_load_dword s24, s[4:5], 0x18
	v_bfe_u32 v1, v0, 10, 10
	v_and_b32_e32 v0, 0x3ff, v0
	s_lshl_b32 s0, s6, 7
	v_lshlrev_b32_e32 v1, 5, v1
	v_lshrrev_b32_e32 v2, 1, v0
	v_add3_u32 v8, s0, v1, v2
	s_waitcnt lgkmcnt(0)
	v_cmp_gt_i32_e32 vcc, s24, v8
	s_and_saveexec_b64 s[0:1], vcc
	s_cbranch_execz .LBB235_30
; %bb.1:
	s_load_dwordx4 s[0:3], s[4:5], 0x0
	s_load_dwordx2 s[16:17], s[4:5], 0x10
	s_mov_b64 s[8:9], -1
	s_mov_b64 s[18:19], -1
	s_waitcnt lgkmcnt(0)
	s_cmp_eq_u64 s[2:3], 0
	s_cbranch_scc1 .LBB235_3
; %bb.2:
	v_ashrrev_i32_e32 v1, 31, v8
	v_mov_b32_e32 v3, s3
	v_add_co_u32_e32 v2, vcc, s2, v8
	v_addc_co_u32_e32 v3, vcc, v3, v1, vcc
	global_load_ubyte v1, v[2:3], off
	s_waitcnt vmcnt(0)
	v_and_b32_e32 v1, 1, v1
	v_cmp_eq_u32_e32 vcc, 1, v1
	s_xor_b64 s[2:3], vcc, -1
	s_orn2_b64 s[18:19], s[2:3], exec
.LBB235_3:
	v_lshlrev_b32_e32 v2, 3, v8
	v_ashrrev_i32_e32 v3, 31, v2
	v_lshlrev_b64 v[2:3], 2, v[2:3]
	v_mov_b32_e32 v1, s1
	v_add_co_u32_e32 v2, vcc, s0, v2
	v_and_b32_e32 v9, 1, v0
	v_addc_co_u32_e32 v1, vcc, v1, v3, vcc
	v_lshlrev_b32_e32 v0, 4, v9
	v_add_co_u32_e32 v0, vcc, v2, v0
	v_addc_co_u32_e32 v1, vcc, 0, v1, vcc
	global_load_dwordx4 v[0:3], v[0:1], off
	v_mov_b32_e32 v4, 0x207
	s_load_dwordx2 s[10:11], s[4:5], 0x40
	v_lshlrev_b32_e32 v10, 2, v9
	s_waitcnt lgkmcnt(0)
	s_cmp_eq_u64 s[10:11], 0
	s_waitcnt vmcnt(0)
	v_mul_f32_e32 v0, 0xbfb8aa3b, v0
	v_mul_f32_e32 v1, 0xbfb8aa3b, v1
	v_exp_f32_e32 v0, v0
	v_exp_f32_e32 v1, v1
	v_mul_f32_e32 v2, 0xbfb8aa3b, v2
	v_mul_f32_e32 v3, 0xbfb8aa3b, v3
	v_exp_f32_e32 v2, v2
	v_exp_f32_e32 v3, v3
	v_pk_add_f32 v[0:1], v[0:1], 1.0 op_sel_hi:[1,0]
	v_div_scale_f32 v5, s[0:1], v1, v1, 1.0
	v_rcp_f32_e32 v16, v5
	v_div_scale_f32 v7, s[0:1], v0, v0, 1.0
	v_pk_add_f32 v[2:3], v[2:3], 1.0 op_sel_hi:[1,0]
	v_rcp_f32_e32 v17, v7
	v_div_scale_f32 v12, s[2:3], v3, v3, 1.0
	v_rcp_f32_e32 v18, v12
	v_fma_f32 v20, -v5, v16, 1.0
	v_div_scale_f32 v6, vcc, 1.0, v1, 1.0
	v_div_scale_f32 v14, s[6:7], v2, v2, 1.0
	v_fmac_f32_e32 v16, v20, v16
	v_rcp_f32_e32 v19, v14
	v_fma_f32 v21, -v7, v17, 1.0
	v_mul_f32_e32 v20, v6, v16
	v_div_scale_f32 v11, s[0:1], 1.0, v0, 1.0
	v_fmac_f32_e32 v17, v21, v17
	v_fma_f32 v24, -v5, v20, v6
	v_fma_f32 v22, -v12, v18, 1.0
	v_mul_f32_e32 v21, v11, v17
	v_fmac_f32_e32 v20, v24, v16
	v_div_scale_f32 v13, s[2:3], 1.0, v3, 1.0
	v_fmac_f32_e32 v18, v22, v18
	v_fma_f32 v25, -v7, v21, v11
	v_fma_f32 v5, -v5, v20, v6
	v_fma_f32 v23, -v14, v19, 1.0
	v_mul_f32_e32 v22, v13, v18
	v_fmac_f32_e32 v21, v25, v17
	v_div_fmas_f32 v5, v5, v16, v20
	v_div_scale_f32 v15, s[6:7], 1.0, v2, 1.0
	v_fmac_f32_e32 v19, v23, v19
	v_fma_f32 v26, -v12, v22, v13
	v_fma_f32 v6, -v7, v21, v11
	v_div_fixup_f32 v1, v5, v1, 1.0
	s_mov_b64 vcc, s[0:1]
	v_mul_f32_e32 v23, v15, v19
	v_fmac_f32_e32 v22, v26, v18
	v_div_fmas_f32 v5, v6, v17, v21
	v_cmp_class_f32_e32 vcc, v1, v4
	v_fma_f32 v27, -v14, v23, v15
	v_fma_f32 v7, -v12, v22, v13
	v_div_fixup_f32 v0, v5, v0, 1.0
	v_cndmask_b32_e64 v1, v1, 0, vcc
	s_mov_b64 vcc, s[2:3]
	v_fmac_f32_e32 v23, v27, v19
	v_div_fmas_f32 v5, v7, v18, v22
	v_cmp_class_f32_e32 vcc, v0, v4
	v_fma_f32 v11, -v14, v23, v15
	v_cndmask_b32_e64 v0, v0, 0, vcc
	s_mov_b64 vcc, s[6:7]
	v_div_fixup_f32 v3, v5, v3, 1.0
	v_div_fmas_f32 v5, v11, v19, v23
	v_div_fixup_f32 v2, v5, v2, 1.0
	v_cmp_class_f32_e32 vcc, v3, v4
	v_cndmask_b32_e64 v3, v3, 0, vcc
	v_cmp_class_f32_e32 vcc, v2, v4
	v_cndmask_b32_e64 v2, v2, 0, vcc
	s_cbranch_scc1 .LBB235_19
; %bb.4:
	v_lshlrev_b32_e32 v4, 2, v10
	global_load_dwordx4 v[4:7], v4, s[10:11]
	s_waitcnt vmcnt(0)
	v_pk_add_f32 v[4:5], v[4:5], v[0:1]
	v_pk_add_f32 v[6:7], v[6:7], v[2:3]
	s_cbranch_execnz .LBB235_6
.LBB235_5:
	v_pk_mov_b32 v[6:7], v[2:3], v[2:3] op_sel:[0,1]
	v_pk_mov_b32 v[4:5], v[0:1], v[0:1] op_sel:[0,1]
.LBB235_6:
	s_load_dwordx4 s[8:11], s[4:5], 0x30
	s_mov_b32 s25, 0
	v_cmp_eq_u32_e64 s[0:1], 0, v9
	s_waitcnt lgkmcnt(0)
	s_bitcmp1_b32 s11, 0
	s_cselect_b64 vcc, -1, 0
	s_cmp_gt_i32 s8, 0
	s_cselect_b64 s[6:7], -1, 0
	s_cmp_lt_i32 s8, 1
	s_cbranch_scc1 .LBB235_20
; %bb.7:
	v_mbcnt_lo_u32_b32 v11, -1, 0
	v_mbcnt_hi_u32_b32 v11, -1, v11
	s_load_dwordx4 s[12:15], s[4:5], 0x20
	v_and_b32_e32 v13, 0x7e, v11
	v_xor_b32_e32 v12, 1, v11
	v_add_u32_e32 v13, 2, v13
	v_cmp_lt_i32_e64 s[2:3], v12, v13
	v_cndmask_b32_e64 v11, v11, v12, s[2:3]
	v_lshlrev_b32_e32 v12, 2, v11
	v_mul_lo_u32 v13, v8, s8
	v_mov_b32_e32 v11, 0
	v_mov_b32_e32 v14, 0xc61c4000
	;; [unrolled: 1-line block ×3, first 2 shown]
	s_branch .LBB235_10
.LBB235_8:                              ;   in Loop: Header=BB235_10 Depth=1
	s_or_b64 exec, exec, s[4:5]
.LBB235_9:                              ;   in Loop: Header=BB235_10 Depth=1
	s_cmp_eq_u32 s8, s25
	v_add_u32_e32 v15, s24, v15
	s_cbranch_scc1 .LBB235_21
.LBB235_10:                             ; =>This Inner Loop Header: Depth=1
	v_cmp_gt_f32_e64 s[2:3], v5, v4
	v_cndmask_b32_e64 v18, v4, v5, s[2:3]
	v_cndmask_b32_e64 v16, 0, 1, s[2:3]
	;; [unrolled: 1-line block ×3, first 2 shown]
	v_cmp_gt_f32_e64 s[2:3], v6, v18
	v_cndmask_b32_e64 v18, v18, v6, s[2:3]
	v_cndmask_b32_e64 v16, v16, 2, s[2:3]
	;; [unrolled: 1-line block ×3, first 2 shown]
	v_cmp_gt_f32_e64 s[2:3], v7, v18
	v_cndmask_b32_e64 v16, v16, 3, s[2:3]
	v_cndmask_b32_e64 v20, v18, v7, s[2:3]
	v_or_b32_e32 v16, v10, v16
	v_cndmask_b32_e64 v17, v17, v3, s[2:3]
	ds_bpermute_b32 v21, v12, v20
	ds_bpermute_b32 v18, v12, v17
	;; [unrolled: 1-line block ×3, first 2 shown]
	s_waitcnt lgkmcnt(0)
	v_cmp_lt_f32_e64 s[20:21], v20, v21
	v_cmp_nlt_f32_e64 s[2:3], v20, v21
	s_and_saveexec_b64 s[22:23], s[2:3]
	s_cbranch_execnz .LBB235_14
; %bb.11:                               ;   in Loop: Header=BB235_10 Depth=1
	s_or_b64 exec, exec, s[22:23]
	s_and_saveexec_b64 s[2:3], s[20:21]
	s_cbranch_execnz .LBB235_15
.LBB235_12:                             ;   in Loop: Header=BB235_10 Depth=1
	s_or_b64 exec, exec, s[2:3]
	s_and_saveexec_b64 s[20:21], s[0:1]
	s_cbranch_execnz .LBB235_16
.LBB235_13:                             ;   in Loop: Header=BB235_10 Depth=1
	s_or_b64 exec, exec, s[20:21]
	s_add_i32 s25, s25, 1
	s_cmp_ge_i32 s25, s8
	s_cbranch_scc1 .LBB235_9
	s_branch .LBB235_17
.LBB235_14:                             ;   in Loop: Header=BB235_10 Depth=1
	v_cmp_eq_f32_e64 s[2:3], v20, v21
	v_cmp_lt_i32_e64 s[4:5], v19, v16
	s_and_b64 s[2:3], s[2:3], s[4:5]
	s_andn2_b64 s[4:5], s[20:21], exec
	s_and_b64 s[2:3], s[2:3], exec
	s_or_b64 s[20:21], s[4:5], s[2:3]
	s_or_b64 exec, exec, s[22:23]
	s_and_saveexec_b64 s[2:3], s[20:21]
	s_cbranch_execz .LBB235_12
.LBB235_15:                             ;   in Loop: Header=BB235_10 Depth=1
	v_mov_b32_e32 v16, v19
	v_mov_b32_e32 v17, v18
	s_or_b64 exec, exec, s[2:3]
	s_and_saveexec_b64 s[20:21], s[0:1]
	s_cbranch_execz .LBB235_13
.LBB235_16:                             ;   in Loop: Header=BB235_10 Depth=1
	v_add_u32_e32 v18, s25, v13
	v_ashrrev_i32_e32 v19, 31, v18
	v_cmp_le_i32_e64 s[2:3], s9, v16
	v_cmp_gt_i32_e64 s[4:5], s10, v16
	v_lshlrev_b64 v[20:21], 2, v[18:19]
	s_and_b64 s[4:5], s[2:3], s[4:5]
	v_mov_b32_e32 v23, s17
	v_add_co_u32_e64 v22, s[2:3], s16, v20
	v_addc_co_u32_e64 v23, s[2:3], v23, v21, s[2:3]
	global_store_dword v[22:23], v17, off
	v_subrev_u32_e32 v22, s9, v16
	v_ashrrev_i32_e32 v23, 31, v22
	s_and_b64 s[2:3], s[18:19], s[4:5]
	v_lshlrev_b64 v[18:19], 3, v[18:19]
	v_cndmask_b32_e64 v23, 0, v23, s[2:3]
	v_cndmask_b32_e64 v22, 8, v22, s[2:3]
	v_mov_b32_e32 v24, s13
	v_add_co_u32_e64 v18, s[2:3], s12, v18
	v_addc_co_u32_e64 v19, s[2:3], v24, v19, s[2:3]
	global_store_dwordx2 v[18:19], v[22:23], off
	v_mov_b32_e32 v19, s15
	v_add_co_u32_e64 v18, s[2:3], s14, v20
	v_add_f32_e32 v17, v11, v17
	v_addc_co_u32_e64 v19, s[2:3], v19, v21, s[2:3]
	v_cndmask_b32_e32 v11, v11, v17, vcc
	global_store_dword v[18:19], v15, off
	s_or_b64 exec, exec, s[20:21]
	s_add_i32 s25, s25, 1
	s_cmp_ge_i32 s25, s8
	s_cbranch_scc1 .LBB235_9
.LBB235_17:                             ;   in Loop: Header=BB235_10 Depth=1
	v_ashrrev_i32_e32 v18, 31, v16
	v_lshrrev_b32_e32 v17, 30, v18
	v_add_u32_e32 v19, v16, v17
	v_ashrrev_i32_e32 v17, 2, v19
	v_lshrrev_b32_e32 v19, 31, v19
	v_add_u32_e32 v19, v17, v19
	v_and_b32_e32 v19, -2, v19
	v_sub_u32_e32 v19, v17, v19
	v_cmp_eq_u32_e64 s[2:3], v9, v19
	s_and_saveexec_b64 s[4:5], s[2:3]
	s_cbranch_execz .LBB235_8
; %bb.18:                               ;   in Loop: Header=BB235_10 Depth=1
	v_lshrrev_b32_e32 v18, 29, v18
	v_add_u32_e32 v18, v16, v18
	v_lshlrev_b32_e32 v17, 2, v17
	v_ashrrev_i32_e32 v18, 3, v18
	v_sub_u32_e32 v16, v16, v17
	v_lshl_add_u32 v16, v18, 2, v16
	v_cmp_ne_u32_e64 s[2:3], 3, v16
	v_cndmask_b32_e64 v7, v14, v7, s[2:3]
	v_cmp_ne_u32_e64 s[2:3], 2, v16
	v_cndmask_b32_e64 v6, v14, v6, s[2:3]
	;; [unrolled: 2-line block ×4, first 2 shown]
	s_branch .LBB235_8
.LBB235_19:
                                        ; implicit-def: $vgpr4_vgpr5_vgpr6_vgpr7
	s_andn2_b64 vcc, exec, s[8:9]
	s_cbranch_vccz .LBB235_5
	s_branch .LBB235_6
.LBB235_20:
	v_mov_b32_e32 v11, 0
.LBB235_21:
	v_cmp_eq_u32_e64 s[0:1], 0, v9
	s_and_b64 s[0:1], s[0:1], vcc
	s_and_b64 exec, exec, s[0:1]
	s_cbranch_execz .LBB235_30
; %bb.22:
	s_andn2_b64 vcc, exec, s[6:7]
	s_cbranch_vccnz .LBB235_30
; %bb.23:
	v_cmp_lt_f32_e32 vcc, 0, v11
	s_mov_b32 s2, 0
	v_cndmask_b32_e32 v0, 1.0, v11, vcc
	v_mul_lo_u32 v4, v8, s8
	s_cmp_eq_u32 s8, 1
	s_mov_b64 s[0:1], -1
	s_cbranch_scc1 .LBB235_27
; %bb.24:
	s_and_b32 s2, s8, 0x7ffffffe
	v_mov_b32_e32 v1, v0
	v_mov_b32_e32 v5, s17
	s_mov_b32 s3, s2
	v_mov_b32_e32 v2, v4
.LBB235_25:                             ; =>This Inner Loop Header: Depth=1
	v_ashrrev_i32_e32 v3, 31, v2
	v_lshlrev_b64 v[6:7], 2, v[2:3]
	v_add_co_u32_e32 v6, vcc, s16, v6
	v_addc_co_u32_e32 v7, vcc, v5, v7, vcc
	global_load_dwordx2 v[8:9], v[6:7], off
	s_add_i32 s3, s3, -2
	s_cmp_lg_u32 s3, 0
	v_add_u32_e32 v2, 2, v2
	s_waitcnt vmcnt(0)
	v_div_scale_f32 v3, s[0:1], v1, v1, v9
	v_div_scale_f32 v11, s[0:1], v0, v0, v8
	v_rcp_f32_e32 v12, v3
	v_rcp_f32_e32 v13, v11
	v_div_scale_f32 v10, vcc, v9, v1, v9
	v_fma_f32 v15, -v3, v12, 1.0
	v_fma_f32 v16, -v11, v13, 1.0
	v_fmac_f32_e32 v12, v15, v12
	v_div_scale_f32 v14, s[0:1], v8, v0, v8
	v_fmac_f32_e32 v13, v16, v13
	v_mul_f32_e32 v15, v10, v12
	v_mul_f32_e32 v16, v14, v13
	v_fma_f32 v17, -v3, v15, v10
	v_fma_f32 v18, -v11, v16, v14
	v_fmac_f32_e32 v15, v17, v12
	v_fmac_f32_e32 v16, v18, v13
	v_fma_f32 v3, -v3, v15, v10
	v_fma_f32 v10, -v11, v16, v14
	v_div_fmas_f32 v3, v3, v12, v15
	s_mov_b64 vcc, s[0:1]
	v_div_fixup_f32 v9, v3, v1, v9
	v_div_fmas_f32 v3, v10, v13, v16
	v_div_fixup_f32 v8, v3, v0, v8
	global_store_dwordx2 v[6:7], v[8:9], off
	s_cbranch_scc1 .LBB235_25
; %bb.26:
	s_cmp_lg_u32 s2, s8
	s_cselect_b64 s[0:1], -1, 0
.LBB235_27:
	s_and_b64 vcc, exec, s[0:1]
	s_cbranch_vccz .LBB235_30
; %bb.28:
	v_ashrrev_i32_e32 v1, 31, v4
	v_add_co_u32_e32 v2, vcc, s2, v4
	v_addc_co_u32_e32 v3, vcc, 0, v1, vcc
	v_lshlrev_b64 v[2:3], 2, v[2:3]
	v_mov_b32_e32 v1, s17
	v_add_co_u32_e32 v2, vcc, s16, v2
	s_sub_i32 s0, s8, s2
	v_addc_co_u32_e32 v3, vcc, v1, v3, vcc
.LBB235_29:                             ; =>This Inner Loop Header: Depth=1
	global_load_dword v1, v[2:3], off
	s_add_i32 s0, s0, -1
	s_cmp_lg_u32 s0, 0
	s_waitcnt vmcnt(0)
	v_div_scale_f32 v4, s[2:3], v0, v0, v1
	v_rcp_f32_e32 v5, v4
	v_div_scale_f32 v6, vcc, v1, v0, v1
	v_fma_f32 v7, -v4, v5, 1.0
	v_fmac_f32_e32 v5, v7, v5
	v_mul_f32_e32 v7, v6, v5
	v_fma_f32 v8, -v4, v7, v6
	v_fmac_f32_e32 v7, v8, v5
	v_fma_f32 v4, -v4, v7, v6
	v_div_fmas_f32 v4, v4, v5, v7
	v_div_fixup_f32 v1, v4, v0, v1
	global_store_dword v[2:3], v1, off
	v_add_co_u32_e32 v2, vcc, 4, v2
	v_addc_co_u32_e32 v3, vcc, 0, v3, vcc
	s_cbranch_scc1 .LBB235_29
.LBB235_30:
	s_endpgm
	.section	.rodata,"a",@progbits
	.p2align	6, 0x0
	.amdhsa_kernel _ZN4vllm3moe10topkGatingILi4ELi8ELi4ELi16ELi64ElfLNS0_11ScoringFuncE1EEEvPKT5_PKbPfiPT4_PiiiibPKf
		.amdhsa_group_segment_fixed_size 0
		.amdhsa_private_segment_fixed_size 0
		.amdhsa_kernarg_size 72
		.amdhsa_user_sgpr_count 6
		.amdhsa_user_sgpr_private_segment_buffer 1
		.amdhsa_user_sgpr_dispatch_ptr 0
		.amdhsa_user_sgpr_queue_ptr 0
		.amdhsa_user_sgpr_kernarg_segment_ptr 1
		.amdhsa_user_sgpr_dispatch_id 0
		.amdhsa_user_sgpr_flat_scratch_init 0
		.amdhsa_user_sgpr_kernarg_preload_length 0
		.amdhsa_user_sgpr_kernarg_preload_offset 0
		.amdhsa_user_sgpr_private_segment_size 0
		.amdhsa_uses_dynamic_stack 0
		.amdhsa_system_sgpr_private_segment_wavefront_offset 0
		.amdhsa_system_sgpr_workgroup_id_x 1
		.amdhsa_system_sgpr_workgroup_id_y 0
		.amdhsa_system_sgpr_workgroup_id_z 0
		.amdhsa_system_sgpr_workgroup_info 0
		.amdhsa_system_vgpr_workitem_id 1
		.amdhsa_next_free_vgpr 28
		.amdhsa_next_free_sgpr 26
		.amdhsa_accum_offset 28
		.amdhsa_reserve_vcc 1
		.amdhsa_reserve_flat_scratch 0
		.amdhsa_float_round_mode_32 0
		.amdhsa_float_round_mode_16_64 0
		.amdhsa_float_denorm_mode_32 3
		.amdhsa_float_denorm_mode_16_64 3
		.amdhsa_dx10_clamp 1
		.amdhsa_ieee_mode 1
		.amdhsa_fp16_overflow 0
		.amdhsa_tg_split 0
		.amdhsa_exception_fp_ieee_invalid_op 0
		.amdhsa_exception_fp_denorm_src 0
		.amdhsa_exception_fp_ieee_div_zero 0
		.amdhsa_exception_fp_ieee_overflow 0
		.amdhsa_exception_fp_ieee_underflow 0
		.amdhsa_exception_fp_ieee_inexact 0
		.amdhsa_exception_int_div_zero 0
	.end_amdhsa_kernel
	.section	.text._ZN4vllm3moe10topkGatingILi4ELi8ELi4ELi16ELi64ElfLNS0_11ScoringFuncE1EEEvPKT5_PKbPfiPT4_PiiiibPKf,"axG",@progbits,_ZN4vllm3moe10topkGatingILi4ELi8ELi4ELi16ELi64ElfLNS0_11ScoringFuncE1EEEvPKT5_PKbPfiPT4_PiiiibPKf,comdat
.Lfunc_end235:
	.size	_ZN4vllm3moe10topkGatingILi4ELi8ELi4ELi16ELi64ElfLNS0_11ScoringFuncE1EEEvPKT5_PKbPfiPT4_PiiiibPKf, .Lfunc_end235-_ZN4vllm3moe10topkGatingILi4ELi8ELi4ELi16ELi64ElfLNS0_11ScoringFuncE1EEEvPKT5_PKbPfiPT4_PiiiibPKf
                                        ; -- End function
	.section	.AMDGPU.csdata,"",@progbits
; Kernel info:
; codeLenInByte = 1900
; NumSgprs: 30
; NumVgprs: 28
; NumAgprs: 0
; TotalNumVgprs: 28
; ScratchSize: 0
; MemoryBound: 0
; FloatMode: 240
; IeeeMode: 1
; LDSByteSize: 0 bytes/workgroup (compile time only)
; SGPRBlocks: 3
; VGPRBlocks: 3
; NumSGPRsForWavesPerEU: 30
; NumVGPRsForWavesPerEU: 28
; AccumOffset: 28
; Occupancy: 8
; WaveLimiterHint : 0
; COMPUTE_PGM_RSRC2:SCRATCH_EN: 0
; COMPUTE_PGM_RSRC2:USER_SGPR: 6
; COMPUTE_PGM_RSRC2:TRAP_HANDLER: 0
; COMPUTE_PGM_RSRC2:TGID_X_EN: 1
; COMPUTE_PGM_RSRC2:TGID_Y_EN: 0
; COMPUTE_PGM_RSRC2:TGID_Z_EN: 0
; COMPUTE_PGM_RSRC2:TIDIG_COMP_CNT: 1
; COMPUTE_PGM_RSRC3_GFX90A:ACCUM_OFFSET: 6
; COMPUTE_PGM_RSRC3_GFX90A:TG_SPLIT: 0
	.section	.text._ZN4vllm3moe10topkGatingILi4ELi8ELi4ELi16ELi32ElfLNS0_11ScoringFuncE1EEEvPKT5_PKbPfiPT4_PiiiibPKf,"axG",@progbits,_ZN4vllm3moe10topkGatingILi4ELi8ELi4ELi16ELi32ElfLNS0_11ScoringFuncE1EEEvPKT5_PKbPfiPT4_PiiiibPKf,comdat
	.protected	_ZN4vllm3moe10topkGatingILi4ELi8ELi4ELi16ELi32ElfLNS0_11ScoringFuncE1EEEvPKT5_PKbPfiPT4_PiiiibPKf ; -- Begin function _ZN4vllm3moe10topkGatingILi4ELi8ELi4ELi16ELi32ElfLNS0_11ScoringFuncE1EEEvPKT5_PKbPfiPT4_PiiiibPKf
	.globl	_ZN4vllm3moe10topkGatingILi4ELi8ELi4ELi16ELi32ElfLNS0_11ScoringFuncE1EEEvPKT5_PKbPfiPT4_PiiiibPKf
	.p2align	8
	.type	_ZN4vllm3moe10topkGatingILi4ELi8ELi4ELi16ELi32ElfLNS0_11ScoringFuncE1EEEvPKT5_PKbPfiPT4_PiiiibPKf,@function
_ZN4vllm3moe10topkGatingILi4ELi8ELi4ELi16ELi32ElfLNS0_11ScoringFuncE1EEEvPKT5_PKbPfiPT4_PiiiibPKf: ; @_ZN4vllm3moe10topkGatingILi4ELi8ELi4ELi16ELi32ElfLNS0_11ScoringFuncE1EEEvPKT5_PKbPfiPT4_PiiiibPKf
; %bb.0:
	s_load_dword s24, s[4:5], 0x18
	v_bfe_u32 v1, v0, 10, 10
	v_and_b32_e32 v0, 0x3ff, v0
	s_lshl_b32 s0, s6, 6
	v_lshlrev_b32_e32 v1, 4, v1
	v_lshrrev_b32_e32 v2, 1, v0
	v_add3_u32 v8, s0, v1, v2
	s_waitcnt lgkmcnt(0)
	v_cmp_gt_i32_e32 vcc, s24, v8
	s_and_saveexec_b64 s[0:1], vcc
	s_cbranch_execz .LBB236_30
; %bb.1:
	s_load_dwordx4 s[0:3], s[4:5], 0x0
	s_load_dwordx2 s[16:17], s[4:5], 0x10
	s_mov_b64 s[8:9], -1
	s_mov_b64 s[18:19], -1
	s_waitcnt lgkmcnt(0)
	s_cmp_eq_u64 s[2:3], 0
	s_cbranch_scc1 .LBB236_3
; %bb.2:
	v_ashrrev_i32_e32 v1, 31, v8
	v_mov_b32_e32 v3, s3
	v_add_co_u32_e32 v2, vcc, s2, v8
	v_addc_co_u32_e32 v3, vcc, v3, v1, vcc
	global_load_ubyte v1, v[2:3], off
	s_waitcnt vmcnt(0)
	v_and_b32_e32 v1, 1, v1
	v_cmp_eq_u32_e32 vcc, 1, v1
	s_xor_b64 s[2:3], vcc, -1
	s_orn2_b64 s[18:19], s[2:3], exec
.LBB236_3:
	v_lshlrev_b32_e32 v2, 3, v8
	v_ashrrev_i32_e32 v3, 31, v2
	v_lshlrev_b64 v[2:3], 2, v[2:3]
	v_mov_b32_e32 v1, s1
	v_add_co_u32_e32 v2, vcc, s0, v2
	v_and_b32_e32 v9, 1, v0
	v_addc_co_u32_e32 v1, vcc, v1, v3, vcc
	v_lshlrev_b32_e32 v0, 4, v9
	v_add_co_u32_e32 v0, vcc, v2, v0
	v_addc_co_u32_e32 v1, vcc, 0, v1, vcc
	global_load_dwordx4 v[0:3], v[0:1], off
	v_mov_b32_e32 v4, 0x207
	s_load_dwordx2 s[10:11], s[4:5], 0x40
	v_lshlrev_b32_e32 v10, 2, v9
	s_waitcnt lgkmcnt(0)
	s_cmp_eq_u64 s[10:11], 0
	s_waitcnt vmcnt(0)
	v_mul_f32_e32 v0, 0xbfb8aa3b, v0
	v_mul_f32_e32 v1, 0xbfb8aa3b, v1
	v_exp_f32_e32 v0, v0
	v_exp_f32_e32 v1, v1
	v_mul_f32_e32 v2, 0xbfb8aa3b, v2
	v_mul_f32_e32 v3, 0xbfb8aa3b, v3
	v_exp_f32_e32 v2, v2
	v_exp_f32_e32 v3, v3
	v_pk_add_f32 v[0:1], v[0:1], 1.0 op_sel_hi:[1,0]
	v_div_scale_f32 v5, s[0:1], v1, v1, 1.0
	v_rcp_f32_e32 v16, v5
	v_div_scale_f32 v7, s[0:1], v0, v0, 1.0
	v_pk_add_f32 v[2:3], v[2:3], 1.0 op_sel_hi:[1,0]
	v_rcp_f32_e32 v17, v7
	v_div_scale_f32 v12, s[2:3], v3, v3, 1.0
	v_rcp_f32_e32 v18, v12
	v_fma_f32 v20, -v5, v16, 1.0
	v_div_scale_f32 v6, vcc, 1.0, v1, 1.0
	v_div_scale_f32 v14, s[6:7], v2, v2, 1.0
	v_fmac_f32_e32 v16, v20, v16
	v_rcp_f32_e32 v19, v14
	v_fma_f32 v21, -v7, v17, 1.0
	v_mul_f32_e32 v20, v6, v16
	v_div_scale_f32 v11, s[0:1], 1.0, v0, 1.0
	v_fmac_f32_e32 v17, v21, v17
	v_fma_f32 v24, -v5, v20, v6
	v_fma_f32 v22, -v12, v18, 1.0
	v_mul_f32_e32 v21, v11, v17
	v_fmac_f32_e32 v20, v24, v16
	v_div_scale_f32 v13, s[2:3], 1.0, v3, 1.0
	v_fmac_f32_e32 v18, v22, v18
	v_fma_f32 v25, -v7, v21, v11
	v_fma_f32 v5, -v5, v20, v6
	v_fma_f32 v23, -v14, v19, 1.0
	v_mul_f32_e32 v22, v13, v18
	v_fmac_f32_e32 v21, v25, v17
	v_div_fmas_f32 v5, v5, v16, v20
	v_div_scale_f32 v15, s[6:7], 1.0, v2, 1.0
	v_fmac_f32_e32 v19, v23, v19
	v_fma_f32 v26, -v12, v22, v13
	v_fma_f32 v6, -v7, v21, v11
	v_div_fixup_f32 v1, v5, v1, 1.0
	s_mov_b64 vcc, s[0:1]
	v_mul_f32_e32 v23, v15, v19
	v_fmac_f32_e32 v22, v26, v18
	v_div_fmas_f32 v5, v6, v17, v21
	v_cmp_class_f32_e32 vcc, v1, v4
	v_fma_f32 v27, -v14, v23, v15
	v_fma_f32 v7, -v12, v22, v13
	v_div_fixup_f32 v0, v5, v0, 1.0
	v_cndmask_b32_e64 v1, v1, 0, vcc
	s_mov_b64 vcc, s[2:3]
	v_fmac_f32_e32 v23, v27, v19
	v_div_fmas_f32 v5, v7, v18, v22
	v_cmp_class_f32_e32 vcc, v0, v4
	v_fma_f32 v11, -v14, v23, v15
	v_cndmask_b32_e64 v0, v0, 0, vcc
	s_mov_b64 vcc, s[6:7]
	v_div_fixup_f32 v3, v5, v3, 1.0
	v_div_fmas_f32 v5, v11, v19, v23
	v_div_fixup_f32 v2, v5, v2, 1.0
	v_cmp_class_f32_e32 vcc, v3, v4
	v_cndmask_b32_e64 v3, v3, 0, vcc
	v_cmp_class_f32_e32 vcc, v2, v4
	v_cndmask_b32_e64 v2, v2, 0, vcc
	s_cbranch_scc1 .LBB236_19
; %bb.4:
	v_lshlrev_b32_e32 v4, 2, v10
	global_load_dwordx4 v[4:7], v4, s[10:11]
	s_waitcnt vmcnt(0)
	v_pk_add_f32 v[4:5], v[4:5], v[0:1]
	v_pk_add_f32 v[6:7], v[6:7], v[2:3]
	s_cbranch_execnz .LBB236_6
.LBB236_5:
	v_pk_mov_b32 v[6:7], v[2:3], v[2:3] op_sel:[0,1]
	v_pk_mov_b32 v[4:5], v[0:1], v[0:1] op_sel:[0,1]
.LBB236_6:
	s_load_dwordx4 s[8:11], s[4:5], 0x30
	s_mov_b32 s25, 0
	v_cmp_eq_u32_e64 s[0:1], 0, v9
	s_waitcnt lgkmcnt(0)
	s_bitcmp1_b32 s11, 0
	s_cselect_b64 vcc, -1, 0
	s_cmp_gt_i32 s8, 0
	s_cselect_b64 s[6:7], -1, 0
	s_cmp_lt_i32 s8, 1
	s_cbranch_scc1 .LBB236_20
; %bb.7:
	v_mbcnt_lo_u32_b32 v11, -1, 0
	v_mbcnt_hi_u32_b32 v11, -1, v11
	s_load_dwordx4 s[12:15], s[4:5], 0x20
	v_and_b32_e32 v13, 0x7e, v11
	v_xor_b32_e32 v12, 1, v11
	v_add_u32_e32 v13, 2, v13
	v_cmp_lt_i32_e64 s[2:3], v12, v13
	v_cndmask_b32_e64 v11, v11, v12, s[2:3]
	v_lshlrev_b32_e32 v12, 2, v11
	v_mul_lo_u32 v13, v8, s8
	v_mov_b32_e32 v11, 0
	v_mov_b32_e32 v14, 0xc61c4000
	v_mov_b32_e32 v15, v8
	s_branch .LBB236_10
.LBB236_8:                              ;   in Loop: Header=BB236_10 Depth=1
	s_or_b64 exec, exec, s[4:5]
.LBB236_9:                              ;   in Loop: Header=BB236_10 Depth=1
	s_cmp_eq_u32 s8, s25
	v_add_u32_e32 v15, s24, v15
	s_cbranch_scc1 .LBB236_21
.LBB236_10:                             ; =>This Inner Loop Header: Depth=1
	v_cmp_gt_f32_e64 s[2:3], v5, v4
	v_cndmask_b32_e64 v18, v4, v5, s[2:3]
	v_cndmask_b32_e64 v16, 0, 1, s[2:3]
	;; [unrolled: 1-line block ×3, first 2 shown]
	v_cmp_gt_f32_e64 s[2:3], v6, v18
	v_cndmask_b32_e64 v18, v18, v6, s[2:3]
	v_cndmask_b32_e64 v16, v16, 2, s[2:3]
	;; [unrolled: 1-line block ×3, first 2 shown]
	v_cmp_gt_f32_e64 s[2:3], v7, v18
	v_cndmask_b32_e64 v16, v16, 3, s[2:3]
	v_cndmask_b32_e64 v20, v18, v7, s[2:3]
	v_or_b32_e32 v16, v10, v16
	v_cndmask_b32_e64 v17, v17, v3, s[2:3]
	ds_bpermute_b32 v21, v12, v20
	ds_bpermute_b32 v18, v12, v17
	;; [unrolled: 1-line block ×3, first 2 shown]
	s_waitcnt lgkmcnt(0)
	v_cmp_lt_f32_e64 s[20:21], v20, v21
	v_cmp_nlt_f32_e64 s[2:3], v20, v21
	s_and_saveexec_b64 s[22:23], s[2:3]
	s_cbranch_execnz .LBB236_14
; %bb.11:                               ;   in Loop: Header=BB236_10 Depth=1
	s_or_b64 exec, exec, s[22:23]
	s_and_saveexec_b64 s[2:3], s[20:21]
	s_cbranch_execnz .LBB236_15
.LBB236_12:                             ;   in Loop: Header=BB236_10 Depth=1
	s_or_b64 exec, exec, s[2:3]
	s_and_saveexec_b64 s[20:21], s[0:1]
	s_cbranch_execnz .LBB236_16
.LBB236_13:                             ;   in Loop: Header=BB236_10 Depth=1
	s_or_b64 exec, exec, s[20:21]
	s_add_i32 s25, s25, 1
	s_cmp_ge_i32 s25, s8
	s_cbranch_scc1 .LBB236_9
	s_branch .LBB236_17
.LBB236_14:                             ;   in Loop: Header=BB236_10 Depth=1
	v_cmp_eq_f32_e64 s[2:3], v20, v21
	v_cmp_lt_i32_e64 s[4:5], v19, v16
	s_and_b64 s[2:3], s[2:3], s[4:5]
	s_andn2_b64 s[4:5], s[20:21], exec
	s_and_b64 s[2:3], s[2:3], exec
	s_or_b64 s[20:21], s[4:5], s[2:3]
	s_or_b64 exec, exec, s[22:23]
	s_and_saveexec_b64 s[2:3], s[20:21]
	s_cbranch_execz .LBB236_12
.LBB236_15:                             ;   in Loop: Header=BB236_10 Depth=1
	v_mov_b32_e32 v16, v19
	v_mov_b32_e32 v17, v18
	s_or_b64 exec, exec, s[2:3]
	s_and_saveexec_b64 s[20:21], s[0:1]
	s_cbranch_execz .LBB236_13
.LBB236_16:                             ;   in Loop: Header=BB236_10 Depth=1
	v_add_u32_e32 v18, s25, v13
	v_ashrrev_i32_e32 v19, 31, v18
	v_cmp_le_i32_e64 s[2:3], s9, v16
	v_cmp_gt_i32_e64 s[4:5], s10, v16
	v_lshlrev_b64 v[20:21], 2, v[18:19]
	s_and_b64 s[4:5], s[2:3], s[4:5]
	v_mov_b32_e32 v23, s17
	v_add_co_u32_e64 v22, s[2:3], s16, v20
	v_addc_co_u32_e64 v23, s[2:3], v23, v21, s[2:3]
	global_store_dword v[22:23], v17, off
	v_subrev_u32_e32 v22, s9, v16
	v_ashrrev_i32_e32 v23, 31, v22
	s_and_b64 s[2:3], s[18:19], s[4:5]
	v_lshlrev_b64 v[18:19], 3, v[18:19]
	v_cndmask_b32_e64 v23, 0, v23, s[2:3]
	v_cndmask_b32_e64 v22, 8, v22, s[2:3]
	v_mov_b32_e32 v24, s13
	v_add_co_u32_e64 v18, s[2:3], s12, v18
	v_addc_co_u32_e64 v19, s[2:3], v24, v19, s[2:3]
	global_store_dwordx2 v[18:19], v[22:23], off
	v_mov_b32_e32 v19, s15
	v_add_co_u32_e64 v18, s[2:3], s14, v20
	v_add_f32_e32 v17, v11, v17
	v_addc_co_u32_e64 v19, s[2:3], v19, v21, s[2:3]
	v_cndmask_b32_e32 v11, v11, v17, vcc
	global_store_dword v[18:19], v15, off
	s_or_b64 exec, exec, s[20:21]
	s_add_i32 s25, s25, 1
	s_cmp_ge_i32 s25, s8
	s_cbranch_scc1 .LBB236_9
.LBB236_17:                             ;   in Loop: Header=BB236_10 Depth=1
	v_ashrrev_i32_e32 v18, 31, v16
	v_lshrrev_b32_e32 v17, 30, v18
	v_add_u32_e32 v19, v16, v17
	v_ashrrev_i32_e32 v17, 2, v19
	v_lshrrev_b32_e32 v19, 31, v19
	v_add_u32_e32 v19, v17, v19
	v_and_b32_e32 v19, -2, v19
	v_sub_u32_e32 v19, v17, v19
	v_cmp_eq_u32_e64 s[2:3], v9, v19
	s_and_saveexec_b64 s[4:5], s[2:3]
	s_cbranch_execz .LBB236_8
; %bb.18:                               ;   in Loop: Header=BB236_10 Depth=1
	v_lshrrev_b32_e32 v18, 29, v18
	v_add_u32_e32 v18, v16, v18
	v_lshlrev_b32_e32 v17, 2, v17
	v_ashrrev_i32_e32 v18, 3, v18
	v_sub_u32_e32 v16, v16, v17
	v_lshl_add_u32 v16, v18, 2, v16
	v_cmp_ne_u32_e64 s[2:3], 3, v16
	v_cndmask_b32_e64 v7, v14, v7, s[2:3]
	v_cmp_ne_u32_e64 s[2:3], 2, v16
	v_cndmask_b32_e64 v6, v14, v6, s[2:3]
	v_cmp_ne_u32_e64 s[2:3], 1, v16
	v_cndmask_b32_e64 v5, v14, v5, s[2:3]
	v_cmp_ne_u32_e64 s[2:3], 0, v16
	v_cndmask_b32_e64 v4, v14, v4, s[2:3]
	s_branch .LBB236_8
.LBB236_19:
                                        ; implicit-def: $vgpr4_vgpr5_vgpr6_vgpr7
	s_andn2_b64 vcc, exec, s[8:9]
	s_cbranch_vccz .LBB236_5
	s_branch .LBB236_6
.LBB236_20:
	v_mov_b32_e32 v11, 0
.LBB236_21:
	v_cmp_eq_u32_e64 s[0:1], 0, v9
	s_and_b64 s[0:1], s[0:1], vcc
	s_and_b64 exec, exec, s[0:1]
	s_cbranch_execz .LBB236_30
; %bb.22:
	s_andn2_b64 vcc, exec, s[6:7]
	s_cbranch_vccnz .LBB236_30
; %bb.23:
	v_cmp_lt_f32_e32 vcc, 0, v11
	s_mov_b32 s2, 0
	v_cndmask_b32_e32 v0, 1.0, v11, vcc
	v_mul_lo_u32 v4, v8, s8
	s_cmp_eq_u32 s8, 1
	s_mov_b64 s[0:1], -1
	s_cbranch_scc1 .LBB236_27
; %bb.24:
	s_and_b32 s2, s8, 0x7ffffffe
	v_mov_b32_e32 v1, v0
	v_mov_b32_e32 v5, s17
	s_mov_b32 s3, s2
	v_mov_b32_e32 v2, v4
.LBB236_25:                             ; =>This Inner Loop Header: Depth=1
	v_ashrrev_i32_e32 v3, 31, v2
	v_lshlrev_b64 v[6:7], 2, v[2:3]
	v_add_co_u32_e32 v6, vcc, s16, v6
	v_addc_co_u32_e32 v7, vcc, v5, v7, vcc
	global_load_dwordx2 v[8:9], v[6:7], off
	s_add_i32 s3, s3, -2
	s_cmp_lg_u32 s3, 0
	v_add_u32_e32 v2, 2, v2
	s_waitcnt vmcnt(0)
	v_div_scale_f32 v3, s[0:1], v1, v1, v9
	v_div_scale_f32 v11, s[0:1], v0, v0, v8
	v_rcp_f32_e32 v12, v3
	v_rcp_f32_e32 v13, v11
	v_div_scale_f32 v10, vcc, v9, v1, v9
	v_fma_f32 v15, -v3, v12, 1.0
	v_fma_f32 v16, -v11, v13, 1.0
	v_fmac_f32_e32 v12, v15, v12
	v_div_scale_f32 v14, s[0:1], v8, v0, v8
	v_fmac_f32_e32 v13, v16, v13
	v_mul_f32_e32 v15, v10, v12
	v_mul_f32_e32 v16, v14, v13
	v_fma_f32 v17, -v3, v15, v10
	v_fma_f32 v18, -v11, v16, v14
	v_fmac_f32_e32 v15, v17, v12
	v_fmac_f32_e32 v16, v18, v13
	v_fma_f32 v3, -v3, v15, v10
	v_fma_f32 v10, -v11, v16, v14
	v_div_fmas_f32 v3, v3, v12, v15
	s_mov_b64 vcc, s[0:1]
	v_div_fixup_f32 v9, v3, v1, v9
	v_div_fmas_f32 v3, v10, v13, v16
	v_div_fixup_f32 v8, v3, v0, v8
	global_store_dwordx2 v[6:7], v[8:9], off
	s_cbranch_scc1 .LBB236_25
; %bb.26:
	s_cmp_lg_u32 s2, s8
	s_cselect_b64 s[0:1], -1, 0
.LBB236_27:
	s_and_b64 vcc, exec, s[0:1]
	s_cbranch_vccz .LBB236_30
; %bb.28:
	v_ashrrev_i32_e32 v1, 31, v4
	v_add_co_u32_e32 v2, vcc, s2, v4
	v_addc_co_u32_e32 v3, vcc, 0, v1, vcc
	v_lshlrev_b64 v[2:3], 2, v[2:3]
	v_mov_b32_e32 v1, s17
	v_add_co_u32_e32 v2, vcc, s16, v2
	s_sub_i32 s0, s8, s2
	v_addc_co_u32_e32 v3, vcc, v1, v3, vcc
.LBB236_29:                             ; =>This Inner Loop Header: Depth=1
	global_load_dword v1, v[2:3], off
	s_add_i32 s0, s0, -1
	s_cmp_lg_u32 s0, 0
	s_waitcnt vmcnt(0)
	v_div_scale_f32 v4, s[2:3], v0, v0, v1
	v_rcp_f32_e32 v5, v4
	v_div_scale_f32 v6, vcc, v1, v0, v1
	v_fma_f32 v7, -v4, v5, 1.0
	v_fmac_f32_e32 v5, v7, v5
	v_mul_f32_e32 v7, v6, v5
	v_fma_f32 v8, -v4, v7, v6
	v_fmac_f32_e32 v7, v8, v5
	v_fma_f32 v4, -v4, v7, v6
	v_div_fmas_f32 v4, v4, v5, v7
	v_div_fixup_f32 v1, v4, v0, v1
	global_store_dword v[2:3], v1, off
	v_add_co_u32_e32 v2, vcc, 4, v2
	v_addc_co_u32_e32 v3, vcc, 0, v3, vcc
	s_cbranch_scc1 .LBB236_29
.LBB236_30:
	s_endpgm
	.section	.rodata,"a",@progbits
	.p2align	6, 0x0
	.amdhsa_kernel _ZN4vllm3moe10topkGatingILi4ELi8ELi4ELi16ELi32ElfLNS0_11ScoringFuncE1EEEvPKT5_PKbPfiPT4_PiiiibPKf
		.amdhsa_group_segment_fixed_size 0
		.amdhsa_private_segment_fixed_size 0
		.amdhsa_kernarg_size 72
		.amdhsa_user_sgpr_count 6
		.amdhsa_user_sgpr_private_segment_buffer 1
		.amdhsa_user_sgpr_dispatch_ptr 0
		.amdhsa_user_sgpr_queue_ptr 0
		.amdhsa_user_sgpr_kernarg_segment_ptr 1
		.amdhsa_user_sgpr_dispatch_id 0
		.amdhsa_user_sgpr_flat_scratch_init 0
		.amdhsa_user_sgpr_kernarg_preload_length 0
		.amdhsa_user_sgpr_kernarg_preload_offset 0
		.amdhsa_user_sgpr_private_segment_size 0
		.amdhsa_uses_dynamic_stack 0
		.amdhsa_system_sgpr_private_segment_wavefront_offset 0
		.amdhsa_system_sgpr_workgroup_id_x 1
		.amdhsa_system_sgpr_workgroup_id_y 0
		.amdhsa_system_sgpr_workgroup_id_z 0
		.amdhsa_system_sgpr_workgroup_info 0
		.amdhsa_system_vgpr_workitem_id 1
		.amdhsa_next_free_vgpr 28
		.amdhsa_next_free_sgpr 26
		.amdhsa_accum_offset 28
		.amdhsa_reserve_vcc 1
		.amdhsa_reserve_flat_scratch 0
		.amdhsa_float_round_mode_32 0
		.amdhsa_float_round_mode_16_64 0
		.amdhsa_float_denorm_mode_32 3
		.amdhsa_float_denorm_mode_16_64 3
		.amdhsa_dx10_clamp 1
		.amdhsa_ieee_mode 1
		.amdhsa_fp16_overflow 0
		.amdhsa_tg_split 0
		.amdhsa_exception_fp_ieee_invalid_op 0
		.amdhsa_exception_fp_denorm_src 0
		.amdhsa_exception_fp_ieee_div_zero 0
		.amdhsa_exception_fp_ieee_overflow 0
		.amdhsa_exception_fp_ieee_underflow 0
		.amdhsa_exception_fp_ieee_inexact 0
		.amdhsa_exception_int_div_zero 0
	.end_amdhsa_kernel
	.section	.text._ZN4vllm3moe10topkGatingILi4ELi8ELi4ELi16ELi32ElfLNS0_11ScoringFuncE1EEEvPKT5_PKbPfiPT4_PiiiibPKf,"axG",@progbits,_ZN4vllm3moe10topkGatingILi4ELi8ELi4ELi16ELi32ElfLNS0_11ScoringFuncE1EEEvPKT5_PKbPfiPT4_PiiiibPKf,comdat
.Lfunc_end236:
	.size	_ZN4vllm3moe10topkGatingILi4ELi8ELi4ELi16ELi32ElfLNS0_11ScoringFuncE1EEEvPKT5_PKbPfiPT4_PiiiibPKf, .Lfunc_end236-_ZN4vllm3moe10topkGatingILi4ELi8ELi4ELi16ELi32ElfLNS0_11ScoringFuncE1EEEvPKT5_PKbPfiPT4_PiiiibPKf
                                        ; -- End function
	.section	.AMDGPU.csdata,"",@progbits
; Kernel info:
; codeLenInByte = 1900
; NumSgprs: 30
; NumVgprs: 28
; NumAgprs: 0
; TotalNumVgprs: 28
; ScratchSize: 0
; MemoryBound: 0
; FloatMode: 240
; IeeeMode: 1
; LDSByteSize: 0 bytes/workgroup (compile time only)
; SGPRBlocks: 3
; VGPRBlocks: 3
; NumSGPRsForWavesPerEU: 30
; NumVGPRsForWavesPerEU: 28
; AccumOffset: 28
; Occupancy: 8
; WaveLimiterHint : 0
; COMPUTE_PGM_RSRC2:SCRATCH_EN: 0
; COMPUTE_PGM_RSRC2:USER_SGPR: 6
; COMPUTE_PGM_RSRC2:TRAP_HANDLER: 0
; COMPUTE_PGM_RSRC2:TGID_X_EN: 1
; COMPUTE_PGM_RSRC2:TGID_Y_EN: 0
; COMPUTE_PGM_RSRC2:TGID_Z_EN: 0
; COMPUTE_PGM_RSRC2:TIDIG_COMP_CNT: 1
; COMPUTE_PGM_RSRC3_GFX90A:ACCUM_OFFSET: 6
; COMPUTE_PGM_RSRC3_GFX90A:TG_SPLIT: 0
	.section	.text._ZN4vllm3moe10topkGatingILi4ELi16ELi4ELi16ELi64ElfLNS0_11ScoringFuncE1EEEvPKT5_PKbPfiPT4_PiiiibPKf,"axG",@progbits,_ZN4vllm3moe10topkGatingILi4ELi16ELi4ELi16ELi64ElfLNS0_11ScoringFuncE1EEEvPKT5_PKbPfiPT4_PiiiibPKf,comdat
	.protected	_ZN4vllm3moe10topkGatingILi4ELi16ELi4ELi16ELi64ElfLNS0_11ScoringFuncE1EEEvPKT5_PKbPfiPT4_PiiiibPKf ; -- Begin function _ZN4vllm3moe10topkGatingILi4ELi16ELi4ELi16ELi64ElfLNS0_11ScoringFuncE1EEEvPKT5_PKbPfiPT4_PiiiibPKf
	.globl	_ZN4vllm3moe10topkGatingILi4ELi16ELi4ELi16ELi64ElfLNS0_11ScoringFuncE1EEEvPKT5_PKbPfiPT4_PiiiibPKf
	.p2align	8
	.type	_ZN4vllm3moe10topkGatingILi4ELi16ELi4ELi16ELi64ElfLNS0_11ScoringFuncE1EEEvPKT5_PKbPfiPT4_PiiiibPKf,@function
_ZN4vllm3moe10topkGatingILi4ELi16ELi4ELi16ELi64ElfLNS0_11ScoringFuncE1EEEvPKT5_PKbPfiPT4_PiiiibPKf: ; @_ZN4vllm3moe10topkGatingILi4ELi16ELi4ELi16ELi64ElfLNS0_11ScoringFuncE1EEEvPKT5_PKbPfiPT4_PiiiibPKf
; %bb.0:
	s_load_dword s24, s[4:5], 0x18
	v_bfe_u32 v1, v0, 10, 10
	v_and_b32_e32 v0, 0x3ff, v0
	s_lshl_b32 s0, s6, 6
	v_lshlrev_b32_e32 v1, 4, v1
	v_lshrrev_b32_e32 v2, 2, v0
	v_add3_u32 v8, s0, v1, v2
	s_waitcnt lgkmcnt(0)
	v_cmp_gt_i32_e32 vcc, s24, v8
	s_and_saveexec_b64 s[0:1], vcc
	s_cbranch_execz .LBB237_34
; %bb.1:
	s_load_dwordx4 s[0:3], s[4:5], 0x0
	s_load_dwordx2 s[16:17], s[4:5], 0x10
	s_mov_b64 s[8:9], -1
	s_mov_b64 s[18:19], -1
	s_waitcnt lgkmcnt(0)
	s_cmp_eq_u64 s[2:3], 0
	s_cbranch_scc1 .LBB237_3
; %bb.2:
	v_ashrrev_i32_e32 v1, 31, v8
	v_mov_b32_e32 v3, s3
	v_add_co_u32_e32 v2, vcc, s2, v8
	v_addc_co_u32_e32 v3, vcc, v3, v1, vcc
	global_load_ubyte v1, v[2:3], off
	s_waitcnt vmcnt(0)
	v_and_b32_e32 v1, 1, v1
	v_cmp_eq_u32_e32 vcc, 1, v1
	s_xor_b64 s[2:3], vcc, -1
	s_orn2_b64 s[18:19], s[2:3], exec
.LBB237_3:
	v_lshlrev_b32_e32 v2, 4, v8
	v_ashrrev_i32_e32 v3, 31, v2
	v_lshlrev_b64 v[2:3], 2, v[2:3]
	v_mov_b32_e32 v1, s1
	v_add_co_u32_e32 v2, vcc, s0, v2
	v_and_b32_e32 v9, 3, v0
	v_addc_co_u32_e32 v1, vcc, v1, v3, vcc
	v_lshlrev_b32_e32 v0, 4, v9
	v_add_co_u32_e32 v0, vcc, v2, v0
	v_addc_co_u32_e32 v1, vcc, 0, v1, vcc
	global_load_dwordx4 v[0:3], v[0:1], off
	v_mov_b32_e32 v4, 0x207
	s_load_dwordx2 s[10:11], s[4:5], 0x40
	v_lshlrev_b32_e32 v10, 2, v9
	s_waitcnt lgkmcnt(0)
	s_cmp_eq_u64 s[10:11], 0
	s_waitcnt vmcnt(0)
	v_mul_f32_e32 v0, 0xbfb8aa3b, v0
	v_mul_f32_e32 v1, 0xbfb8aa3b, v1
	v_exp_f32_e32 v0, v0
	v_exp_f32_e32 v1, v1
	v_mul_f32_e32 v2, 0xbfb8aa3b, v2
	v_mul_f32_e32 v3, 0xbfb8aa3b, v3
	v_exp_f32_e32 v2, v2
	v_exp_f32_e32 v3, v3
	v_pk_add_f32 v[0:1], v[0:1], 1.0 op_sel_hi:[1,0]
	v_div_scale_f32 v5, s[0:1], v1, v1, 1.0
	v_rcp_f32_e32 v16, v5
	v_div_scale_f32 v7, s[0:1], v0, v0, 1.0
	v_pk_add_f32 v[2:3], v[2:3], 1.0 op_sel_hi:[1,0]
	v_rcp_f32_e32 v17, v7
	v_div_scale_f32 v12, s[2:3], v3, v3, 1.0
	v_rcp_f32_e32 v18, v12
	v_fma_f32 v20, -v5, v16, 1.0
	v_div_scale_f32 v6, vcc, 1.0, v1, 1.0
	v_div_scale_f32 v14, s[6:7], v2, v2, 1.0
	v_fmac_f32_e32 v16, v20, v16
	v_rcp_f32_e32 v19, v14
	v_fma_f32 v21, -v7, v17, 1.0
	v_mul_f32_e32 v20, v6, v16
	v_div_scale_f32 v11, s[0:1], 1.0, v0, 1.0
	v_fmac_f32_e32 v17, v21, v17
	v_fma_f32 v24, -v5, v20, v6
	v_fma_f32 v22, -v12, v18, 1.0
	v_mul_f32_e32 v21, v11, v17
	v_fmac_f32_e32 v20, v24, v16
	v_div_scale_f32 v13, s[2:3], 1.0, v3, 1.0
	v_fmac_f32_e32 v18, v22, v18
	v_fma_f32 v25, -v7, v21, v11
	v_fma_f32 v5, -v5, v20, v6
	v_fma_f32 v23, -v14, v19, 1.0
	v_mul_f32_e32 v22, v13, v18
	v_fmac_f32_e32 v21, v25, v17
	v_div_fmas_f32 v5, v5, v16, v20
	v_div_scale_f32 v15, s[6:7], 1.0, v2, 1.0
	v_fmac_f32_e32 v19, v23, v19
	v_fma_f32 v26, -v12, v22, v13
	v_fma_f32 v6, -v7, v21, v11
	v_div_fixup_f32 v1, v5, v1, 1.0
	s_mov_b64 vcc, s[0:1]
	v_mul_f32_e32 v23, v15, v19
	v_fmac_f32_e32 v22, v26, v18
	v_div_fmas_f32 v5, v6, v17, v21
	v_cmp_class_f32_e32 vcc, v1, v4
	v_fma_f32 v27, -v14, v23, v15
	v_fma_f32 v7, -v12, v22, v13
	v_div_fixup_f32 v0, v5, v0, 1.0
	v_cndmask_b32_e64 v1, v1, 0, vcc
	s_mov_b64 vcc, s[2:3]
	v_fmac_f32_e32 v23, v27, v19
	v_div_fmas_f32 v5, v7, v18, v22
	v_cmp_class_f32_e32 vcc, v0, v4
	v_fma_f32 v11, -v14, v23, v15
	v_cndmask_b32_e64 v0, v0, 0, vcc
	s_mov_b64 vcc, s[6:7]
	v_div_fixup_f32 v3, v5, v3, 1.0
	v_div_fmas_f32 v5, v11, v19, v23
	v_div_fixup_f32 v2, v5, v2, 1.0
	v_cmp_class_f32_e32 vcc, v3, v4
	v_cndmask_b32_e64 v3, v3, 0, vcc
	v_cmp_class_f32_e32 vcc, v2, v4
	v_cndmask_b32_e64 v2, v2, 0, vcc
	s_cbranch_scc1 .LBB237_23
; %bb.4:
	v_lshlrev_b32_e32 v4, 2, v10
	global_load_dwordx4 v[4:7], v4, s[10:11]
	s_waitcnt vmcnt(0)
	v_pk_add_f32 v[4:5], v[4:5], v[0:1]
	v_pk_add_f32 v[6:7], v[6:7], v[2:3]
	s_cbranch_execnz .LBB237_6
.LBB237_5:
	v_pk_mov_b32 v[6:7], v[2:3], v[2:3] op_sel:[0,1]
	v_pk_mov_b32 v[4:5], v[0:1], v[0:1] op_sel:[0,1]
.LBB237_6:
	s_load_dwordx4 s[8:11], s[4:5], 0x30
	s_mov_b32 s25, 0
	v_cmp_eq_u32_e64 s[0:1], 0, v9
	s_waitcnt lgkmcnt(0)
	s_bitcmp1_b32 s11, 0
	s_cselect_b64 vcc, -1, 0
	s_cmp_gt_i32 s8, 0
	s_cselect_b64 s[6:7], -1, 0
	s_cmp_lt_i32 s8, 1
	s_cbranch_scc1 .LBB237_24
; %bb.7:
	v_mbcnt_lo_u32_b32 v11, -1, 0
	v_mbcnt_hi_u32_b32 v11, -1, v11
	v_and_b32_e32 v12, 0x7c, v11
	s_load_dwordx4 s[12:15], s[4:5], 0x20
	v_add_u32_e32 v14, 4, v12
	v_xor_b32_e32 v13, 2, v11
	v_cmp_lt_i32_e64 s[2:3], v13, v14
	v_xor_b32_e32 v15, 1, v11
	v_cndmask_b32_e64 v13, v11, v13, s[2:3]
	v_cmp_lt_i32_e64 s[2:3], v15, v14
	v_cndmask_b32_e64 v11, v11, v15, s[2:3]
	v_mul_lo_u32 v12, v8, s8
	v_lshlrev_b32_e32 v13, 2, v13
	v_lshlrev_b32_e32 v14, 2, v11
	v_mov_b32_e32 v11, 0
	v_mov_b32_e32 v15, 0xc61c4000
	;; [unrolled: 1-line block ×3, first 2 shown]
	s_branch .LBB237_10
.LBB237_8:                              ;   in Loop: Header=BB237_10 Depth=1
	s_or_b64 exec, exec, s[4:5]
.LBB237_9:                              ;   in Loop: Header=BB237_10 Depth=1
	s_cmp_eq_u32 s8, s25
	v_add_u32_e32 v16, s24, v16
	s_cbranch_scc1 .LBB237_25
.LBB237_10:                             ; =>This Inner Loop Header: Depth=1
	v_cmp_gt_f32_e64 s[2:3], v5, v4
	v_cndmask_b32_e64 v19, v4, v5, s[2:3]
	v_cndmask_b32_e64 v17, 0, 1, s[2:3]
	;; [unrolled: 1-line block ×3, first 2 shown]
	v_cmp_gt_f32_e64 s[2:3], v6, v19
	v_cndmask_b32_e64 v19, v19, v6, s[2:3]
	v_cndmask_b32_e64 v17, v17, 2, s[2:3]
	;; [unrolled: 1-line block ×3, first 2 shown]
	v_cmp_gt_f32_e64 s[2:3], v7, v19
	v_cndmask_b32_e64 v17, v17, 3, s[2:3]
	v_cndmask_b32_e64 v19, v19, v7, s[2:3]
	v_or_b32_e32 v17, v10, v17
	v_cndmask_b32_e64 v18, v18, v3, s[2:3]
	s_waitcnt lgkmcnt(0)
	ds_bpermute_b32 v20, v13, v19
	ds_bpermute_b32 v22, v13, v18
	;; [unrolled: 1-line block ×3, first 2 shown]
	s_waitcnt lgkmcnt(0)
	v_cmp_lt_f32_e64 s[20:21], v19, v20
	v_cmp_nlt_f32_e64 s[2:3], v19, v20
	s_and_saveexec_b64 s[22:23], s[2:3]
; %bb.11:                               ;   in Loop: Header=BB237_10 Depth=1
	v_cmp_eq_f32_e64 s[2:3], v19, v20
	v_cmp_lt_i32_e64 s[4:5], v21, v17
	s_and_b64 s[2:3], s[2:3], s[4:5]
	s_andn2_b64 s[4:5], s[20:21], exec
	s_and_b64 s[2:3], s[2:3], exec
	s_or_b64 s[20:21], s[4:5], s[2:3]
; %bb.12:                               ;   in Loop: Header=BB237_10 Depth=1
	s_or_b64 exec, exec, s[22:23]
	s_and_saveexec_b64 s[2:3], s[20:21]
; %bb.13:                               ;   in Loop: Header=BB237_10 Depth=1
	v_mov_b32_e32 v18, v22
	v_mov_b32_e32 v19, v20
	;; [unrolled: 1-line block ×3, first 2 shown]
; %bb.14:                               ;   in Loop: Header=BB237_10 Depth=1
	s_or_b64 exec, exec, s[2:3]
	ds_bpermute_b32 v22, v14, v19
	ds_bpermute_b32 v20, v14, v18
	;; [unrolled: 1-line block ×3, first 2 shown]
	s_waitcnt lgkmcnt(2)
	v_cmp_lt_f32_e64 s[20:21], v19, v22
	v_cmp_nlt_f32_e64 s[2:3], v19, v22
	s_and_saveexec_b64 s[22:23], s[2:3]
	s_cbranch_execnz .LBB237_18
; %bb.15:                               ;   in Loop: Header=BB237_10 Depth=1
	s_or_b64 exec, exec, s[22:23]
	s_and_saveexec_b64 s[2:3], s[20:21]
	s_cbranch_execnz .LBB237_19
.LBB237_16:                             ;   in Loop: Header=BB237_10 Depth=1
	s_or_b64 exec, exec, s[2:3]
	s_and_saveexec_b64 s[20:21], s[0:1]
	s_cbranch_execnz .LBB237_20
.LBB237_17:                             ;   in Loop: Header=BB237_10 Depth=1
	s_or_b64 exec, exec, s[20:21]
	s_add_i32 s25, s25, 1
	s_cmp_ge_i32 s25, s8
	s_cbranch_scc1 .LBB237_9
	s_branch .LBB237_21
.LBB237_18:                             ;   in Loop: Header=BB237_10 Depth=1
	v_cmp_eq_f32_e64 s[2:3], v19, v22
	s_waitcnt lgkmcnt(0)
	v_cmp_lt_i32_e64 s[4:5], v21, v17
	s_and_b64 s[2:3], s[2:3], s[4:5]
	s_andn2_b64 s[4:5], s[20:21], exec
	s_and_b64 s[2:3], s[2:3], exec
	s_or_b64 s[20:21], s[4:5], s[2:3]
	s_or_b64 exec, exec, s[22:23]
	s_and_saveexec_b64 s[2:3], s[20:21]
	s_cbranch_execz .LBB237_16
.LBB237_19:                             ;   in Loop: Header=BB237_10 Depth=1
	s_waitcnt lgkmcnt(0)
	v_mov_b32_e32 v17, v21
	v_mov_b32_e32 v18, v20
	s_or_b64 exec, exec, s[2:3]
	s_and_saveexec_b64 s[20:21], s[0:1]
	s_cbranch_execz .LBB237_17
.LBB237_20:                             ;   in Loop: Header=BB237_10 Depth=1
	s_waitcnt lgkmcnt(1)
	v_add_u32_e32 v20, s25, v12
	s_waitcnt lgkmcnt(0)
	v_ashrrev_i32_e32 v21, 31, v20
	v_cmp_le_i32_e64 s[2:3], s9, v17
	v_cmp_gt_i32_e64 s[4:5], s10, v17
	v_lshlrev_b64 v[22:23], 2, v[20:21]
	s_and_b64 s[4:5], s[2:3], s[4:5]
	v_mov_b32_e32 v19, s17
	v_add_co_u32_e64 v24, s[2:3], s16, v22
	v_addc_co_u32_e64 v25, s[2:3], v19, v23, s[2:3]
	v_subrev_u32_e32 v19, s9, v17
	global_store_dword v[24:25], v18, off
	v_ashrrev_i32_e32 v24, 31, v19
	s_and_b64 s[2:3], s[18:19], s[4:5]
	v_lshlrev_b64 v[20:21], 3, v[20:21]
	v_cndmask_b32_e64 v25, 0, v24, s[2:3]
	v_cndmask_b32_e64 v24, 16, v19, s[2:3]
	v_mov_b32_e32 v19, s13
	v_add_co_u32_e64 v20, s[2:3], s12, v20
	v_addc_co_u32_e64 v21, s[2:3], v19, v21, s[2:3]
	global_store_dwordx2 v[20:21], v[24:25], off
	v_mov_b32_e32 v19, s15
	v_add_co_u32_e64 v20, s[2:3], s14, v22
	v_add_f32_e32 v18, v11, v18
	v_addc_co_u32_e64 v21, s[2:3], v19, v23, s[2:3]
	v_cndmask_b32_e32 v11, v11, v18, vcc
	global_store_dword v[20:21], v16, off
	s_or_b64 exec, exec, s[20:21]
	s_add_i32 s25, s25, 1
	s_cmp_ge_i32 s25, s8
	s_cbranch_scc1 .LBB237_9
.LBB237_21:                             ;   in Loop: Header=BB237_10 Depth=1
	v_ashrrev_i32_e32 v19, 31, v17
	v_lshrrev_b32_e32 v18, 30, v19
	v_add_u32_e32 v18, v17, v18
	v_ashrrev_i32_e32 v18, 2, v18
	s_waitcnt lgkmcnt(1)
	v_lshrrev_b32_e32 v20, 30, v18
	v_add_u32_e32 v20, v18, v20
	v_and_b32_e32 v20, -4, v20
	v_sub_u32_e32 v20, v18, v20
	v_cmp_eq_u32_e64 s[2:3], v9, v20
	s_and_saveexec_b64 s[4:5], s[2:3]
	s_cbranch_execz .LBB237_8
; %bb.22:                               ;   in Loop: Header=BB237_10 Depth=1
	v_lshrrev_b32_e32 v19, 28, v19
	v_add_u32_e32 v19, v17, v19
	v_lshlrev_b32_e32 v18, 2, v18
	v_ashrrev_i32_e32 v19, 4, v19
	v_sub_u32_e32 v17, v17, v18
	v_lshl_add_u32 v17, v19, 2, v17
	v_cmp_ne_u32_e64 s[2:3], 3, v17
	v_cndmask_b32_e64 v7, v15, v7, s[2:3]
	v_cmp_ne_u32_e64 s[2:3], 2, v17
	v_cndmask_b32_e64 v6, v15, v6, s[2:3]
	;; [unrolled: 2-line block ×4, first 2 shown]
	s_branch .LBB237_8
.LBB237_23:
                                        ; implicit-def: $vgpr4_vgpr5_vgpr6_vgpr7
	s_andn2_b64 vcc, exec, s[8:9]
	s_cbranch_vccz .LBB237_5
	s_branch .LBB237_6
.LBB237_24:
	v_mov_b32_e32 v11, 0
.LBB237_25:
	v_cmp_eq_u32_e64 s[0:1], 0, v9
	s_and_b64 s[0:1], s[0:1], vcc
	s_and_b64 exec, exec, s[0:1]
	s_cbranch_execz .LBB237_34
; %bb.26:
	s_andn2_b64 vcc, exec, s[6:7]
	s_cbranch_vccnz .LBB237_34
; %bb.27:
	v_cmp_lt_f32_e32 vcc, 0, v11
	s_mov_b32 s2, 0
	v_cndmask_b32_e32 v0, 1.0, v11, vcc
	v_mul_lo_u32 v4, v8, s8
	s_cmp_eq_u32 s8, 1
	s_mov_b64 s[0:1], -1
	s_cbranch_scc1 .LBB237_31
; %bb.28:
	s_and_b32 s2, s8, 0x7ffffffe
	v_mov_b32_e32 v1, v0
	v_mov_b32_e32 v5, s17
	s_mov_b32 s3, s2
	v_mov_b32_e32 v2, v4
.LBB237_29:                             ; =>This Inner Loop Header: Depth=1
	v_ashrrev_i32_e32 v3, 31, v2
	v_lshlrev_b64 v[6:7], 2, v[2:3]
	v_add_co_u32_e32 v6, vcc, s16, v6
	v_addc_co_u32_e32 v7, vcc, v5, v7, vcc
	global_load_dwordx2 v[8:9], v[6:7], off
	s_add_i32 s3, s3, -2
	s_cmp_lg_u32 s3, 0
	v_add_u32_e32 v2, 2, v2
	s_waitcnt vmcnt(0)
	v_div_scale_f32 v3, s[0:1], v1, v1, v9
	v_div_scale_f32 v11, s[0:1], v0, v0, v8
	v_rcp_f32_e32 v12, v3
	v_rcp_f32_e32 v13, v11
	v_div_scale_f32 v10, vcc, v9, v1, v9
	v_fma_f32 v15, -v3, v12, 1.0
	v_fma_f32 v16, -v11, v13, 1.0
	v_fmac_f32_e32 v12, v15, v12
	v_div_scale_f32 v14, s[0:1], v8, v0, v8
	v_fmac_f32_e32 v13, v16, v13
	v_mul_f32_e32 v15, v10, v12
	v_mul_f32_e32 v16, v14, v13
	v_fma_f32 v17, -v3, v15, v10
	v_fma_f32 v18, -v11, v16, v14
	v_fmac_f32_e32 v15, v17, v12
	v_fmac_f32_e32 v16, v18, v13
	v_fma_f32 v3, -v3, v15, v10
	v_fma_f32 v10, -v11, v16, v14
	v_div_fmas_f32 v3, v3, v12, v15
	s_mov_b64 vcc, s[0:1]
	v_div_fixup_f32 v9, v3, v1, v9
	v_div_fmas_f32 v3, v10, v13, v16
	v_div_fixup_f32 v8, v3, v0, v8
	global_store_dwordx2 v[6:7], v[8:9], off
	s_cbranch_scc1 .LBB237_29
; %bb.30:
	s_cmp_lg_u32 s2, s8
	s_cselect_b64 s[0:1], -1, 0
.LBB237_31:
	s_and_b64 vcc, exec, s[0:1]
	s_cbranch_vccz .LBB237_34
; %bb.32:
	v_ashrrev_i32_e32 v1, 31, v4
	v_add_co_u32_e32 v2, vcc, s2, v4
	v_addc_co_u32_e32 v3, vcc, 0, v1, vcc
	v_lshlrev_b64 v[2:3], 2, v[2:3]
	v_mov_b32_e32 v1, s17
	v_add_co_u32_e32 v2, vcc, s16, v2
	s_sub_i32 s0, s8, s2
	v_addc_co_u32_e32 v3, vcc, v1, v3, vcc
.LBB237_33:                             ; =>This Inner Loop Header: Depth=1
	global_load_dword v1, v[2:3], off
	s_add_i32 s0, s0, -1
	s_cmp_lg_u32 s0, 0
	s_waitcnt vmcnt(0)
	v_div_scale_f32 v4, s[2:3], v0, v0, v1
	v_rcp_f32_e32 v5, v4
	v_div_scale_f32 v6, vcc, v1, v0, v1
	v_fma_f32 v7, -v4, v5, 1.0
	v_fmac_f32_e32 v5, v7, v5
	v_mul_f32_e32 v7, v6, v5
	v_fma_f32 v8, -v4, v7, v6
	v_fmac_f32_e32 v7, v8, v5
	v_fma_f32 v4, -v4, v7, v6
	v_div_fmas_f32 v4, v4, v5, v7
	v_div_fixup_f32 v1, v4, v0, v1
	global_store_dword v[2:3], v1, off
	v_add_co_u32_e32 v2, vcc, 4, v2
	v_addc_co_u32_e32 v3, vcc, 0, v3, vcc
	s_cbranch_scc1 .LBB237_33
.LBB237_34:
	s_endpgm
	.section	.rodata,"a",@progbits
	.p2align	6, 0x0
	.amdhsa_kernel _ZN4vllm3moe10topkGatingILi4ELi16ELi4ELi16ELi64ElfLNS0_11ScoringFuncE1EEEvPKT5_PKbPfiPT4_PiiiibPKf
		.amdhsa_group_segment_fixed_size 0
		.amdhsa_private_segment_fixed_size 0
		.amdhsa_kernarg_size 72
		.amdhsa_user_sgpr_count 6
		.amdhsa_user_sgpr_private_segment_buffer 1
		.amdhsa_user_sgpr_dispatch_ptr 0
		.amdhsa_user_sgpr_queue_ptr 0
		.amdhsa_user_sgpr_kernarg_segment_ptr 1
		.amdhsa_user_sgpr_dispatch_id 0
		.amdhsa_user_sgpr_flat_scratch_init 0
		.amdhsa_user_sgpr_kernarg_preload_length 0
		.amdhsa_user_sgpr_kernarg_preload_offset 0
		.amdhsa_user_sgpr_private_segment_size 0
		.amdhsa_uses_dynamic_stack 0
		.amdhsa_system_sgpr_private_segment_wavefront_offset 0
		.amdhsa_system_sgpr_workgroup_id_x 1
		.amdhsa_system_sgpr_workgroup_id_y 0
		.amdhsa_system_sgpr_workgroup_id_z 0
		.amdhsa_system_sgpr_workgroup_info 0
		.amdhsa_system_vgpr_workitem_id 1
		.amdhsa_next_free_vgpr 28
		.amdhsa_next_free_sgpr 26
		.amdhsa_accum_offset 28
		.amdhsa_reserve_vcc 1
		.amdhsa_reserve_flat_scratch 0
		.amdhsa_float_round_mode_32 0
		.amdhsa_float_round_mode_16_64 0
		.amdhsa_float_denorm_mode_32 3
		.amdhsa_float_denorm_mode_16_64 3
		.amdhsa_dx10_clamp 1
		.amdhsa_ieee_mode 1
		.amdhsa_fp16_overflow 0
		.amdhsa_tg_split 0
		.amdhsa_exception_fp_ieee_invalid_op 0
		.amdhsa_exception_fp_denorm_src 0
		.amdhsa_exception_fp_ieee_div_zero 0
		.amdhsa_exception_fp_ieee_overflow 0
		.amdhsa_exception_fp_ieee_underflow 0
		.amdhsa_exception_fp_ieee_inexact 0
		.amdhsa_exception_int_div_zero 0
	.end_amdhsa_kernel
	.section	.text._ZN4vllm3moe10topkGatingILi4ELi16ELi4ELi16ELi64ElfLNS0_11ScoringFuncE1EEEvPKT5_PKbPfiPT4_PiiiibPKf,"axG",@progbits,_ZN4vllm3moe10topkGatingILi4ELi16ELi4ELi16ELi64ElfLNS0_11ScoringFuncE1EEEvPKT5_PKbPfiPT4_PiiiibPKf,comdat
.Lfunc_end237:
	.size	_ZN4vllm3moe10topkGatingILi4ELi16ELi4ELi16ELi64ElfLNS0_11ScoringFuncE1EEEvPKT5_PKbPfiPT4_PiiiibPKf, .Lfunc_end237-_ZN4vllm3moe10topkGatingILi4ELi16ELi4ELi16ELi64ElfLNS0_11ScoringFuncE1EEEvPKT5_PKbPfiPT4_PiiiibPKf
                                        ; -- End function
	.section	.AMDGPU.csdata,"",@progbits
; Kernel info:
; codeLenInByte = 2052
; NumSgprs: 30
; NumVgprs: 28
; NumAgprs: 0
; TotalNumVgprs: 28
; ScratchSize: 0
; MemoryBound: 0
; FloatMode: 240
; IeeeMode: 1
; LDSByteSize: 0 bytes/workgroup (compile time only)
; SGPRBlocks: 3
; VGPRBlocks: 3
; NumSGPRsForWavesPerEU: 30
; NumVGPRsForWavesPerEU: 28
; AccumOffset: 28
; Occupancy: 8
; WaveLimiterHint : 0
; COMPUTE_PGM_RSRC2:SCRATCH_EN: 0
; COMPUTE_PGM_RSRC2:USER_SGPR: 6
; COMPUTE_PGM_RSRC2:TRAP_HANDLER: 0
; COMPUTE_PGM_RSRC2:TGID_X_EN: 1
; COMPUTE_PGM_RSRC2:TGID_Y_EN: 0
; COMPUTE_PGM_RSRC2:TGID_Z_EN: 0
; COMPUTE_PGM_RSRC2:TIDIG_COMP_CNT: 1
; COMPUTE_PGM_RSRC3_GFX90A:ACCUM_OFFSET: 6
; COMPUTE_PGM_RSRC3_GFX90A:TG_SPLIT: 0
	.section	.text._ZN4vllm3moe10topkGatingILi4ELi16ELi4ELi16ELi32ElfLNS0_11ScoringFuncE1EEEvPKT5_PKbPfiPT4_PiiiibPKf,"axG",@progbits,_ZN4vllm3moe10topkGatingILi4ELi16ELi4ELi16ELi32ElfLNS0_11ScoringFuncE1EEEvPKT5_PKbPfiPT4_PiiiibPKf,comdat
	.protected	_ZN4vllm3moe10topkGatingILi4ELi16ELi4ELi16ELi32ElfLNS0_11ScoringFuncE1EEEvPKT5_PKbPfiPT4_PiiiibPKf ; -- Begin function _ZN4vllm3moe10topkGatingILi4ELi16ELi4ELi16ELi32ElfLNS0_11ScoringFuncE1EEEvPKT5_PKbPfiPT4_PiiiibPKf
	.globl	_ZN4vllm3moe10topkGatingILi4ELi16ELi4ELi16ELi32ElfLNS0_11ScoringFuncE1EEEvPKT5_PKbPfiPT4_PiiiibPKf
	.p2align	8
	.type	_ZN4vllm3moe10topkGatingILi4ELi16ELi4ELi16ELi32ElfLNS0_11ScoringFuncE1EEEvPKT5_PKbPfiPT4_PiiiibPKf,@function
_ZN4vllm3moe10topkGatingILi4ELi16ELi4ELi16ELi32ElfLNS0_11ScoringFuncE1EEEvPKT5_PKbPfiPT4_PiiiibPKf: ; @_ZN4vllm3moe10topkGatingILi4ELi16ELi4ELi16ELi32ElfLNS0_11ScoringFuncE1EEEvPKT5_PKbPfiPT4_PiiiibPKf
; %bb.0:
	s_load_dword s24, s[4:5], 0x18
	v_bfe_u32 v1, v0, 10, 10
	v_and_b32_e32 v0, 0x3ff, v0
	s_lshl_b32 s0, s6, 5
	v_lshlrev_b32_e32 v1, 3, v1
	v_lshrrev_b32_e32 v2, 2, v0
	v_add3_u32 v8, s0, v1, v2
	s_waitcnt lgkmcnt(0)
	v_cmp_gt_i32_e32 vcc, s24, v8
	s_and_saveexec_b64 s[0:1], vcc
	s_cbranch_execz .LBB238_34
; %bb.1:
	s_load_dwordx4 s[0:3], s[4:5], 0x0
	s_load_dwordx2 s[16:17], s[4:5], 0x10
	s_mov_b64 s[8:9], -1
	s_mov_b64 s[18:19], -1
	s_waitcnt lgkmcnt(0)
	s_cmp_eq_u64 s[2:3], 0
	s_cbranch_scc1 .LBB238_3
; %bb.2:
	v_ashrrev_i32_e32 v1, 31, v8
	v_mov_b32_e32 v3, s3
	v_add_co_u32_e32 v2, vcc, s2, v8
	v_addc_co_u32_e32 v3, vcc, v3, v1, vcc
	global_load_ubyte v1, v[2:3], off
	s_waitcnt vmcnt(0)
	v_and_b32_e32 v1, 1, v1
	v_cmp_eq_u32_e32 vcc, 1, v1
	s_xor_b64 s[2:3], vcc, -1
	s_orn2_b64 s[18:19], s[2:3], exec
.LBB238_3:
	v_lshlrev_b32_e32 v2, 4, v8
	v_ashrrev_i32_e32 v3, 31, v2
	v_lshlrev_b64 v[2:3], 2, v[2:3]
	v_mov_b32_e32 v1, s1
	v_add_co_u32_e32 v2, vcc, s0, v2
	v_and_b32_e32 v9, 3, v0
	v_addc_co_u32_e32 v1, vcc, v1, v3, vcc
	v_lshlrev_b32_e32 v0, 4, v9
	v_add_co_u32_e32 v0, vcc, v2, v0
	v_addc_co_u32_e32 v1, vcc, 0, v1, vcc
	global_load_dwordx4 v[0:3], v[0:1], off
	v_mov_b32_e32 v4, 0x207
	s_load_dwordx2 s[10:11], s[4:5], 0x40
	v_lshlrev_b32_e32 v10, 2, v9
	s_waitcnt lgkmcnt(0)
	s_cmp_eq_u64 s[10:11], 0
	s_waitcnt vmcnt(0)
	v_mul_f32_e32 v0, 0xbfb8aa3b, v0
	v_mul_f32_e32 v1, 0xbfb8aa3b, v1
	v_exp_f32_e32 v0, v0
	v_exp_f32_e32 v1, v1
	v_mul_f32_e32 v2, 0xbfb8aa3b, v2
	v_mul_f32_e32 v3, 0xbfb8aa3b, v3
	v_exp_f32_e32 v2, v2
	v_exp_f32_e32 v3, v3
	v_pk_add_f32 v[0:1], v[0:1], 1.0 op_sel_hi:[1,0]
	v_div_scale_f32 v5, s[0:1], v1, v1, 1.0
	v_rcp_f32_e32 v16, v5
	v_div_scale_f32 v7, s[0:1], v0, v0, 1.0
	v_pk_add_f32 v[2:3], v[2:3], 1.0 op_sel_hi:[1,0]
	v_rcp_f32_e32 v17, v7
	v_div_scale_f32 v12, s[2:3], v3, v3, 1.0
	v_rcp_f32_e32 v18, v12
	v_fma_f32 v20, -v5, v16, 1.0
	v_div_scale_f32 v6, vcc, 1.0, v1, 1.0
	v_div_scale_f32 v14, s[6:7], v2, v2, 1.0
	v_fmac_f32_e32 v16, v20, v16
	v_rcp_f32_e32 v19, v14
	v_fma_f32 v21, -v7, v17, 1.0
	v_mul_f32_e32 v20, v6, v16
	v_div_scale_f32 v11, s[0:1], 1.0, v0, 1.0
	v_fmac_f32_e32 v17, v21, v17
	v_fma_f32 v24, -v5, v20, v6
	v_fma_f32 v22, -v12, v18, 1.0
	v_mul_f32_e32 v21, v11, v17
	v_fmac_f32_e32 v20, v24, v16
	v_div_scale_f32 v13, s[2:3], 1.0, v3, 1.0
	v_fmac_f32_e32 v18, v22, v18
	v_fma_f32 v25, -v7, v21, v11
	v_fma_f32 v5, -v5, v20, v6
	v_fma_f32 v23, -v14, v19, 1.0
	v_mul_f32_e32 v22, v13, v18
	v_fmac_f32_e32 v21, v25, v17
	v_div_fmas_f32 v5, v5, v16, v20
	v_div_scale_f32 v15, s[6:7], 1.0, v2, 1.0
	v_fmac_f32_e32 v19, v23, v19
	v_fma_f32 v26, -v12, v22, v13
	v_fma_f32 v6, -v7, v21, v11
	v_div_fixup_f32 v1, v5, v1, 1.0
	s_mov_b64 vcc, s[0:1]
	v_mul_f32_e32 v23, v15, v19
	v_fmac_f32_e32 v22, v26, v18
	v_div_fmas_f32 v5, v6, v17, v21
	v_cmp_class_f32_e32 vcc, v1, v4
	v_fma_f32 v27, -v14, v23, v15
	v_fma_f32 v7, -v12, v22, v13
	v_div_fixup_f32 v0, v5, v0, 1.0
	v_cndmask_b32_e64 v1, v1, 0, vcc
	s_mov_b64 vcc, s[2:3]
	v_fmac_f32_e32 v23, v27, v19
	v_div_fmas_f32 v5, v7, v18, v22
	v_cmp_class_f32_e32 vcc, v0, v4
	v_fma_f32 v11, -v14, v23, v15
	v_cndmask_b32_e64 v0, v0, 0, vcc
	s_mov_b64 vcc, s[6:7]
	v_div_fixup_f32 v3, v5, v3, 1.0
	v_div_fmas_f32 v5, v11, v19, v23
	v_div_fixup_f32 v2, v5, v2, 1.0
	v_cmp_class_f32_e32 vcc, v3, v4
	v_cndmask_b32_e64 v3, v3, 0, vcc
	v_cmp_class_f32_e32 vcc, v2, v4
	v_cndmask_b32_e64 v2, v2, 0, vcc
	s_cbranch_scc1 .LBB238_23
; %bb.4:
	v_lshlrev_b32_e32 v4, 2, v10
	global_load_dwordx4 v[4:7], v4, s[10:11]
	s_waitcnt vmcnt(0)
	v_pk_add_f32 v[4:5], v[4:5], v[0:1]
	v_pk_add_f32 v[6:7], v[6:7], v[2:3]
	s_cbranch_execnz .LBB238_6
.LBB238_5:
	v_pk_mov_b32 v[6:7], v[2:3], v[2:3] op_sel:[0,1]
	v_pk_mov_b32 v[4:5], v[0:1], v[0:1] op_sel:[0,1]
.LBB238_6:
	s_load_dwordx4 s[8:11], s[4:5], 0x30
	s_mov_b32 s25, 0
	v_cmp_eq_u32_e64 s[0:1], 0, v9
	s_waitcnt lgkmcnt(0)
	s_bitcmp1_b32 s11, 0
	s_cselect_b64 vcc, -1, 0
	s_cmp_gt_i32 s8, 0
	s_cselect_b64 s[6:7], -1, 0
	s_cmp_lt_i32 s8, 1
	s_cbranch_scc1 .LBB238_24
; %bb.7:
	v_mbcnt_lo_u32_b32 v11, -1, 0
	v_mbcnt_hi_u32_b32 v11, -1, v11
	v_and_b32_e32 v12, 0x7c, v11
	s_load_dwordx4 s[12:15], s[4:5], 0x20
	v_add_u32_e32 v14, 4, v12
	v_xor_b32_e32 v13, 2, v11
	v_cmp_lt_i32_e64 s[2:3], v13, v14
	v_xor_b32_e32 v15, 1, v11
	v_cndmask_b32_e64 v13, v11, v13, s[2:3]
	v_cmp_lt_i32_e64 s[2:3], v15, v14
	v_cndmask_b32_e64 v11, v11, v15, s[2:3]
	v_mul_lo_u32 v12, v8, s8
	v_lshlrev_b32_e32 v13, 2, v13
	v_lshlrev_b32_e32 v14, 2, v11
	v_mov_b32_e32 v11, 0
	v_mov_b32_e32 v15, 0xc61c4000
	;; [unrolled: 1-line block ×3, first 2 shown]
	s_branch .LBB238_10
.LBB238_8:                              ;   in Loop: Header=BB238_10 Depth=1
	s_or_b64 exec, exec, s[4:5]
.LBB238_9:                              ;   in Loop: Header=BB238_10 Depth=1
	s_cmp_eq_u32 s8, s25
	v_add_u32_e32 v16, s24, v16
	s_cbranch_scc1 .LBB238_25
.LBB238_10:                             ; =>This Inner Loop Header: Depth=1
	v_cmp_gt_f32_e64 s[2:3], v5, v4
	v_cndmask_b32_e64 v19, v4, v5, s[2:3]
	v_cndmask_b32_e64 v17, 0, 1, s[2:3]
	;; [unrolled: 1-line block ×3, first 2 shown]
	v_cmp_gt_f32_e64 s[2:3], v6, v19
	v_cndmask_b32_e64 v19, v19, v6, s[2:3]
	v_cndmask_b32_e64 v17, v17, 2, s[2:3]
	;; [unrolled: 1-line block ×3, first 2 shown]
	v_cmp_gt_f32_e64 s[2:3], v7, v19
	v_cndmask_b32_e64 v17, v17, 3, s[2:3]
	v_cndmask_b32_e64 v19, v19, v7, s[2:3]
	v_or_b32_e32 v17, v10, v17
	v_cndmask_b32_e64 v18, v18, v3, s[2:3]
	s_waitcnt lgkmcnt(0)
	ds_bpermute_b32 v20, v13, v19
	ds_bpermute_b32 v22, v13, v18
	;; [unrolled: 1-line block ×3, first 2 shown]
	s_waitcnt lgkmcnt(0)
	v_cmp_lt_f32_e64 s[20:21], v19, v20
	v_cmp_nlt_f32_e64 s[2:3], v19, v20
	s_and_saveexec_b64 s[22:23], s[2:3]
; %bb.11:                               ;   in Loop: Header=BB238_10 Depth=1
	v_cmp_eq_f32_e64 s[2:3], v19, v20
	v_cmp_lt_i32_e64 s[4:5], v21, v17
	s_and_b64 s[2:3], s[2:3], s[4:5]
	s_andn2_b64 s[4:5], s[20:21], exec
	s_and_b64 s[2:3], s[2:3], exec
	s_or_b64 s[20:21], s[4:5], s[2:3]
; %bb.12:                               ;   in Loop: Header=BB238_10 Depth=1
	s_or_b64 exec, exec, s[22:23]
	s_and_saveexec_b64 s[2:3], s[20:21]
; %bb.13:                               ;   in Loop: Header=BB238_10 Depth=1
	v_mov_b32_e32 v18, v22
	v_mov_b32_e32 v19, v20
	;; [unrolled: 1-line block ×3, first 2 shown]
; %bb.14:                               ;   in Loop: Header=BB238_10 Depth=1
	s_or_b64 exec, exec, s[2:3]
	ds_bpermute_b32 v22, v14, v19
	ds_bpermute_b32 v20, v14, v18
	;; [unrolled: 1-line block ×3, first 2 shown]
	s_waitcnt lgkmcnt(2)
	v_cmp_lt_f32_e64 s[20:21], v19, v22
	v_cmp_nlt_f32_e64 s[2:3], v19, v22
	s_and_saveexec_b64 s[22:23], s[2:3]
	s_cbranch_execnz .LBB238_18
; %bb.15:                               ;   in Loop: Header=BB238_10 Depth=1
	s_or_b64 exec, exec, s[22:23]
	s_and_saveexec_b64 s[2:3], s[20:21]
	s_cbranch_execnz .LBB238_19
.LBB238_16:                             ;   in Loop: Header=BB238_10 Depth=1
	s_or_b64 exec, exec, s[2:3]
	s_and_saveexec_b64 s[20:21], s[0:1]
	s_cbranch_execnz .LBB238_20
.LBB238_17:                             ;   in Loop: Header=BB238_10 Depth=1
	s_or_b64 exec, exec, s[20:21]
	s_add_i32 s25, s25, 1
	s_cmp_ge_i32 s25, s8
	s_cbranch_scc1 .LBB238_9
	s_branch .LBB238_21
.LBB238_18:                             ;   in Loop: Header=BB238_10 Depth=1
	v_cmp_eq_f32_e64 s[2:3], v19, v22
	s_waitcnt lgkmcnt(0)
	v_cmp_lt_i32_e64 s[4:5], v21, v17
	s_and_b64 s[2:3], s[2:3], s[4:5]
	s_andn2_b64 s[4:5], s[20:21], exec
	s_and_b64 s[2:3], s[2:3], exec
	s_or_b64 s[20:21], s[4:5], s[2:3]
	s_or_b64 exec, exec, s[22:23]
	s_and_saveexec_b64 s[2:3], s[20:21]
	s_cbranch_execz .LBB238_16
.LBB238_19:                             ;   in Loop: Header=BB238_10 Depth=1
	s_waitcnt lgkmcnt(0)
	v_mov_b32_e32 v17, v21
	v_mov_b32_e32 v18, v20
	s_or_b64 exec, exec, s[2:3]
	s_and_saveexec_b64 s[20:21], s[0:1]
	s_cbranch_execz .LBB238_17
.LBB238_20:                             ;   in Loop: Header=BB238_10 Depth=1
	s_waitcnt lgkmcnt(1)
	v_add_u32_e32 v20, s25, v12
	s_waitcnt lgkmcnt(0)
	v_ashrrev_i32_e32 v21, 31, v20
	v_cmp_le_i32_e64 s[2:3], s9, v17
	v_cmp_gt_i32_e64 s[4:5], s10, v17
	v_lshlrev_b64 v[22:23], 2, v[20:21]
	s_and_b64 s[4:5], s[2:3], s[4:5]
	v_mov_b32_e32 v19, s17
	v_add_co_u32_e64 v24, s[2:3], s16, v22
	v_addc_co_u32_e64 v25, s[2:3], v19, v23, s[2:3]
	v_subrev_u32_e32 v19, s9, v17
	global_store_dword v[24:25], v18, off
	v_ashrrev_i32_e32 v24, 31, v19
	s_and_b64 s[2:3], s[18:19], s[4:5]
	v_lshlrev_b64 v[20:21], 3, v[20:21]
	v_cndmask_b32_e64 v25, 0, v24, s[2:3]
	v_cndmask_b32_e64 v24, 16, v19, s[2:3]
	v_mov_b32_e32 v19, s13
	v_add_co_u32_e64 v20, s[2:3], s12, v20
	v_addc_co_u32_e64 v21, s[2:3], v19, v21, s[2:3]
	global_store_dwordx2 v[20:21], v[24:25], off
	v_mov_b32_e32 v19, s15
	v_add_co_u32_e64 v20, s[2:3], s14, v22
	v_add_f32_e32 v18, v11, v18
	v_addc_co_u32_e64 v21, s[2:3], v19, v23, s[2:3]
	v_cndmask_b32_e32 v11, v11, v18, vcc
	global_store_dword v[20:21], v16, off
	s_or_b64 exec, exec, s[20:21]
	s_add_i32 s25, s25, 1
	s_cmp_ge_i32 s25, s8
	s_cbranch_scc1 .LBB238_9
.LBB238_21:                             ;   in Loop: Header=BB238_10 Depth=1
	v_ashrrev_i32_e32 v19, 31, v17
	v_lshrrev_b32_e32 v18, 30, v19
	v_add_u32_e32 v18, v17, v18
	v_ashrrev_i32_e32 v18, 2, v18
	s_waitcnt lgkmcnt(1)
	v_lshrrev_b32_e32 v20, 30, v18
	v_add_u32_e32 v20, v18, v20
	v_and_b32_e32 v20, -4, v20
	v_sub_u32_e32 v20, v18, v20
	v_cmp_eq_u32_e64 s[2:3], v9, v20
	s_and_saveexec_b64 s[4:5], s[2:3]
	s_cbranch_execz .LBB238_8
; %bb.22:                               ;   in Loop: Header=BB238_10 Depth=1
	v_lshrrev_b32_e32 v19, 28, v19
	v_add_u32_e32 v19, v17, v19
	v_lshlrev_b32_e32 v18, 2, v18
	v_ashrrev_i32_e32 v19, 4, v19
	v_sub_u32_e32 v17, v17, v18
	v_lshl_add_u32 v17, v19, 2, v17
	v_cmp_ne_u32_e64 s[2:3], 3, v17
	v_cndmask_b32_e64 v7, v15, v7, s[2:3]
	v_cmp_ne_u32_e64 s[2:3], 2, v17
	v_cndmask_b32_e64 v6, v15, v6, s[2:3]
	;; [unrolled: 2-line block ×4, first 2 shown]
	s_branch .LBB238_8
.LBB238_23:
                                        ; implicit-def: $vgpr4_vgpr5_vgpr6_vgpr7
	s_andn2_b64 vcc, exec, s[8:9]
	s_cbranch_vccz .LBB238_5
	s_branch .LBB238_6
.LBB238_24:
	v_mov_b32_e32 v11, 0
.LBB238_25:
	v_cmp_eq_u32_e64 s[0:1], 0, v9
	s_and_b64 s[0:1], s[0:1], vcc
	s_and_b64 exec, exec, s[0:1]
	s_cbranch_execz .LBB238_34
; %bb.26:
	s_andn2_b64 vcc, exec, s[6:7]
	s_cbranch_vccnz .LBB238_34
; %bb.27:
	v_cmp_lt_f32_e32 vcc, 0, v11
	s_mov_b32 s2, 0
	v_cndmask_b32_e32 v0, 1.0, v11, vcc
	v_mul_lo_u32 v4, v8, s8
	s_cmp_eq_u32 s8, 1
	s_mov_b64 s[0:1], -1
	s_cbranch_scc1 .LBB238_31
; %bb.28:
	s_and_b32 s2, s8, 0x7ffffffe
	v_mov_b32_e32 v1, v0
	v_mov_b32_e32 v5, s17
	s_mov_b32 s3, s2
	v_mov_b32_e32 v2, v4
.LBB238_29:                             ; =>This Inner Loop Header: Depth=1
	v_ashrrev_i32_e32 v3, 31, v2
	v_lshlrev_b64 v[6:7], 2, v[2:3]
	v_add_co_u32_e32 v6, vcc, s16, v6
	v_addc_co_u32_e32 v7, vcc, v5, v7, vcc
	global_load_dwordx2 v[8:9], v[6:7], off
	s_add_i32 s3, s3, -2
	s_cmp_lg_u32 s3, 0
	v_add_u32_e32 v2, 2, v2
	s_waitcnt vmcnt(0)
	v_div_scale_f32 v3, s[0:1], v1, v1, v9
	v_div_scale_f32 v11, s[0:1], v0, v0, v8
	v_rcp_f32_e32 v12, v3
	v_rcp_f32_e32 v13, v11
	v_div_scale_f32 v10, vcc, v9, v1, v9
	v_fma_f32 v15, -v3, v12, 1.0
	v_fma_f32 v16, -v11, v13, 1.0
	v_fmac_f32_e32 v12, v15, v12
	v_div_scale_f32 v14, s[0:1], v8, v0, v8
	v_fmac_f32_e32 v13, v16, v13
	v_mul_f32_e32 v15, v10, v12
	v_mul_f32_e32 v16, v14, v13
	v_fma_f32 v17, -v3, v15, v10
	v_fma_f32 v18, -v11, v16, v14
	v_fmac_f32_e32 v15, v17, v12
	v_fmac_f32_e32 v16, v18, v13
	v_fma_f32 v3, -v3, v15, v10
	v_fma_f32 v10, -v11, v16, v14
	v_div_fmas_f32 v3, v3, v12, v15
	s_mov_b64 vcc, s[0:1]
	v_div_fixup_f32 v9, v3, v1, v9
	v_div_fmas_f32 v3, v10, v13, v16
	v_div_fixup_f32 v8, v3, v0, v8
	global_store_dwordx2 v[6:7], v[8:9], off
	s_cbranch_scc1 .LBB238_29
; %bb.30:
	s_cmp_lg_u32 s2, s8
	s_cselect_b64 s[0:1], -1, 0
.LBB238_31:
	s_and_b64 vcc, exec, s[0:1]
	s_cbranch_vccz .LBB238_34
; %bb.32:
	v_ashrrev_i32_e32 v1, 31, v4
	v_add_co_u32_e32 v2, vcc, s2, v4
	v_addc_co_u32_e32 v3, vcc, 0, v1, vcc
	v_lshlrev_b64 v[2:3], 2, v[2:3]
	v_mov_b32_e32 v1, s17
	v_add_co_u32_e32 v2, vcc, s16, v2
	s_sub_i32 s0, s8, s2
	v_addc_co_u32_e32 v3, vcc, v1, v3, vcc
.LBB238_33:                             ; =>This Inner Loop Header: Depth=1
	global_load_dword v1, v[2:3], off
	s_add_i32 s0, s0, -1
	s_cmp_lg_u32 s0, 0
	s_waitcnt vmcnt(0)
	v_div_scale_f32 v4, s[2:3], v0, v0, v1
	v_rcp_f32_e32 v5, v4
	v_div_scale_f32 v6, vcc, v1, v0, v1
	v_fma_f32 v7, -v4, v5, 1.0
	v_fmac_f32_e32 v5, v7, v5
	v_mul_f32_e32 v7, v6, v5
	v_fma_f32 v8, -v4, v7, v6
	v_fmac_f32_e32 v7, v8, v5
	v_fma_f32 v4, -v4, v7, v6
	v_div_fmas_f32 v4, v4, v5, v7
	v_div_fixup_f32 v1, v4, v0, v1
	global_store_dword v[2:3], v1, off
	v_add_co_u32_e32 v2, vcc, 4, v2
	v_addc_co_u32_e32 v3, vcc, 0, v3, vcc
	s_cbranch_scc1 .LBB238_33
.LBB238_34:
	s_endpgm
	.section	.rodata,"a",@progbits
	.p2align	6, 0x0
	.amdhsa_kernel _ZN4vllm3moe10topkGatingILi4ELi16ELi4ELi16ELi32ElfLNS0_11ScoringFuncE1EEEvPKT5_PKbPfiPT4_PiiiibPKf
		.amdhsa_group_segment_fixed_size 0
		.amdhsa_private_segment_fixed_size 0
		.amdhsa_kernarg_size 72
		.amdhsa_user_sgpr_count 6
		.amdhsa_user_sgpr_private_segment_buffer 1
		.amdhsa_user_sgpr_dispatch_ptr 0
		.amdhsa_user_sgpr_queue_ptr 0
		.amdhsa_user_sgpr_kernarg_segment_ptr 1
		.amdhsa_user_sgpr_dispatch_id 0
		.amdhsa_user_sgpr_flat_scratch_init 0
		.amdhsa_user_sgpr_kernarg_preload_length 0
		.amdhsa_user_sgpr_kernarg_preload_offset 0
		.amdhsa_user_sgpr_private_segment_size 0
		.amdhsa_uses_dynamic_stack 0
		.amdhsa_system_sgpr_private_segment_wavefront_offset 0
		.amdhsa_system_sgpr_workgroup_id_x 1
		.amdhsa_system_sgpr_workgroup_id_y 0
		.amdhsa_system_sgpr_workgroup_id_z 0
		.amdhsa_system_sgpr_workgroup_info 0
		.amdhsa_system_vgpr_workitem_id 1
		.amdhsa_next_free_vgpr 28
		.amdhsa_next_free_sgpr 26
		.amdhsa_accum_offset 28
		.amdhsa_reserve_vcc 1
		.amdhsa_reserve_flat_scratch 0
		.amdhsa_float_round_mode_32 0
		.amdhsa_float_round_mode_16_64 0
		.amdhsa_float_denorm_mode_32 3
		.amdhsa_float_denorm_mode_16_64 3
		.amdhsa_dx10_clamp 1
		.amdhsa_ieee_mode 1
		.amdhsa_fp16_overflow 0
		.amdhsa_tg_split 0
		.amdhsa_exception_fp_ieee_invalid_op 0
		.amdhsa_exception_fp_denorm_src 0
		.amdhsa_exception_fp_ieee_div_zero 0
		.amdhsa_exception_fp_ieee_overflow 0
		.amdhsa_exception_fp_ieee_underflow 0
		.amdhsa_exception_fp_ieee_inexact 0
		.amdhsa_exception_int_div_zero 0
	.end_amdhsa_kernel
	.section	.text._ZN4vllm3moe10topkGatingILi4ELi16ELi4ELi16ELi32ElfLNS0_11ScoringFuncE1EEEvPKT5_PKbPfiPT4_PiiiibPKf,"axG",@progbits,_ZN4vllm3moe10topkGatingILi4ELi16ELi4ELi16ELi32ElfLNS0_11ScoringFuncE1EEEvPKT5_PKbPfiPT4_PiiiibPKf,comdat
.Lfunc_end238:
	.size	_ZN4vllm3moe10topkGatingILi4ELi16ELi4ELi16ELi32ElfLNS0_11ScoringFuncE1EEEvPKT5_PKbPfiPT4_PiiiibPKf, .Lfunc_end238-_ZN4vllm3moe10topkGatingILi4ELi16ELi4ELi16ELi32ElfLNS0_11ScoringFuncE1EEEvPKT5_PKbPfiPT4_PiiiibPKf
                                        ; -- End function
	.section	.AMDGPU.csdata,"",@progbits
; Kernel info:
; codeLenInByte = 2052
; NumSgprs: 30
; NumVgprs: 28
; NumAgprs: 0
; TotalNumVgprs: 28
; ScratchSize: 0
; MemoryBound: 0
; FloatMode: 240
; IeeeMode: 1
; LDSByteSize: 0 bytes/workgroup (compile time only)
; SGPRBlocks: 3
; VGPRBlocks: 3
; NumSGPRsForWavesPerEU: 30
; NumVGPRsForWavesPerEU: 28
; AccumOffset: 28
; Occupancy: 8
; WaveLimiterHint : 0
; COMPUTE_PGM_RSRC2:SCRATCH_EN: 0
; COMPUTE_PGM_RSRC2:USER_SGPR: 6
; COMPUTE_PGM_RSRC2:TRAP_HANDLER: 0
; COMPUTE_PGM_RSRC2:TGID_X_EN: 1
; COMPUTE_PGM_RSRC2:TGID_Y_EN: 0
; COMPUTE_PGM_RSRC2:TGID_Z_EN: 0
; COMPUTE_PGM_RSRC2:TIDIG_COMP_CNT: 1
; COMPUTE_PGM_RSRC3_GFX90A:ACCUM_OFFSET: 6
; COMPUTE_PGM_RSRC3_GFX90A:TG_SPLIT: 0
	.section	.text._ZN4vllm3moe10topkGatingILi4ELi32ELi4ELi16ELi64ElfLNS0_11ScoringFuncE1EEEvPKT5_PKbPfiPT4_PiiiibPKf,"axG",@progbits,_ZN4vllm3moe10topkGatingILi4ELi32ELi4ELi16ELi64ElfLNS0_11ScoringFuncE1EEEvPKT5_PKbPfiPT4_PiiiibPKf,comdat
	.protected	_ZN4vllm3moe10topkGatingILi4ELi32ELi4ELi16ELi64ElfLNS0_11ScoringFuncE1EEEvPKT5_PKbPfiPT4_PiiiibPKf ; -- Begin function _ZN4vllm3moe10topkGatingILi4ELi32ELi4ELi16ELi64ElfLNS0_11ScoringFuncE1EEEvPKT5_PKbPfiPT4_PiiiibPKf
	.globl	_ZN4vllm3moe10topkGatingILi4ELi32ELi4ELi16ELi64ElfLNS0_11ScoringFuncE1EEEvPKT5_PKbPfiPT4_PiiiibPKf
	.p2align	8
	.type	_ZN4vllm3moe10topkGatingILi4ELi32ELi4ELi16ELi64ElfLNS0_11ScoringFuncE1EEEvPKT5_PKbPfiPT4_PiiiibPKf,@function
_ZN4vllm3moe10topkGatingILi4ELi32ELi4ELi16ELi64ElfLNS0_11ScoringFuncE1EEEvPKT5_PKbPfiPT4_PiiiibPKf: ; @_ZN4vllm3moe10topkGatingILi4ELi32ELi4ELi16ELi64ElfLNS0_11ScoringFuncE1EEEvPKT5_PKbPfiPT4_PiiiibPKf
; %bb.0:
	s_load_dword s24, s[4:5], 0x18
	v_bfe_u32 v1, v0, 10, 10
	v_and_b32_e32 v0, 0x3ff, v0
	s_lshl_b32 s0, s6, 5
	v_lshlrev_b32_e32 v1, 3, v1
	v_lshrrev_b32_e32 v2, 3, v0
	v_add3_u32 v8, s0, v1, v2
	s_waitcnt lgkmcnt(0)
	v_cmp_gt_i32_e32 vcc, s24, v8
	s_and_saveexec_b64 s[0:1], vcc
	s_cbranch_execz .LBB239_38
; %bb.1:
	s_load_dwordx4 s[0:3], s[4:5], 0x0
	s_load_dwordx2 s[16:17], s[4:5], 0x10
	s_mov_b64 s[8:9], -1
	s_mov_b64 s[18:19], -1
	s_waitcnt lgkmcnt(0)
	s_cmp_eq_u64 s[2:3], 0
	s_cbranch_scc1 .LBB239_3
; %bb.2:
	v_ashrrev_i32_e32 v1, 31, v8
	v_mov_b32_e32 v3, s3
	v_add_co_u32_e32 v2, vcc, s2, v8
	v_addc_co_u32_e32 v3, vcc, v3, v1, vcc
	global_load_ubyte v1, v[2:3], off
	s_waitcnt vmcnt(0)
	v_and_b32_e32 v1, 1, v1
	v_cmp_eq_u32_e32 vcc, 1, v1
	s_xor_b64 s[2:3], vcc, -1
	s_orn2_b64 s[18:19], s[2:3], exec
.LBB239_3:
	v_lshlrev_b32_e32 v2, 5, v8
	v_ashrrev_i32_e32 v3, 31, v2
	v_lshlrev_b64 v[2:3], 2, v[2:3]
	v_mov_b32_e32 v1, s1
	v_add_co_u32_e32 v2, vcc, s0, v2
	v_and_b32_e32 v9, 7, v0
	v_addc_co_u32_e32 v1, vcc, v1, v3, vcc
	v_lshlrev_b32_e32 v0, 4, v9
	v_add_co_u32_e32 v0, vcc, v2, v0
	v_addc_co_u32_e32 v1, vcc, 0, v1, vcc
	global_load_dwordx4 v[0:3], v[0:1], off
	v_mov_b32_e32 v4, 0x207
	s_load_dwordx2 s[10:11], s[4:5], 0x40
	v_lshlrev_b32_e32 v10, 2, v9
	s_waitcnt lgkmcnt(0)
	s_cmp_eq_u64 s[10:11], 0
	s_waitcnt vmcnt(0)
	v_mul_f32_e32 v0, 0xbfb8aa3b, v0
	v_mul_f32_e32 v1, 0xbfb8aa3b, v1
	v_exp_f32_e32 v0, v0
	v_exp_f32_e32 v1, v1
	v_mul_f32_e32 v2, 0xbfb8aa3b, v2
	v_mul_f32_e32 v3, 0xbfb8aa3b, v3
	v_exp_f32_e32 v2, v2
	v_exp_f32_e32 v3, v3
	v_pk_add_f32 v[0:1], v[0:1], 1.0 op_sel_hi:[1,0]
	v_div_scale_f32 v5, s[0:1], v1, v1, 1.0
	v_rcp_f32_e32 v16, v5
	v_div_scale_f32 v7, s[0:1], v0, v0, 1.0
	v_pk_add_f32 v[2:3], v[2:3], 1.0 op_sel_hi:[1,0]
	v_rcp_f32_e32 v17, v7
	v_div_scale_f32 v12, s[2:3], v3, v3, 1.0
	v_rcp_f32_e32 v18, v12
	v_fma_f32 v20, -v5, v16, 1.0
	v_div_scale_f32 v6, vcc, 1.0, v1, 1.0
	v_div_scale_f32 v14, s[6:7], v2, v2, 1.0
	v_fmac_f32_e32 v16, v20, v16
	v_rcp_f32_e32 v19, v14
	v_fma_f32 v21, -v7, v17, 1.0
	v_mul_f32_e32 v20, v6, v16
	v_div_scale_f32 v11, s[0:1], 1.0, v0, 1.0
	v_fmac_f32_e32 v17, v21, v17
	v_fma_f32 v24, -v5, v20, v6
	v_fma_f32 v22, -v12, v18, 1.0
	v_mul_f32_e32 v21, v11, v17
	v_fmac_f32_e32 v20, v24, v16
	v_div_scale_f32 v13, s[2:3], 1.0, v3, 1.0
	v_fmac_f32_e32 v18, v22, v18
	v_fma_f32 v25, -v7, v21, v11
	v_fma_f32 v5, -v5, v20, v6
	v_fma_f32 v23, -v14, v19, 1.0
	v_mul_f32_e32 v22, v13, v18
	v_fmac_f32_e32 v21, v25, v17
	v_div_fmas_f32 v5, v5, v16, v20
	v_div_scale_f32 v15, s[6:7], 1.0, v2, 1.0
	v_fmac_f32_e32 v19, v23, v19
	v_fma_f32 v26, -v12, v22, v13
	v_fma_f32 v6, -v7, v21, v11
	v_div_fixup_f32 v1, v5, v1, 1.0
	s_mov_b64 vcc, s[0:1]
	v_mul_f32_e32 v23, v15, v19
	v_fmac_f32_e32 v22, v26, v18
	v_div_fmas_f32 v5, v6, v17, v21
	v_cmp_class_f32_e32 vcc, v1, v4
	v_fma_f32 v27, -v14, v23, v15
	v_fma_f32 v7, -v12, v22, v13
	v_div_fixup_f32 v0, v5, v0, 1.0
	v_cndmask_b32_e64 v1, v1, 0, vcc
	s_mov_b64 vcc, s[2:3]
	v_fmac_f32_e32 v23, v27, v19
	v_div_fmas_f32 v5, v7, v18, v22
	v_cmp_class_f32_e32 vcc, v0, v4
	v_fma_f32 v11, -v14, v23, v15
	v_cndmask_b32_e64 v0, v0, 0, vcc
	s_mov_b64 vcc, s[6:7]
	v_div_fixup_f32 v3, v5, v3, 1.0
	v_div_fmas_f32 v5, v11, v19, v23
	v_div_fixup_f32 v2, v5, v2, 1.0
	v_cmp_class_f32_e32 vcc, v3, v4
	v_cndmask_b32_e64 v3, v3, 0, vcc
	v_cmp_class_f32_e32 vcc, v2, v4
	v_cndmask_b32_e64 v2, v2, 0, vcc
	s_cbranch_scc1 .LBB239_27
; %bb.4:
	v_lshlrev_b32_e32 v4, 2, v10
	global_load_dwordx4 v[4:7], v4, s[10:11]
	s_waitcnt vmcnt(0)
	v_pk_add_f32 v[4:5], v[4:5], v[0:1]
	v_pk_add_f32 v[6:7], v[6:7], v[2:3]
	s_cbranch_execnz .LBB239_6
.LBB239_5:
	v_pk_mov_b32 v[6:7], v[2:3], v[2:3] op_sel:[0,1]
	v_pk_mov_b32 v[4:5], v[0:1], v[0:1] op_sel:[0,1]
.LBB239_6:
	s_load_dwordx4 s[8:11], s[4:5], 0x30
	s_mov_b32 s25, 0
	v_cmp_eq_u32_e64 s[0:1], 0, v9
	s_waitcnt lgkmcnt(0)
	s_bitcmp1_b32 s11, 0
	s_cselect_b64 vcc, -1, 0
	s_cmp_gt_i32 s8, 0
	s_cselect_b64 s[6:7], -1, 0
	s_cmp_lt_i32 s8, 1
	s_cbranch_scc1 .LBB239_28
; %bb.7:
	v_mbcnt_lo_u32_b32 v11, -1, 0
	v_mbcnt_hi_u32_b32 v11, -1, v11
	v_and_b32_e32 v12, 0x78, v11
	v_add_u32_e32 v15, 8, v12
	v_xor_b32_e32 v13, 4, v11
	s_load_dwordx4 s[12:15], s[4:5], 0x20
	v_cmp_lt_i32_e64 s[2:3], v13, v15
	v_xor_b32_e32 v14, 2, v11
	v_cndmask_b32_e64 v13, v11, v13, s[2:3]
	v_cmp_lt_i32_e64 s[2:3], v14, v15
	v_xor_b32_e32 v16, 1, v11
	v_cndmask_b32_e64 v14, v11, v14, s[2:3]
	v_cmp_lt_i32_e64 s[2:3], v16, v15
	v_cndmask_b32_e64 v11, v11, v16, s[2:3]
	v_mul_lo_u32 v12, v8, s8
	v_lshlrev_b32_e32 v13, 2, v13
	v_lshlrev_b32_e32 v14, 2, v14
	;; [unrolled: 1-line block ×3, first 2 shown]
	v_mov_b32_e32 v11, 0
	v_mov_b32_e32 v16, 0xc61c4000
	;; [unrolled: 1-line block ×3, first 2 shown]
	s_branch .LBB239_10
.LBB239_8:                              ;   in Loop: Header=BB239_10 Depth=1
	s_or_b64 exec, exec, s[4:5]
.LBB239_9:                              ;   in Loop: Header=BB239_10 Depth=1
	s_cmp_eq_u32 s8, s25
	v_add_u32_e32 v17, s24, v17
	s_cbranch_scc1 .LBB239_29
.LBB239_10:                             ; =>This Inner Loop Header: Depth=1
	v_cmp_gt_f32_e64 s[2:3], v5, v4
	v_cndmask_b32_e64 v20, v4, v5, s[2:3]
	v_cndmask_b32_e64 v18, 0, 1, s[2:3]
	;; [unrolled: 1-line block ×3, first 2 shown]
	v_cmp_gt_f32_e64 s[2:3], v6, v20
	v_cndmask_b32_e64 v20, v20, v6, s[2:3]
	v_cndmask_b32_e64 v18, v18, 2, s[2:3]
	;; [unrolled: 1-line block ×3, first 2 shown]
	v_cmp_gt_f32_e64 s[2:3], v7, v20
	v_cndmask_b32_e64 v18, v18, 3, s[2:3]
	v_cndmask_b32_e64 v20, v20, v7, s[2:3]
	v_or_b32_e32 v18, v10, v18
	v_cndmask_b32_e64 v19, v19, v3, s[2:3]
	s_waitcnt lgkmcnt(0)
	ds_bpermute_b32 v21, v13, v20
	ds_bpermute_b32 v23, v13, v19
	;; [unrolled: 1-line block ×3, first 2 shown]
	s_waitcnt lgkmcnt(0)
	v_cmp_lt_f32_e64 s[20:21], v20, v21
	v_cmp_nlt_f32_e64 s[2:3], v20, v21
	s_and_saveexec_b64 s[22:23], s[2:3]
; %bb.11:                               ;   in Loop: Header=BB239_10 Depth=1
	v_cmp_eq_f32_e64 s[2:3], v20, v21
	v_cmp_lt_i32_e64 s[4:5], v22, v18
	s_and_b64 s[2:3], s[2:3], s[4:5]
	s_andn2_b64 s[4:5], s[20:21], exec
	s_and_b64 s[2:3], s[2:3], exec
	s_or_b64 s[20:21], s[4:5], s[2:3]
; %bb.12:                               ;   in Loop: Header=BB239_10 Depth=1
	s_or_b64 exec, exec, s[22:23]
	s_and_saveexec_b64 s[2:3], s[20:21]
; %bb.13:                               ;   in Loop: Header=BB239_10 Depth=1
	v_mov_b32_e32 v19, v23
	v_mov_b32_e32 v20, v21
	;; [unrolled: 1-line block ×3, first 2 shown]
; %bb.14:                               ;   in Loop: Header=BB239_10 Depth=1
	s_or_b64 exec, exec, s[2:3]
	ds_bpermute_b32 v21, v14, v20
	ds_bpermute_b32 v23, v14, v19
	;; [unrolled: 1-line block ×3, first 2 shown]
	s_waitcnt lgkmcnt(2)
	v_cmp_lt_f32_e64 s[20:21], v20, v21
	v_cmp_nlt_f32_e64 s[2:3], v20, v21
	s_and_saveexec_b64 s[22:23], s[2:3]
	s_cbranch_execz .LBB239_16
; %bb.15:                               ;   in Loop: Header=BB239_10 Depth=1
	v_cmp_eq_f32_e64 s[2:3], v20, v21
	s_waitcnt lgkmcnt(0)
	v_cmp_lt_i32_e64 s[4:5], v22, v18
	s_and_b64 s[2:3], s[2:3], s[4:5]
	s_andn2_b64 s[4:5], s[20:21], exec
	s_and_b64 s[2:3], s[2:3], exec
	s_or_b64 s[20:21], s[4:5], s[2:3]
.LBB239_16:                             ;   in Loop: Header=BB239_10 Depth=1
	s_or_b64 exec, exec, s[22:23]
	s_and_saveexec_b64 s[2:3], s[20:21]
	s_cbranch_execz .LBB239_18
; %bb.17:                               ;   in Loop: Header=BB239_10 Depth=1
	s_waitcnt lgkmcnt(1)
	v_mov_b32_e32 v19, v23
	v_mov_b32_e32 v20, v21
	s_waitcnt lgkmcnt(0)
	v_mov_b32_e32 v18, v22
.LBB239_18:                             ;   in Loop: Header=BB239_10 Depth=1
	s_or_b64 exec, exec, s[2:3]
	s_waitcnt lgkmcnt(1)
	ds_bpermute_b32 v23, v15, v20
	ds_bpermute_b32 v21, v15, v19
	s_waitcnt lgkmcnt(2)
	ds_bpermute_b32 v22, v15, v18
	s_waitcnt lgkmcnt(2)
	v_cmp_lt_f32_e64 s[20:21], v20, v23
	v_cmp_nlt_f32_e64 s[2:3], v20, v23
	s_and_saveexec_b64 s[22:23], s[2:3]
	s_cbranch_execnz .LBB239_22
; %bb.19:                               ;   in Loop: Header=BB239_10 Depth=1
	s_or_b64 exec, exec, s[22:23]
	s_and_saveexec_b64 s[2:3], s[20:21]
	s_cbranch_execnz .LBB239_23
.LBB239_20:                             ;   in Loop: Header=BB239_10 Depth=1
	s_or_b64 exec, exec, s[2:3]
	s_and_saveexec_b64 s[20:21], s[0:1]
	s_cbranch_execnz .LBB239_24
.LBB239_21:                             ;   in Loop: Header=BB239_10 Depth=1
	s_or_b64 exec, exec, s[20:21]
	s_add_i32 s25, s25, 1
	s_cmp_ge_i32 s25, s8
	s_cbranch_scc1 .LBB239_9
	s_branch .LBB239_25
.LBB239_22:                             ;   in Loop: Header=BB239_10 Depth=1
	v_cmp_eq_f32_e64 s[2:3], v20, v23
	s_waitcnt lgkmcnt(0)
	v_cmp_lt_i32_e64 s[4:5], v22, v18
	s_and_b64 s[2:3], s[2:3], s[4:5]
	s_andn2_b64 s[4:5], s[20:21], exec
	s_and_b64 s[2:3], s[2:3], exec
	s_or_b64 s[20:21], s[4:5], s[2:3]
	s_or_b64 exec, exec, s[22:23]
	s_and_saveexec_b64 s[2:3], s[20:21]
	s_cbranch_execz .LBB239_20
.LBB239_23:                             ;   in Loop: Header=BB239_10 Depth=1
	s_waitcnt lgkmcnt(0)
	v_mov_b32_e32 v18, v22
	v_mov_b32_e32 v19, v21
	s_or_b64 exec, exec, s[2:3]
	s_and_saveexec_b64 s[20:21], s[0:1]
	s_cbranch_execz .LBB239_21
.LBB239_24:                             ;   in Loop: Header=BB239_10 Depth=1
	v_add_u32_e32 v20, s25, v12
	s_waitcnt lgkmcnt(1)
	v_ashrrev_i32_e32 v21, 31, v20
	v_cmp_le_i32_e64 s[2:3], s9, v18
	v_cmp_gt_i32_e64 s[4:5], s10, v18
	s_waitcnt lgkmcnt(0)
	v_lshlrev_b64 v[22:23], 2, v[20:21]
	s_and_b64 s[4:5], s[2:3], s[4:5]
	v_mov_b32_e32 v25, s17
	v_add_co_u32_e64 v24, s[2:3], s16, v22
	v_addc_co_u32_e64 v25, s[2:3], v25, v23, s[2:3]
	global_store_dword v[24:25], v19, off
	v_subrev_u32_e32 v24, s9, v18
	v_ashrrev_i32_e32 v25, 31, v24
	s_and_b64 s[2:3], s[18:19], s[4:5]
	v_lshlrev_b64 v[20:21], 3, v[20:21]
	v_cndmask_b32_e64 v25, 0, v25, s[2:3]
	v_cndmask_b32_e64 v24, 32, v24, s[2:3]
	v_mov_b32_e32 v26, s13
	v_add_co_u32_e64 v20, s[2:3], s12, v20
	v_addc_co_u32_e64 v21, s[2:3], v26, v21, s[2:3]
	global_store_dwordx2 v[20:21], v[24:25], off
	v_mov_b32_e32 v21, s15
	v_add_co_u32_e64 v20, s[2:3], s14, v22
	v_add_f32_e32 v19, v11, v19
	v_addc_co_u32_e64 v21, s[2:3], v21, v23, s[2:3]
	v_cndmask_b32_e32 v11, v11, v19, vcc
	global_store_dword v[20:21], v17, off
	s_or_b64 exec, exec, s[20:21]
	s_add_i32 s25, s25, 1
	s_cmp_ge_i32 s25, s8
	s_cbranch_scc1 .LBB239_9
.LBB239_25:                             ;   in Loop: Header=BB239_10 Depth=1
	v_ashrrev_i32_e32 v20, 31, v18
	v_lshrrev_b32_e32 v19, 30, v20
	v_add_u32_e32 v19, v18, v19
	v_ashrrev_i32_e32 v19, 2, v19
	s_waitcnt lgkmcnt(1)
	v_lshrrev_b32_e32 v21, 29, v19
	v_add_u32_e32 v21, v19, v21
	v_and_b32_e32 v21, -8, v21
	v_sub_u32_e32 v21, v19, v21
	v_cmp_eq_u32_e64 s[2:3], v9, v21
	s_and_saveexec_b64 s[4:5], s[2:3]
	s_cbranch_execz .LBB239_8
; %bb.26:                               ;   in Loop: Header=BB239_10 Depth=1
	v_lshrrev_b32_e32 v20, 27, v20
	v_add_u32_e32 v20, v18, v20
	v_lshlrev_b32_e32 v19, 2, v19
	v_ashrrev_i32_e32 v20, 5, v20
	v_sub_u32_e32 v18, v18, v19
	v_lshl_add_u32 v18, v20, 2, v18
	v_cmp_ne_u32_e64 s[2:3], 3, v18
	v_cndmask_b32_e64 v7, v16, v7, s[2:3]
	v_cmp_ne_u32_e64 s[2:3], 2, v18
	v_cndmask_b32_e64 v6, v16, v6, s[2:3]
	;; [unrolled: 2-line block ×4, first 2 shown]
	s_branch .LBB239_8
.LBB239_27:
                                        ; implicit-def: $vgpr4_vgpr5_vgpr6_vgpr7
	s_andn2_b64 vcc, exec, s[8:9]
	s_cbranch_vccz .LBB239_5
	s_branch .LBB239_6
.LBB239_28:
	v_mov_b32_e32 v11, 0
.LBB239_29:
	v_cmp_eq_u32_e64 s[0:1], 0, v9
	s_and_b64 s[0:1], s[0:1], vcc
	s_and_b64 exec, exec, s[0:1]
	s_cbranch_execz .LBB239_38
; %bb.30:
	s_andn2_b64 vcc, exec, s[6:7]
	s_cbranch_vccnz .LBB239_38
; %bb.31:
	v_cmp_lt_f32_e32 vcc, 0, v11
	s_mov_b32 s2, 0
	v_cndmask_b32_e32 v0, 1.0, v11, vcc
	v_mul_lo_u32 v4, v8, s8
	s_cmp_eq_u32 s8, 1
	s_mov_b64 s[0:1], -1
	s_cbranch_scc1 .LBB239_35
; %bb.32:
	s_and_b32 s2, s8, 0x7ffffffe
	v_mov_b32_e32 v1, v0
	v_mov_b32_e32 v5, s17
	s_mov_b32 s3, s2
	v_mov_b32_e32 v2, v4
.LBB239_33:                             ; =>This Inner Loop Header: Depth=1
	v_ashrrev_i32_e32 v3, 31, v2
	v_lshlrev_b64 v[6:7], 2, v[2:3]
	v_add_co_u32_e32 v6, vcc, s16, v6
	v_addc_co_u32_e32 v7, vcc, v5, v7, vcc
	global_load_dwordx2 v[8:9], v[6:7], off
	s_add_i32 s3, s3, -2
	s_cmp_lg_u32 s3, 0
	v_add_u32_e32 v2, 2, v2
	s_waitcnt vmcnt(0)
	v_div_scale_f32 v3, s[0:1], v1, v1, v9
	v_div_scale_f32 v11, s[0:1], v0, v0, v8
	v_rcp_f32_e32 v12, v3
	v_rcp_f32_e32 v13, v11
	v_div_scale_f32 v10, vcc, v9, v1, v9
	v_fma_f32 v15, -v3, v12, 1.0
	v_fma_f32 v16, -v11, v13, 1.0
	v_fmac_f32_e32 v12, v15, v12
	v_div_scale_f32 v14, s[0:1], v8, v0, v8
	v_fmac_f32_e32 v13, v16, v13
	v_mul_f32_e32 v15, v10, v12
	v_mul_f32_e32 v16, v14, v13
	v_fma_f32 v17, -v3, v15, v10
	v_fma_f32 v18, -v11, v16, v14
	v_fmac_f32_e32 v15, v17, v12
	v_fmac_f32_e32 v16, v18, v13
	v_fma_f32 v3, -v3, v15, v10
	v_fma_f32 v10, -v11, v16, v14
	v_div_fmas_f32 v3, v3, v12, v15
	s_mov_b64 vcc, s[0:1]
	v_div_fixup_f32 v9, v3, v1, v9
	v_div_fmas_f32 v3, v10, v13, v16
	v_div_fixup_f32 v8, v3, v0, v8
	global_store_dwordx2 v[6:7], v[8:9], off
	s_cbranch_scc1 .LBB239_33
; %bb.34:
	s_cmp_lg_u32 s2, s8
	s_cselect_b64 s[0:1], -1, 0
.LBB239_35:
	s_and_b64 vcc, exec, s[0:1]
	s_cbranch_vccz .LBB239_38
; %bb.36:
	v_ashrrev_i32_e32 v1, 31, v4
	v_add_co_u32_e32 v2, vcc, s2, v4
	v_addc_co_u32_e32 v3, vcc, 0, v1, vcc
	v_lshlrev_b64 v[2:3], 2, v[2:3]
	v_mov_b32_e32 v1, s17
	v_add_co_u32_e32 v2, vcc, s16, v2
	s_sub_i32 s0, s8, s2
	v_addc_co_u32_e32 v3, vcc, v1, v3, vcc
.LBB239_37:                             ; =>This Inner Loop Header: Depth=1
	global_load_dword v1, v[2:3], off
	s_add_i32 s0, s0, -1
	s_cmp_lg_u32 s0, 0
	s_waitcnt vmcnt(0)
	v_div_scale_f32 v4, s[2:3], v0, v0, v1
	v_rcp_f32_e32 v5, v4
	v_div_scale_f32 v6, vcc, v1, v0, v1
	v_fma_f32 v7, -v4, v5, 1.0
	v_fmac_f32_e32 v5, v7, v5
	v_mul_f32_e32 v7, v6, v5
	v_fma_f32 v8, -v4, v7, v6
	v_fmac_f32_e32 v7, v8, v5
	v_fma_f32 v4, -v4, v7, v6
	v_div_fmas_f32 v4, v4, v5, v7
	v_div_fixup_f32 v1, v4, v0, v1
	global_store_dword v[2:3], v1, off
	v_add_co_u32_e32 v2, vcc, 4, v2
	v_addc_co_u32_e32 v3, vcc, 0, v3, vcc
	s_cbranch_scc1 .LBB239_37
.LBB239_38:
	s_endpgm
	.section	.rodata,"a",@progbits
	.p2align	6, 0x0
	.amdhsa_kernel _ZN4vllm3moe10topkGatingILi4ELi32ELi4ELi16ELi64ElfLNS0_11ScoringFuncE1EEEvPKT5_PKbPfiPT4_PiiiibPKf
		.amdhsa_group_segment_fixed_size 0
		.amdhsa_private_segment_fixed_size 0
		.amdhsa_kernarg_size 72
		.amdhsa_user_sgpr_count 6
		.amdhsa_user_sgpr_private_segment_buffer 1
		.amdhsa_user_sgpr_dispatch_ptr 0
		.amdhsa_user_sgpr_queue_ptr 0
		.amdhsa_user_sgpr_kernarg_segment_ptr 1
		.amdhsa_user_sgpr_dispatch_id 0
		.amdhsa_user_sgpr_flat_scratch_init 0
		.amdhsa_user_sgpr_kernarg_preload_length 0
		.amdhsa_user_sgpr_kernarg_preload_offset 0
		.amdhsa_user_sgpr_private_segment_size 0
		.amdhsa_uses_dynamic_stack 0
		.amdhsa_system_sgpr_private_segment_wavefront_offset 0
		.amdhsa_system_sgpr_workgroup_id_x 1
		.amdhsa_system_sgpr_workgroup_id_y 0
		.amdhsa_system_sgpr_workgroup_id_z 0
		.amdhsa_system_sgpr_workgroup_info 0
		.amdhsa_system_vgpr_workitem_id 1
		.amdhsa_next_free_vgpr 28
		.amdhsa_next_free_sgpr 26
		.amdhsa_accum_offset 28
		.amdhsa_reserve_vcc 1
		.amdhsa_reserve_flat_scratch 0
		.amdhsa_float_round_mode_32 0
		.amdhsa_float_round_mode_16_64 0
		.amdhsa_float_denorm_mode_32 3
		.amdhsa_float_denorm_mode_16_64 3
		.amdhsa_dx10_clamp 1
		.amdhsa_ieee_mode 1
		.amdhsa_fp16_overflow 0
		.amdhsa_tg_split 0
		.amdhsa_exception_fp_ieee_invalid_op 0
		.amdhsa_exception_fp_denorm_src 0
		.amdhsa_exception_fp_ieee_div_zero 0
		.amdhsa_exception_fp_ieee_overflow 0
		.amdhsa_exception_fp_ieee_underflow 0
		.amdhsa_exception_fp_ieee_inexact 0
		.amdhsa_exception_int_div_zero 0
	.end_amdhsa_kernel
	.section	.text._ZN4vllm3moe10topkGatingILi4ELi32ELi4ELi16ELi64ElfLNS0_11ScoringFuncE1EEEvPKT5_PKbPfiPT4_PiiiibPKf,"axG",@progbits,_ZN4vllm3moe10topkGatingILi4ELi32ELi4ELi16ELi64ElfLNS0_11ScoringFuncE1EEEvPKT5_PKbPfiPT4_PiiiibPKf,comdat
.Lfunc_end239:
	.size	_ZN4vllm3moe10topkGatingILi4ELi32ELi4ELi16ELi64ElfLNS0_11ScoringFuncE1EEEvPKT5_PKbPfiPT4_PiiiibPKf, .Lfunc_end239-_ZN4vllm3moe10topkGatingILi4ELi32ELi4ELi16ELi64ElfLNS0_11ScoringFuncE1EEEvPKT5_PKbPfiPT4_PiiiibPKf
                                        ; -- End function
	.section	.AMDGPU.csdata,"",@progbits
; Kernel info:
; codeLenInByte = 2208
; NumSgprs: 30
; NumVgprs: 28
; NumAgprs: 0
; TotalNumVgprs: 28
; ScratchSize: 0
; MemoryBound: 0
; FloatMode: 240
; IeeeMode: 1
; LDSByteSize: 0 bytes/workgroup (compile time only)
; SGPRBlocks: 3
; VGPRBlocks: 3
; NumSGPRsForWavesPerEU: 30
; NumVGPRsForWavesPerEU: 28
; AccumOffset: 28
; Occupancy: 8
; WaveLimiterHint : 0
; COMPUTE_PGM_RSRC2:SCRATCH_EN: 0
; COMPUTE_PGM_RSRC2:USER_SGPR: 6
; COMPUTE_PGM_RSRC2:TRAP_HANDLER: 0
; COMPUTE_PGM_RSRC2:TGID_X_EN: 1
; COMPUTE_PGM_RSRC2:TGID_Y_EN: 0
; COMPUTE_PGM_RSRC2:TGID_Z_EN: 0
; COMPUTE_PGM_RSRC2:TIDIG_COMP_CNT: 1
; COMPUTE_PGM_RSRC3_GFX90A:ACCUM_OFFSET: 6
; COMPUTE_PGM_RSRC3_GFX90A:TG_SPLIT: 0
	.section	.text._ZN4vllm3moe10topkGatingILi4ELi32ELi4ELi16ELi32ElfLNS0_11ScoringFuncE1EEEvPKT5_PKbPfiPT4_PiiiibPKf,"axG",@progbits,_ZN4vllm3moe10topkGatingILi4ELi32ELi4ELi16ELi32ElfLNS0_11ScoringFuncE1EEEvPKT5_PKbPfiPT4_PiiiibPKf,comdat
	.protected	_ZN4vllm3moe10topkGatingILi4ELi32ELi4ELi16ELi32ElfLNS0_11ScoringFuncE1EEEvPKT5_PKbPfiPT4_PiiiibPKf ; -- Begin function _ZN4vllm3moe10topkGatingILi4ELi32ELi4ELi16ELi32ElfLNS0_11ScoringFuncE1EEEvPKT5_PKbPfiPT4_PiiiibPKf
	.globl	_ZN4vllm3moe10topkGatingILi4ELi32ELi4ELi16ELi32ElfLNS0_11ScoringFuncE1EEEvPKT5_PKbPfiPT4_PiiiibPKf
	.p2align	8
	.type	_ZN4vllm3moe10topkGatingILi4ELi32ELi4ELi16ELi32ElfLNS0_11ScoringFuncE1EEEvPKT5_PKbPfiPT4_PiiiibPKf,@function
_ZN4vllm3moe10topkGatingILi4ELi32ELi4ELi16ELi32ElfLNS0_11ScoringFuncE1EEEvPKT5_PKbPfiPT4_PiiiibPKf: ; @_ZN4vllm3moe10topkGatingILi4ELi32ELi4ELi16ELi32ElfLNS0_11ScoringFuncE1EEEvPKT5_PKbPfiPT4_PiiiibPKf
; %bb.0:
	s_load_dword s24, s[4:5], 0x18
	v_bfe_u32 v1, v0, 10, 10
	v_and_b32_e32 v0, 0x3ff, v0
	s_lshl_b32 s0, s6, 4
	v_lshlrev_b32_e32 v1, 2, v1
	v_lshrrev_b32_e32 v2, 3, v0
	v_add3_u32 v8, s0, v1, v2
	s_waitcnt lgkmcnt(0)
	v_cmp_gt_i32_e32 vcc, s24, v8
	s_and_saveexec_b64 s[0:1], vcc
	s_cbranch_execz .LBB240_38
; %bb.1:
	s_load_dwordx4 s[0:3], s[4:5], 0x0
	s_load_dwordx2 s[16:17], s[4:5], 0x10
	s_mov_b64 s[8:9], -1
	s_mov_b64 s[18:19], -1
	s_waitcnt lgkmcnt(0)
	s_cmp_eq_u64 s[2:3], 0
	s_cbranch_scc1 .LBB240_3
; %bb.2:
	v_ashrrev_i32_e32 v1, 31, v8
	v_mov_b32_e32 v3, s3
	v_add_co_u32_e32 v2, vcc, s2, v8
	v_addc_co_u32_e32 v3, vcc, v3, v1, vcc
	global_load_ubyte v1, v[2:3], off
	s_waitcnt vmcnt(0)
	v_and_b32_e32 v1, 1, v1
	v_cmp_eq_u32_e32 vcc, 1, v1
	s_xor_b64 s[2:3], vcc, -1
	s_orn2_b64 s[18:19], s[2:3], exec
.LBB240_3:
	v_lshlrev_b32_e32 v2, 5, v8
	v_ashrrev_i32_e32 v3, 31, v2
	v_lshlrev_b64 v[2:3], 2, v[2:3]
	v_mov_b32_e32 v1, s1
	v_add_co_u32_e32 v2, vcc, s0, v2
	v_and_b32_e32 v9, 7, v0
	v_addc_co_u32_e32 v1, vcc, v1, v3, vcc
	v_lshlrev_b32_e32 v0, 4, v9
	v_add_co_u32_e32 v0, vcc, v2, v0
	v_addc_co_u32_e32 v1, vcc, 0, v1, vcc
	global_load_dwordx4 v[0:3], v[0:1], off
	v_mov_b32_e32 v4, 0x207
	s_load_dwordx2 s[10:11], s[4:5], 0x40
	v_lshlrev_b32_e32 v10, 2, v9
	s_waitcnt lgkmcnt(0)
	s_cmp_eq_u64 s[10:11], 0
	s_waitcnt vmcnt(0)
	v_mul_f32_e32 v0, 0xbfb8aa3b, v0
	v_mul_f32_e32 v1, 0xbfb8aa3b, v1
	v_exp_f32_e32 v0, v0
	v_exp_f32_e32 v1, v1
	v_mul_f32_e32 v2, 0xbfb8aa3b, v2
	v_mul_f32_e32 v3, 0xbfb8aa3b, v3
	v_exp_f32_e32 v2, v2
	v_exp_f32_e32 v3, v3
	v_pk_add_f32 v[0:1], v[0:1], 1.0 op_sel_hi:[1,0]
	v_div_scale_f32 v5, s[0:1], v1, v1, 1.0
	v_rcp_f32_e32 v16, v5
	v_div_scale_f32 v7, s[0:1], v0, v0, 1.0
	v_pk_add_f32 v[2:3], v[2:3], 1.0 op_sel_hi:[1,0]
	v_rcp_f32_e32 v17, v7
	v_div_scale_f32 v12, s[2:3], v3, v3, 1.0
	v_rcp_f32_e32 v18, v12
	v_fma_f32 v20, -v5, v16, 1.0
	v_div_scale_f32 v6, vcc, 1.0, v1, 1.0
	v_div_scale_f32 v14, s[6:7], v2, v2, 1.0
	v_fmac_f32_e32 v16, v20, v16
	v_rcp_f32_e32 v19, v14
	v_fma_f32 v21, -v7, v17, 1.0
	v_mul_f32_e32 v20, v6, v16
	v_div_scale_f32 v11, s[0:1], 1.0, v0, 1.0
	v_fmac_f32_e32 v17, v21, v17
	v_fma_f32 v24, -v5, v20, v6
	v_fma_f32 v22, -v12, v18, 1.0
	v_mul_f32_e32 v21, v11, v17
	v_fmac_f32_e32 v20, v24, v16
	v_div_scale_f32 v13, s[2:3], 1.0, v3, 1.0
	v_fmac_f32_e32 v18, v22, v18
	v_fma_f32 v25, -v7, v21, v11
	v_fma_f32 v5, -v5, v20, v6
	v_fma_f32 v23, -v14, v19, 1.0
	v_mul_f32_e32 v22, v13, v18
	v_fmac_f32_e32 v21, v25, v17
	v_div_fmas_f32 v5, v5, v16, v20
	v_div_scale_f32 v15, s[6:7], 1.0, v2, 1.0
	v_fmac_f32_e32 v19, v23, v19
	v_fma_f32 v26, -v12, v22, v13
	v_fma_f32 v6, -v7, v21, v11
	v_div_fixup_f32 v1, v5, v1, 1.0
	s_mov_b64 vcc, s[0:1]
	v_mul_f32_e32 v23, v15, v19
	v_fmac_f32_e32 v22, v26, v18
	v_div_fmas_f32 v5, v6, v17, v21
	v_cmp_class_f32_e32 vcc, v1, v4
	v_fma_f32 v27, -v14, v23, v15
	v_fma_f32 v7, -v12, v22, v13
	v_div_fixup_f32 v0, v5, v0, 1.0
	v_cndmask_b32_e64 v1, v1, 0, vcc
	s_mov_b64 vcc, s[2:3]
	v_fmac_f32_e32 v23, v27, v19
	v_div_fmas_f32 v5, v7, v18, v22
	v_cmp_class_f32_e32 vcc, v0, v4
	v_fma_f32 v11, -v14, v23, v15
	v_cndmask_b32_e64 v0, v0, 0, vcc
	s_mov_b64 vcc, s[6:7]
	v_div_fixup_f32 v3, v5, v3, 1.0
	v_div_fmas_f32 v5, v11, v19, v23
	v_div_fixup_f32 v2, v5, v2, 1.0
	v_cmp_class_f32_e32 vcc, v3, v4
	v_cndmask_b32_e64 v3, v3, 0, vcc
	v_cmp_class_f32_e32 vcc, v2, v4
	v_cndmask_b32_e64 v2, v2, 0, vcc
	s_cbranch_scc1 .LBB240_27
; %bb.4:
	v_lshlrev_b32_e32 v4, 2, v10
	global_load_dwordx4 v[4:7], v4, s[10:11]
	s_waitcnt vmcnt(0)
	v_pk_add_f32 v[4:5], v[4:5], v[0:1]
	v_pk_add_f32 v[6:7], v[6:7], v[2:3]
	s_cbranch_execnz .LBB240_6
.LBB240_5:
	v_pk_mov_b32 v[6:7], v[2:3], v[2:3] op_sel:[0,1]
	v_pk_mov_b32 v[4:5], v[0:1], v[0:1] op_sel:[0,1]
.LBB240_6:
	s_load_dwordx4 s[8:11], s[4:5], 0x30
	s_mov_b32 s25, 0
	v_cmp_eq_u32_e64 s[0:1], 0, v9
	s_waitcnt lgkmcnt(0)
	s_bitcmp1_b32 s11, 0
	s_cselect_b64 vcc, -1, 0
	s_cmp_gt_i32 s8, 0
	s_cselect_b64 s[6:7], -1, 0
	s_cmp_lt_i32 s8, 1
	s_cbranch_scc1 .LBB240_28
; %bb.7:
	v_mbcnt_lo_u32_b32 v11, -1, 0
	v_mbcnt_hi_u32_b32 v11, -1, v11
	v_and_b32_e32 v12, 0x78, v11
	v_add_u32_e32 v15, 8, v12
	v_xor_b32_e32 v13, 4, v11
	s_load_dwordx4 s[12:15], s[4:5], 0x20
	v_cmp_lt_i32_e64 s[2:3], v13, v15
	v_xor_b32_e32 v14, 2, v11
	v_cndmask_b32_e64 v13, v11, v13, s[2:3]
	v_cmp_lt_i32_e64 s[2:3], v14, v15
	v_xor_b32_e32 v16, 1, v11
	v_cndmask_b32_e64 v14, v11, v14, s[2:3]
	v_cmp_lt_i32_e64 s[2:3], v16, v15
	v_cndmask_b32_e64 v11, v11, v16, s[2:3]
	v_mul_lo_u32 v12, v8, s8
	v_lshlrev_b32_e32 v13, 2, v13
	v_lshlrev_b32_e32 v14, 2, v14
	;; [unrolled: 1-line block ×3, first 2 shown]
	v_mov_b32_e32 v11, 0
	v_mov_b32_e32 v16, 0xc61c4000
	;; [unrolled: 1-line block ×3, first 2 shown]
	s_branch .LBB240_10
.LBB240_8:                              ;   in Loop: Header=BB240_10 Depth=1
	s_or_b64 exec, exec, s[4:5]
.LBB240_9:                              ;   in Loop: Header=BB240_10 Depth=1
	s_cmp_eq_u32 s8, s25
	v_add_u32_e32 v17, s24, v17
	s_cbranch_scc1 .LBB240_29
.LBB240_10:                             ; =>This Inner Loop Header: Depth=1
	v_cmp_gt_f32_e64 s[2:3], v5, v4
	v_cndmask_b32_e64 v20, v4, v5, s[2:3]
	v_cndmask_b32_e64 v18, 0, 1, s[2:3]
	;; [unrolled: 1-line block ×3, first 2 shown]
	v_cmp_gt_f32_e64 s[2:3], v6, v20
	v_cndmask_b32_e64 v20, v20, v6, s[2:3]
	v_cndmask_b32_e64 v18, v18, 2, s[2:3]
	;; [unrolled: 1-line block ×3, first 2 shown]
	v_cmp_gt_f32_e64 s[2:3], v7, v20
	v_cndmask_b32_e64 v18, v18, 3, s[2:3]
	v_cndmask_b32_e64 v20, v20, v7, s[2:3]
	v_or_b32_e32 v18, v10, v18
	v_cndmask_b32_e64 v19, v19, v3, s[2:3]
	s_waitcnt lgkmcnt(0)
	ds_bpermute_b32 v21, v13, v20
	ds_bpermute_b32 v23, v13, v19
	;; [unrolled: 1-line block ×3, first 2 shown]
	s_waitcnt lgkmcnt(0)
	v_cmp_lt_f32_e64 s[20:21], v20, v21
	v_cmp_nlt_f32_e64 s[2:3], v20, v21
	s_and_saveexec_b64 s[22:23], s[2:3]
; %bb.11:                               ;   in Loop: Header=BB240_10 Depth=1
	v_cmp_eq_f32_e64 s[2:3], v20, v21
	v_cmp_lt_i32_e64 s[4:5], v22, v18
	s_and_b64 s[2:3], s[2:3], s[4:5]
	s_andn2_b64 s[4:5], s[20:21], exec
	s_and_b64 s[2:3], s[2:3], exec
	s_or_b64 s[20:21], s[4:5], s[2:3]
; %bb.12:                               ;   in Loop: Header=BB240_10 Depth=1
	s_or_b64 exec, exec, s[22:23]
	s_and_saveexec_b64 s[2:3], s[20:21]
; %bb.13:                               ;   in Loop: Header=BB240_10 Depth=1
	v_mov_b32_e32 v19, v23
	v_mov_b32_e32 v20, v21
	;; [unrolled: 1-line block ×3, first 2 shown]
; %bb.14:                               ;   in Loop: Header=BB240_10 Depth=1
	s_or_b64 exec, exec, s[2:3]
	ds_bpermute_b32 v21, v14, v20
	ds_bpermute_b32 v23, v14, v19
	;; [unrolled: 1-line block ×3, first 2 shown]
	s_waitcnt lgkmcnt(2)
	v_cmp_lt_f32_e64 s[20:21], v20, v21
	v_cmp_nlt_f32_e64 s[2:3], v20, v21
	s_and_saveexec_b64 s[22:23], s[2:3]
	s_cbranch_execz .LBB240_16
; %bb.15:                               ;   in Loop: Header=BB240_10 Depth=1
	v_cmp_eq_f32_e64 s[2:3], v20, v21
	s_waitcnt lgkmcnt(0)
	v_cmp_lt_i32_e64 s[4:5], v22, v18
	s_and_b64 s[2:3], s[2:3], s[4:5]
	s_andn2_b64 s[4:5], s[20:21], exec
	s_and_b64 s[2:3], s[2:3], exec
	s_or_b64 s[20:21], s[4:5], s[2:3]
.LBB240_16:                             ;   in Loop: Header=BB240_10 Depth=1
	s_or_b64 exec, exec, s[22:23]
	s_and_saveexec_b64 s[2:3], s[20:21]
	s_cbranch_execz .LBB240_18
; %bb.17:                               ;   in Loop: Header=BB240_10 Depth=1
	s_waitcnt lgkmcnt(1)
	v_mov_b32_e32 v19, v23
	v_mov_b32_e32 v20, v21
	s_waitcnt lgkmcnt(0)
	v_mov_b32_e32 v18, v22
.LBB240_18:                             ;   in Loop: Header=BB240_10 Depth=1
	s_or_b64 exec, exec, s[2:3]
	s_waitcnt lgkmcnt(1)
	ds_bpermute_b32 v23, v15, v20
	ds_bpermute_b32 v21, v15, v19
	s_waitcnt lgkmcnt(2)
	ds_bpermute_b32 v22, v15, v18
	s_waitcnt lgkmcnt(2)
	v_cmp_lt_f32_e64 s[20:21], v20, v23
	v_cmp_nlt_f32_e64 s[2:3], v20, v23
	s_and_saveexec_b64 s[22:23], s[2:3]
	s_cbranch_execnz .LBB240_22
; %bb.19:                               ;   in Loop: Header=BB240_10 Depth=1
	s_or_b64 exec, exec, s[22:23]
	s_and_saveexec_b64 s[2:3], s[20:21]
	s_cbranch_execnz .LBB240_23
.LBB240_20:                             ;   in Loop: Header=BB240_10 Depth=1
	s_or_b64 exec, exec, s[2:3]
	s_and_saveexec_b64 s[20:21], s[0:1]
	s_cbranch_execnz .LBB240_24
.LBB240_21:                             ;   in Loop: Header=BB240_10 Depth=1
	s_or_b64 exec, exec, s[20:21]
	s_add_i32 s25, s25, 1
	s_cmp_ge_i32 s25, s8
	s_cbranch_scc1 .LBB240_9
	s_branch .LBB240_25
.LBB240_22:                             ;   in Loop: Header=BB240_10 Depth=1
	v_cmp_eq_f32_e64 s[2:3], v20, v23
	s_waitcnt lgkmcnt(0)
	v_cmp_lt_i32_e64 s[4:5], v22, v18
	s_and_b64 s[2:3], s[2:3], s[4:5]
	s_andn2_b64 s[4:5], s[20:21], exec
	s_and_b64 s[2:3], s[2:3], exec
	s_or_b64 s[20:21], s[4:5], s[2:3]
	s_or_b64 exec, exec, s[22:23]
	s_and_saveexec_b64 s[2:3], s[20:21]
	s_cbranch_execz .LBB240_20
.LBB240_23:                             ;   in Loop: Header=BB240_10 Depth=1
	s_waitcnt lgkmcnt(0)
	v_mov_b32_e32 v18, v22
	v_mov_b32_e32 v19, v21
	s_or_b64 exec, exec, s[2:3]
	s_and_saveexec_b64 s[20:21], s[0:1]
	s_cbranch_execz .LBB240_21
.LBB240_24:                             ;   in Loop: Header=BB240_10 Depth=1
	v_add_u32_e32 v20, s25, v12
	s_waitcnt lgkmcnt(1)
	v_ashrrev_i32_e32 v21, 31, v20
	v_cmp_le_i32_e64 s[2:3], s9, v18
	v_cmp_gt_i32_e64 s[4:5], s10, v18
	s_waitcnt lgkmcnt(0)
	v_lshlrev_b64 v[22:23], 2, v[20:21]
	s_and_b64 s[4:5], s[2:3], s[4:5]
	v_mov_b32_e32 v25, s17
	v_add_co_u32_e64 v24, s[2:3], s16, v22
	v_addc_co_u32_e64 v25, s[2:3], v25, v23, s[2:3]
	global_store_dword v[24:25], v19, off
	v_subrev_u32_e32 v24, s9, v18
	v_ashrrev_i32_e32 v25, 31, v24
	s_and_b64 s[2:3], s[18:19], s[4:5]
	v_lshlrev_b64 v[20:21], 3, v[20:21]
	v_cndmask_b32_e64 v25, 0, v25, s[2:3]
	v_cndmask_b32_e64 v24, 32, v24, s[2:3]
	v_mov_b32_e32 v26, s13
	v_add_co_u32_e64 v20, s[2:3], s12, v20
	v_addc_co_u32_e64 v21, s[2:3], v26, v21, s[2:3]
	global_store_dwordx2 v[20:21], v[24:25], off
	v_mov_b32_e32 v21, s15
	v_add_co_u32_e64 v20, s[2:3], s14, v22
	v_add_f32_e32 v19, v11, v19
	v_addc_co_u32_e64 v21, s[2:3], v21, v23, s[2:3]
	v_cndmask_b32_e32 v11, v11, v19, vcc
	global_store_dword v[20:21], v17, off
	s_or_b64 exec, exec, s[20:21]
	s_add_i32 s25, s25, 1
	s_cmp_ge_i32 s25, s8
	s_cbranch_scc1 .LBB240_9
.LBB240_25:                             ;   in Loop: Header=BB240_10 Depth=1
	v_ashrrev_i32_e32 v20, 31, v18
	v_lshrrev_b32_e32 v19, 30, v20
	v_add_u32_e32 v19, v18, v19
	v_ashrrev_i32_e32 v19, 2, v19
	s_waitcnt lgkmcnt(1)
	v_lshrrev_b32_e32 v21, 29, v19
	v_add_u32_e32 v21, v19, v21
	v_and_b32_e32 v21, -8, v21
	v_sub_u32_e32 v21, v19, v21
	v_cmp_eq_u32_e64 s[2:3], v9, v21
	s_and_saveexec_b64 s[4:5], s[2:3]
	s_cbranch_execz .LBB240_8
; %bb.26:                               ;   in Loop: Header=BB240_10 Depth=1
	v_lshrrev_b32_e32 v20, 27, v20
	v_add_u32_e32 v20, v18, v20
	v_lshlrev_b32_e32 v19, 2, v19
	v_ashrrev_i32_e32 v20, 5, v20
	v_sub_u32_e32 v18, v18, v19
	v_lshl_add_u32 v18, v20, 2, v18
	v_cmp_ne_u32_e64 s[2:3], 3, v18
	v_cndmask_b32_e64 v7, v16, v7, s[2:3]
	v_cmp_ne_u32_e64 s[2:3], 2, v18
	v_cndmask_b32_e64 v6, v16, v6, s[2:3]
	;; [unrolled: 2-line block ×4, first 2 shown]
	s_branch .LBB240_8
.LBB240_27:
                                        ; implicit-def: $vgpr4_vgpr5_vgpr6_vgpr7
	s_andn2_b64 vcc, exec, s[8:9]
	s_cbranch_vccz .LBB240_5
	s_branch .LBB240_6
.LBB240_28:
	v_mov_b32_e32 v11, 0
.LBB240_29:
	v_cmp_eq_u32_e64 s[0:1], 0, v9
	s_and_b64 s[0:1], s[0:1], vcc
	s_and_b64 exec, exec, s[0:1]
	s_cbranch_execz .LBB240_38
; %bb.30:
	s_andn2_b64 vcc, exec, s[6:7]
	s_cbranch_vccnz .LBB240_38
; %bb.31:
	v_cmp_lt_f32_e32 vcc, 0, v11
	s_mov_b32 s2, 0
	v_cndmask_b32_e32 v0, 1.0, v11, vcc
	v_mul_lo_u32 v4, v8, s8
	s_cmp_eq_u32 s8, 1
	s_mov_b64 s[0:1], -1
	s_cbranch_scc1 .LBB240_35
; %bb.32:
	s_and_b32 s2, s8, 0x7ffffffe
	v_mov_b32_e32 v1, v0
	v_mov_b32_e32 v5, s17
	s_mov_b32 s3, s2
	v_mov_b32_e32 v2, v4
.LBB240_33:                             ; =>This Inner Loop Header: Depth=1
	v_ashrrev_i32_e32 v3, 31, v2
	v_lshlrev_b64 v[6:7], 2, v[2:3]
	v_add_co_u32_e32 v6, vcc, s16, v6
	v_addc_co_u32_e32 v7, vcc, v5, v7, vcc
	global_load_dwordx2 v[8:9], v[6:7], off
	s_add_i32 s3, s3, -2
	s_cmp_lg_u32 s3, 0
	v_add_u32_e32 v2, 2, v2
	s_waitcnt vmcnt(0)
	v_div_scale_f32 v3, s[0:1], v1, v1, v9
	v_div_scale_f32 v11, s[0:1], v0, v0, v8
	v_rcp_f32_e32 v12, v3
	v_rcp_f32_e32 v13, v11
	v_div_scale_f32 v10, vcc, v9, v1, v9
	v_fma_f32 v15, -v3, v12, 1.0
	v_fma_f32 v16, -v11, v13, 1.0
	v_fmac_f32_e32 v12, v15, v12
	v_div_scale_f32 v14, s[0:1], v8, v0, v8
	v_fmac_f32_e32 v13, v16, v13
	v_mul_f32_e32 v15, v10, v12
	v_mul_f32_e32 v16, v14, v13
	v_fma_f32 v17, -v3, v15, v10
	v_fma_f32 v18, -v11, v16, v14
	v_fmac_f32_e32 v15, v17, v12
	v_fmac_f32_e32 v16, v18, v13
	v_fma_f32 v3, -v3, v15, v10
	v_fma_f32 v10, -v11, v16, v14
	v_div_fmas_f32 v3, v3, v12, v15
	s_mov_b64 vcc, s[0:1]
	v_div_fixup_f32 v9, v3, v1, v9
	v_div_fmas_f32 v3, v10, v13, v16
	v_div_fixup_f32 v8, v3, v0, v8
	global_store_dwordx2 v[6:7], v[8:9], off
	s_cbranch_scc1 .LBB240_33
; %bb.34:
	s_cmp_lg_u32 s2, s8
	s_cselect_b64 s[0:1], -1, 0
.LBB240_35:
	s_and_b64 vcc, exec, s[0:1]
	s_cbranch_vccz .LBB240_38
; %bb.36:
	v_ashrrev_i32_e32 v1, 31, v4
	v_add_co_u32_e32 v2, vcc, s2, v4
	v_addc_co_u32_e32 v3, vcc, 0, v1, vcc
	v_lshlrev_b64 v[2:3], 2, v[2:3]
	v_mov_b32_e32 v1, s17
	v_add_co_u32_e32 v2, vcc, s16, v2
	s_sub_i32 s0, s8, s2
	v_addc_co_u32_e32 v3, vcc, v1, v3, vcc
.LBB240_37:                             ; =>This Inner Loop Header: Depth=1
	global_load_dword v1, v[2:3], off
	s_add_i32 s0, s0, -1
	s_cmp_lg_u32 s0, 0
	s_waitcnt vmcnt(0)
	v_div_scale_f32 v4, s[2:3], v0, v0, v1
	v_rcp_f32_e32 v5, v4
	v_div_scale_f32 v6, vcc, v1, v0, v1
	v_fma_f32 v7, -v4, v5, 1.0
	v_fmac_f32_e32 v5, v7, v5
	v_mul_f32_e32 v7, v6, v5
	v_fma_f32 v8, -v4, v7, v6
	v_fmac_f32_e32 v7, v8, v5
	v_fma_f32 v4, -v4, v7, v6
	v_div_fmas_f32 v4, v4, v5, v7
	v_div_fixup_f32 v1, v4, v0, v1
	global_store_dword v[2:3], v1, off
	v_add_co_u32_e32 v2, vcc, 4, v2
	v_addc_co_u32_e32 v3, vcc, 0, v3, vcc
	s_cbranch_scc1 .LBB240_37
.LBB240_38:
	s_endpgm
	.section	.rodata,"a",@progbits
	.p2align	6, 0x0
	.amdhsa_kernel _ZN4vllm3moe10topkGatingILi4ELi32ELi4ELi16ELi32ElfLNS0_11ScoringFuncE1EEEvPKT5_PKbPfiPT4_PiiiibPKf
		.amdhsa_group_segment_fixed_size 0
		.amdhsa_private_segment_fixed_size 0
		.amdhsa_kernarg_size 72
		.amdhsa_user_sgpr_count 6
		.amdhsa_user_sgpr_private_segment_buffer 1
		.amdhsa_user_sgpr_dispatch_ptr 0
		.amdhsa_user_sgpr_queue_ptr 0
		.amdhsa_user_sgpr_kernarg_segment_ptr 1
		.amdhsa_user_sgpr_dispatch_id 0
		.amdhsa_user_sgpr_flat_scratch_init 0
		.amdhsa_user_sgpr_kernarg_preload_length 0
		.amdhsa_user_sgpr_kernarg_preload_offset 0
		.amdhsa_user_sgpr_private_segment_size 0
		.amdhsa_uses_dynamic_stack 0
		.amdhsa_system_sgpr_private_segment_wavefront_offset 0
		.amdhsa_system_sgpr_workgroup_id_x 1
		.amdhsa_system_sgpr_workgroup_id_y 0
		.amdhsa_system_sgpr_workgroup_id_z 0
		.amdhsa_system_sgpr_workgroup_info 0
		.amdhsa_system_vgpr_workitem_id 1
		.amdhsa_next_free_vgpr 28
		.amdhsa_next_free_sgpr 26
		.amdhsa_accum_offset 28
		.amdhsa_reserve_vcc 1
		.amdhsa_reserve_flat_scratch 0
		.amdhsa_float_round_mode_32 0
		.amdhsa_float_round_mode_16_64 0
		.amdhsa_float_denorm_mode_32 3
		.amdhsa_float_denorm_mode_16_64 3
		.amdhsa_dx10_clamp 1
		.amdhsa_ieee_mode 1
		.amdhsa_fp16_overflow 0
		.amdhsa_tg_split 0
		.amdhsa_exception_fp_ieee_invalid_op 0
		.amdhsa_exception_fp_denorm_src 0
		.amdhsa_exception_fp_ieee_div_zero 0
		.amdhsa_exception_fp_ieee_overflow 0
		.amdhsa_exception_fp_ieee_underflow 0
		.amdhsa_exception_fp_ieee_inexact 0
		.amdhsa_exception_int_div_zero 0
	.end_amdhsa_kernel
	.section	.text._ZN4vllm3moe10topkGatingILi4ELi32ELi4ELi16ELi32ElfLNS0_11ScoringFuncE1EEEvPKT5_PKbPfiPT4_PiiiibPKf,"axG",@progbits,_ZN4vllm3moe10topkGatingILi4ELi32ELi4ELi16ELi32ElfLNS0_11ScoringFuncE1EEEvPKT5_PKbPfiPT4_PiiiibPKf,comdat
.Lfunc_end240:
	.size	_ZN4vllm3moe10topkGatingILi4ELi32ELi4ELi16ELi32ElfLNS0_11ScoringFuncE1EEEvPKT5_PKbPfiPT4_PiiiibPKf, .Lfunc_end240-_ZN4vllm3moe10topkGatingILi4ELi32ELi4ELi16ELi32ElfLNS0_11ScoringFuncE1EEEvPKT5_PKbPfiPT4_PiiiibPKf
                                        ; -- End function
	.section	.AMDGPU.csdata,"",@progbits
; Kernel info:
; codeLenInByte = 2208
; NumSgprs: 30
; NumVgprs: 28
; NumAgprs: 0
; TotalNumVgprs: 28
; ScratchSize: 0
; MemoryBound: 0
; FloatMode: 240
; IeeeMode: 1
; LDSByteSize: 0 bytes/workgroup (compile time only)
; SGPRBlocks: 3
; VGPRBlocks: 3
; NumSGPRsForWavesPerEU: 30
; NumVGPRsForWavesPerEU: 28
; AccumOffset: 28
; Occupancy: 8
; WaveLimiterHint : 0
; COMPUTE_PGM_RSRC2:SCRATCH_EN: 0
; COMPUTE_PGM_RSRC2:USER_SGPR: 6
; COMPUTE_PGM_RSRC2:TRAP_HANDLER: 0
; COMPUTE_PGM_RSRC2:TGID_X_EN: 1
; COMPUTE_PGM_RSRC2:TGID_Y_EN: 0
; COMPUTE_PGM_RSRC2:TGID_Z_EN: 0
; COMPUTE_PGM_RSRC2:TIDIG_COMP_CNT: 1
; COMPUTE_PGM_RSRC3_GFX90A:ACCUM_OFFSET: 6
; COMPUTE_PGM_RSRC3_GFX90A:TG_SPLIT: 0
	.section	.text._ZN4vllm3moe10topkGatingILi4ELi64ELi4ELi16ELi64ElfLNS0_11ScoringFuncE1EEEvPKT5_PKbPfiPT4_PiiiibPKf,"axG",@progbits,_ZN4vllm3moe10topkGatingILi4ELi64ELi4ELi16ELi64ElfLNS0_11ScoringFuncE1EEEvPKT5_PKbPfiPT4_PiiiibPKf,comdat
	.protected	_ZN4vllm3moe10topkGatingILi4ELi64ELi4ELi16ELi64ElfLNS0_11ScoringFuncE1EEEvPKT5_PKbPfiPT4_PiiiibPKf ; -- Begin function _ZN4vllm3moe10topkGatingILi4ELi64ELi4ELi16ELi64ElfLNS0_11ScoringFuncE1EEEvPKT5_PKbPfiPT4_PiiiibPKf
	.globl	_ZN4vllm3moe10topkGatingILi4ELi64ELi4ELi16ELi64ElfLNS0_11ScoringFuncE1EEEvPKT5_PKbPfiPT4_PiiiibPKf
	.p2align	8
	.type	_ZN4vllm3moe10topkGatingILi4ELi64ELi4ELi16ELi64ElfLNS0_11ScoringFuncE1EEEvPKT5_PKbPfiPT4_PiiiibPKf,@function
_ZN4vllm3moe10topkGatingILi4ELi64ELi4ELi16ELi64ElfLNS0_11ScoringFuncE1EEEvPKT5_PKbPfiPT4_PiiiibPKf: ; @_ZN4vllm3moe10topkGatingILi4ELi64ELi4ELi16ELi64ElfLNS0_11ScoringFuncE1EEEvPKT5_PKbPfiPT4_PiiiibPKf
; %bb.0:
	s_load_dword s24, s[4:5], 0x18
	v_bfe_u32 v1, v0, 10, 10
	v_and_b32_e32 v0, 0x3ff, v0
	s_lshl_b32 s0, s6, 4
	v_lshlrev_b32_e32 v1, 2, v1
	v_lshrrev_b32_e32 v2, 4, v0
	v_add3_u32 v8, s0, v1, v2
	s_waitcnt lgkmcnt(0)
	v_cmp_gt_i32_e32 vcc, s24, v8
	s_and_saveexec_b64 s[0:1], vcc
	s_cbranch_execz .LBB241_42
; %bb.1:
	s_load_dwordx4 s[0:3], s[4:5], 0x0
	s_load_dwordx2 s[16:17], s[4:5], 0x10
	s_mov_b64 s[8:9], -1
	s_mov_b64 s[18:19], -1
	s_waitcnt lgkmcnt(0)
	s_cmp_eq_u64 s[2:3], 0
	s_cbranch_scc1 .LBB241_3
; %bb.2:
	v_ashrrev_i32_e32 v1, 31, v8
	v_mov_b32_e32 v3, s3
	v_add_co_u32_e32 v2, vcc, s2, v8
	v_addc_co_u32_e32 v3, vcc, v3, v1, vcc
	global_load_ubyte v1, v[2:3], off
	s_waitcnt vmcnt(0)
	v_and_b32_e32 v1, 1, v1
	v_cmp_eq_u32_e32 vcc, 1, v1
	s_xor_b64 s[2:3], vcc, -1
	s_orn2_b64 s[18:19], s[2:3], exec
.LBB241_3:
	v_lshlrev_b32_e32 v2, 6, v8
	v_ashrrev_i32_e32 v3, 31, v2
	v_lshlrev_b64 v[2:3], 2, v[2:3]
	v_mov_b32_e32 v1, s1
	v_add_co_u32_e32 v2, vcc, s0, v2
	v_and_b32_e32 v9, 15, v0
	v_addc_co_u32_e32 v1, vcc, v1, v3, vcc
	v_lshlrev_b32_e32 v0, 4, v9
	v_add_co_u32_e32 v0, vcc, v2, v0
	v_addc_co_u32_e32 v1, vcc, 0, v1, vcc
	global_load_dwordx4 v[0:3], v[0:1], off
	v_mov_b32_e32 v4, 0x207
	s_load_dwordx2 s[10:11], s[4:5], 0x40
	v_lshlrev_b32_e32 v10, 2, v9
	s_waitcnt lgkmcnt(0)
	s_cmp_eq_u64 s[10:11], 0
	s_waitcnt vmcnt(0)
	v_mul_f32_e32 v0, 0xbfb8aa3b, v0
	v_mul_f32_e32 v1, 0xbfb8aa3b, v1
	v_exp_f32_e32 v0, v0
	v_exp_f32_e32 v1, v1
	v_mul_f32_e32 v2, 0xbfb8aa3b, v2
	v_mul_f32_e32 v3, 0xbfb8aa3b, v3
	v_exp_f32_e32 v2, v2
	v_exp_f32_e32 v3, v3
	v_pk_add_f32 v[0:1], v[0:1], 1.0 op_sel_hi:[1,0]
	v_div_scale_f32 v5, s[0:1], v1, v1, 1.0
	v_rcp_f32_e32 v16, v5
	v_div_scale_f32 v7, s[0:1], v0, v0, 1.0
	v_pk_add_f32 v[2:3], v[2:3], 1.0 op_sel_hi:[1,0]
	v_rcp_f32_e32 v17, v7
	v_div_scale_f32 v12, s[2:3], v3, v3, 1.0
	v_rcp_f32_e32 v18, v12
	v_fma_f32 v20, -v5, v16, 1.0
	v_div_scale_f32 v6, vcc, 1.0, v1, 1.0
	v_div_scale_f32 v14, s[6:7], v2, v2, 1.0
	v_fmac_f32_e32 v16, v20, v16
	v_rcp_f32_e32 v19, v14
	v_fma_f32 v21, -v7, v17, 1.0
	v_mul_f32_e32 v20, v6, v16
	v_div_scale_f32 v11, s[0:1], 1.0, v0, 1.0
	v_fmac_f32_e32 v17, v21, v17
	v_fma_f32 v24, -v5, v20, v6
	v_fma_f32 v22, -v12, v18, 1.0
	v_mul_f32_e32 v21, v11, v17
	v_fmac_f32_e32 v20, v24, v16
	v_div_scale_f32 v13, s[2:3], 1.0, v3, 1.0
	v_fmac_f32_e32 v18, v22, v18
	v_fma_f32 v25, -v7, v21, v11
	v_fma_f32 v5, -v5, v20, v6
	v_fma_f32 v23, -v14, v19, 1.0
	v_mul_f32_e32 v22, v13, v18
	v_fmac_f32_e32 v21, v25, v17
	v_div_fmas_f32 v5, v5, v16, v20
	v_div_scale_f32 v15, s[6:7], 1.0, v2, 1.0
	v_fmac_f32_e32 v19, v23, v19
	v_fma_f32 v26, -v12, v22, v13
	v_fma_f32 v6, -v7, v21, v11
	v_div_fixup_f32 v1, v5, v1, 1.0
	s_mov_b64 vcc, s[0:1]
	v_mul_f32_e32 v23, v15, v19
	v_fmac_f32_e32 v22, v26, v18
	v_div_fmas_f32 v5, v6, v17, v21
	v_cmp_class_f32_e32 vcc, v1, v4
	v_fma_f32 v27, -v14, v23, v15
	v_fma_f32 v7, -v12, v22, v13
	v_div_fixup_f32 v0, v5, v0, 1.0
	v_cndmask_b32_e64 v1, v1, 0, vcc
	s_mov_b64 vcc, s[2:3]
	v_fmac_f32_e32 v23, v27, v19
	v_div_fmas_f32 v5, v7, v18, v22
	v_cmp_class_f32_e32 vcc, v0, v4
	v_fma_f32 v11, -v14, v23, v15
	v_cndmask_b32_e64 v0, v0, 0, vcc
	s_mov_b64 vcc, s[6:7]
	v_div_fixup_f32 v3, v5, v3, 1.0
	v_div_fmas_f32 v5, v11, v19, v23
	v_div_fixup_f32 v2, v5, v2, 1.0
	v_cmp_class_f32_e32 vcc, v3, v4
	v_cndmask_b32_e64 v3, v3, 0, vcc
	v_cmp_class_f32_e32 vcc, v2, v4
	v_cndmask_b32_e64 v2, v2, 0, vcc
	s_cbranch_scc1 .LBB241_31
; %bb.4:
	v_lshlrev_b32_e32 v4, 2, v10
	global_load_dwordx4 v[4:7], v4, s[10:11]
	s_waitcnt vmcnt(0)
	v_pk_add_f32 v[4:5], v[4:5], v[0:1]
	v_pk_add_f32 v[6:7], v[6:7], v[2:3]
	s_cbranch_execnz .LBB241_6
.LBB241_5:
	v_pk_mov_b32 v[6:7], v[2:3], v[2:3] op_sel:[0,1]
	v_pk_mov_b32 v[4:5], v[0:1], v[0:1] op_sel:[0,1]
.LBB241_6:
	s_load_dwordx4 s[8:11], s[4:5], 0x30
	s_mov_b32 s25, 0
	v_cmp_eq_u32_e64 s[0:1], 0, v9
	s_waitcnt lgkmcnt(0)
	s_bitcmp1_b32 s11, 0
	s_cselect_b64 vcc, -1, 0
	s_cmp_gt_i32 s8, 0
	s_cselect_b64 s[6:7], -1, 0
	s_cmp_lt_i32 s8, 1
	s_cbranch_scc1 .LBB241_32
; %bb.7:
	v_mbcnt_lo_u32_b32 v11, -1, 0
	v_mbcnt_hi_u32_b32 v11, -1, v11
	v_and_b32_e32 v12, 0x70, v11
	v_add_u32_e32 v16, 16, v12
	v_xor_b32_e32 v13, 8, v11
	v_cmp_lt_i32_e64 s[2:3], v13, v16
	v_xor_b32_e32 v14, 4, v11
	s_load_dwordx4 s[12:15], s[4:5], 0x20
	v_cndmask_b32_e64 v13, v11, v13, s[2:3]
	v_cmp_lt_i32_e64 s[2:3], v14, v16
	v_xor_b32_e32 v15, 2, v11
	v_cndmask_b32_e64 v14, v11, v14, s[2:3]
	v_cmp_lt_i32_e64 s[2:3], v15, v16
	v_xor_b32_e32 v17, 1, v11
	v_cndmask_b32_e64 v15, v11, v15, s[2:3]
	v_cmp_lt_i32_e64 s[2:3], v17, v16
	v_cndmask_b32_e64 v11, v11, v17, s[2:3]
	v_mul_lo_u32 v12, v8, s8
	v_lshlrev_b32_e32 v13, 2, v13
	v_lshlrev_b32_e32 v14, 2, v14
	;; [unrolled: 1-line block ×4, first 2 shown]
	v_mov_b32_e32 v11, 0
	v_mov_b32_e32 v17, 0xc61c4000
	;; [unrolled: 1-line block ×3, first 2 shown]
	s_branch .LBB241_10
.LBB241_8:                              ;   in Loop: Header=BB241_10 Depth=1
	s_or_b64 exec, exec, s[4:5]
.LBB241_9:                              ;   in Loop: Header=BB241_10 Depth=1
	s_cmp_eq_u32 s8, s25
	v_add_u32_e32 v18, s24, v18
	s_cbranch_scc1 .LBB241_33
.LBB241_10:                             ; =>This Inner Loop Header: Depth=1
	v_cmp_gt_f32_e64 s[2:3], v5, v4
	v_cndmask_b32_e64 v21, v4, v5, s[2:3]
	v_cndmask_b32_e64 v19, 0, 1, s[2:3]
	;; [unrolled: 1-line block ×3, first 2 shown]
	v_cmp_gt_f32_e64 s[2:3], v6, v21
	v_cndmask_b32_e64 v21, v21, v6, s[2:3]
	v_cndmask_b32_e64 v19, v19, 2, s[2:3]
	;; [unrolled: 1-line block ×3, first 2 shown]
	v_cmp_gt_f32_e64 s[2:3], v7, v21
	v_cndmask_b32_e64 v19, v19, 3, s[2:3]
	v_cndmask_b32_e64 v21, v21, v7, s[2:3]
	v_or_b32_e32 v19, v10, v19
	v_cndmask_b32_e64 v20, v20, v3, s[2:3]
	s_waitcnt lgkmcnt(0)
	ds_bpermute_b32 v22, v13, v21
	ds_bpermute_b32 v24, v13, v20
	;; [unrolled: 1-line block ×3, first 2 shown]
	s_waitcnt lgkmcnt(0)
	v_cmp_lt_f32_e64 s[20:21], v21, v22
	v_cmp_nlt_f32_e64 s[2:3], v21, v22
	s_and_saveexec_b64 s[22:23], s[2:3]
; %bb.11:                               ;   in Loop: Header=BB241_10 Depth=1
	v_cmp_eq_f32_e64 s[2:3], v21, v22
	v_cmp_lt_i32_e64 s[4:5], v23, v19
	s_and_b64 s[2:3], s[2:3], s[4:5]
	s_andn2_b64 s[4:5], s[20:21], exec
	s_and_b64 s[2:3], s[2:3], exec
	s_or_b64 s[20:21], s[4:5], s[2:3]
; %bb.12:                               ;   in Loop: Header=BB241_10 Depth=1
	s_or_b64 exec, exec, s[22:23]
	s_and_saveexec_b64 s[2:3], s[20:21]
; %bb.13:                               ;   in Loop: Header=BB241_10 Depth=1
	v_mov_b32_e32 v20, v24
	v_mov_b32_e32 v21, v22
	;; [unrolled: 1-line block ×3, first 2 shown]
; %bb.14:                               ;   in Loop: Header=BB241_10 Depth=1
	s_or_b64 exec, exec, s[2:3]
	ds_bpermute_b32 v22, v14, v21
	ds_bpermute_b32 v24, v14, v20
	;; [unrolled: 1-line block ×3, first 2 shown]
	s_waitcnt lgkmcnt(2)
	v_cmp_lt_f32_e64 s[20:21], v21, v22
	v_cmp_nlt_f32_e64 s[2:3], v21, v22
	s_and_saveexec_b64 s[22:23], s[2:3]
	s_cbranch_execz .LBB241_16
; %bb.15:                               ;   in Loop: Header=BB241_10 Depth=1
	v_cmp_eq_f32_e64 s[2:3], v21, v22
	s_waitcnt lgkmcnt(0)
	v_cmp_lt_i32_e64 s[4:5], v23, v19
	s_and_b64 s[2:3], s[2:3], s[4:5]
	s_andn2_b64 s[4:5], s[20:21], exec
	s_and_b64 s[2:3], s[2:3], exec
	s_or_b64 s[20:21], s[4:5], s[2:3]
.LBB241_16:                             ;   in Loop: Header=BB241_10 Depth=1
	s_or_b64 exec, exec, s[22:23]
	s_and_saveexec_b64 s[2:3], s[20:21]
	s_cbranch_execz .LBB241_18
; %bb.17:                               ;   in Loop: Header=BB241_10 Depth=1
	s_waitcnt lgkmcnt(1)
	v_mov_b32_e32 v20, v24
	v_mov_b32_e32 v21, v22
	s_waitcnt lgkmcnt(0)
	v_mov_b32_e32 v19, v23
.LBB241_18:                             ;   in Loop: Header=BB241_10 Depth=1
	s_or_b64 exec, exec, s[2:3]
	ds_bpermute_b32 v22, v15, v21
	s_waitcnt lgkmcnt(2)
	ds_bpermute_b32 v24, v15, v20
	s_waitcnt lgkmcnt(2)
	;; [unrolled: 2-line block ×3, first 2 shown]
	v_cmp_lt_f32_e64 s[20:21], v21, v22
	v_cmp_nlt_f32_e64 s[2:3], v21, v22
	s_and_saveexec_b64 s[22:23], s[2:3]
	s_cbranch_execz .LBB241_20
; %bb.19:                               ;   in Loop: Header=BB241_10 Depth=1
	v_cmp_eq_f32_e64 s[2:3], v21, v22
	s_waitcnt lgkmcnt(0)
	v_cmp_lt_i32_e64 s[4:5], v23, v19
	s_and_b64 s[2:3], s[2:3], s[4:5]
	s_andn2_b64 s[4:5], s[20:21], exec
	s_and_b64 s[2:3], s[2:3], exec
	s_or_b64 s[20:21], s[4:5], s[2:3]
.LBB241_20:                             ;   in Loop: Header=BB241_10 Depth=1
	s_or_b64 exec, exec, s[22:23]
	s_and_saveexec_b64 s[2:3], s[20:21]
	s_cbranch_execz .LBB241_22
; %bb.21:                               ;   in Loop: Header=BB241_10 Depth=1
	s_waitcnt lgkmcnt(1)
	v_mov_b32_e32 v20, v24
	v_mov_b32_e32 v21, v22
	s_waitcnt lgkmcnt(0)
	v_mov_b32_e32 v19, v23
.LBB241_22:                             ;   in Loop: Header=BB241_10 Depth=1
	s_or_b64 exec, exec, s[2:3]
	s_waitcnt lgkmcnt(1)
	ds_bpermute_b32 v24, v16, v21
	ds_bpermute_b32 v22, v16, v20
	s_waitcnt lgkmcnt(2)
	ds_bpermute_b32 v23, v16, v19
	s_waitcnt lgkmcnt(2)
	v_cmp_lt_f32_e64 s[20:21], v21, v24
	v_cmp_nlt_f32_e64 s[2:3], v21, v24
	s_and_saveexec_b64 s[22:23], s[2:3]
	s_cbranch_execnz .LBB241_26
; %bb.23:                               ;   in Loop: Header=BB241_10 Depth=1
	s_or_b64 exec, exec, s[22:23]
	s_and_saveexec_b64 s[2:3], s[20:21]
	s_cbranch_execnz .LBB241_27
.LBB241_24:                             ;   in Loop: Header=BB241_10 Depth=1
	s_or_b64 exec, exec, s[2:3]
	s_and_saveexec_b64 s[20:21], s[0:1]
	s_cbranch_execnz .LBB241_28
.LBB241_25:                             ;   in Loop: Header=BB241_10 Depth=1
	s_or_b64 exec, exec, s[20:21]
	s_add_i32 s25, s25, 1
	s_cmp_ge_i32 s25, s8
	s_cbranch_scc1 .LBB241_9
	s_branch .LBB241_29
.LBB241_26:                             ;   in Loop: Header=BB241_10 Depth=1
	v_cmp_eq_f32_e64 s[2:3], v21, v24
	s_waitcnt lgkmcnt(0)
	v_cmp_lt_i32_e64 s[4:5], v23, v19
	s_and_b64 s[2:3], s[2:3], s[4:5]
	s_andn2_b64 s[4:5], s[20:21], exec
	s_and_b64 s[2:3], s[2:3], exec
	s_or_b64 s[20:21], s[4:5], s[2:3]
	s_or_b64 exec, exec, s[22:23]
	s_and_saveexec_b64 s[2:3], s[20:21]
	s_cbranch_execz .LBB241_24
.LBB241_27:                             ;   in Loop: Header=BB241_10 Depth=1
	s_waitcnt lgkmcnt(0)
	v_mov_b32_e32 v19, v23
	v_mov_b32_e32 v20, v22
	s_or_b64 exec, exec, s[2:3]
	s_and_saveexec_b64 s[20:21], s[0:1]
	s_cbranch_execz .LBB241_25
.LBB241_28:                             ;   in Loop: Header=BB241_10 Depth=1
	s_waitcnt lgkmcnt(1)
	v_add_u32_e32 v22, s25, v12
	s_waitcnt lgkmcnt(0)
	v_ashrrev_i32_e32 v23, 31, v22
	v_cmp_le_i32_e64 s[2:3], s9, v19
	v_cmp_gt_i32_e64 s[4:5], s10, v19
	v_lshlrev_b64 v[24:25], 2, v[22:23]
	s_and_b64 s[4:5], s[2:3], s[4:5]
	v_mov_b32_e32 v21, s17
	v_add_co_u32_e64 v26, s[2:3], s16, v24
	v_addc_co_u32_e64 v27, s[2:3], v21, v25, s[2:3]
	v_subrev_u32_e32 v21, s9, v19
	global_store_dword v[26:27], v20, off
	v_ashrrev_i32_e32 v26, 31, v21
	s_and_b64 s[2:3], s[18:19], s[4:5]
	v_lshlrev_b64 v[22:23], 3, v[22:23]
	v_cndmask_b32_e64 v27, 0, v26, s[2:3]
	v_cndmask_b32_e64 v26, 64, v21, s[2:3]
	v_mov_b32_e32 v21, s13
	v_add_co_u32_e64 v22, s[2:3], s12, v22
	v_addc_co_u32_e64 v23, s[2:3], v21, v23, s[2:3]
	global_store_dwordx2 v[22:23], v[26:27], off
	v_mov_b32_e32 v21, s15
	v_add_co_u32_e64 v22, s[2:3], s14, v24
	v_add_f32_e32 v20, v11, v20
	v_addc_co_u32_e64 v23, s[2:3], v21, v25, s[2:3]
	v_cndmask_b32_e32 v11, v11, v20, vcc
	global_store_dword v[22:23], v18, off
	s_or_b64 exec, exec, s[20:21]
	s_add_i32 s25, s25, 1
	s_cmp_ge_i32 s25, s8
	s_cbranch_scc1 .LBB241_9
.LBB241_29:                             ;   in Loop: Header=BB241_10 Depth=1
	v_ashrrev_i32_e32 v21, 31, v19
	v_lshrrev_b32_e32 v20, 30, v21
	s_waitcnt lgkmcnt(1)
	v_add_u32_e32 v22, v19, v20
	v_ashrrev_i32_e32 v20, 2, v22
	v_ashrrev_i32_e32 v22, 31, v22
	v_lshrrev_b32_e32 v22, 28, v22
	v_add_u32_e32 v22, v20, v22
	v_and_b32_e32 v22, -16, v22
	v_sub_u32_e32 v22, v20, v22
	v_cmp_eq_u32_e64 s[2:3], v9, v22
	s_and_saveexec_b64 s[4:5], s[2:3]
	s_cbranch_execz .LBB241_8
; %bb.30:                               ;   in Loop: Header=BB241_10 Depth=1
	v_lshrrev_b32_e32 v21, 26, v21
	v_add_u32_e32 v21, v19, v21
	v_lshlrev_b32_e32 v20, 2, v20
	v_ashrrev_i32_e32 v21, 6, v21
	v_sub_u32_e32 v19, v19, v20
	v_lshl_add_u32 v19, v21, 2, v19
	v_cmp_ne_u32_e64 s[2:3], 3, v19
	v_cndmask_b32_e64 v7, v17, v7, s[2:3]
	v_cmp_ne_u32_e64 s[2:3], 2, v19
	v_cndmask_b32_e64 v6, v17, v6, s[2:3]
	v_cmp_ne_u32_e64 s[2:3], 1, v19
	v_cndmask_b32_e64 v5, v17, v5, s[2:3]
	v_cmp_ne_u32_e64 s[2:3], 0, v19
	v_cndmask_b32_e64 v4, v17, v4, s[2:3]
	s_branch .LBB241_8
.LBB241_31:
                                        ; implicit-def: $vgpr4_vgpr5_vgpr6_vgpr7
	s_andn2_b64 vcc, exec, s[8:9]
	s_cbranch_vccz .LBB241_5
	s_branch .LBB241_6
.LBB241_32:
	v_mov_b32_e32 v11, 0
.LBB241_33:
	v_cmp_eq_u32_e64 s[0:1], 0, v9
	s_and_b64 s[0:1], s[0:1], vcc
	s_and_b64 exec, exec, s[0:1]
	s_cbranch_execz .LBB241_42
; %bb.34:
	s_andn2_b64 vcc, exec, s[6:7]
	s_cbranch_vccnz .LBB241_42
; %bb.35:
	v_cmp_lt_f32_e32 vcc, 0, v11
	s_mov_b32 s2, 0
	v_cndmask_b32_e32 v0, 1.0, v11, vcc
	v_mul_lo_u32 v4, v8, s8
	s_cmp_eq_u32 s8, 1
	s_mov_b64 s[0:1], -1
	s_cbranch_scc1 .LBB241_39
; %bb.36:
	s_and_b32 s2, s8, 0x7ffffffe
	v_mov_b32_e32 v1, v0
	v_mov_b32_e32 v5, s17
	s_mov_b32 s3, s2
	v_mov_b32_e32 v2, v4
.LBB241_37:                             ; =>This Inner Loop Header: Depth=1
	v_ashrrev_i32_e32 v3, 31, v2
	v_lshlrev_b64 v[6:7], 2, v[2:3]
	v_add_co_u32_e32 v6, vcc, s16, v6
	v_addc_co_u32_e32 v7, vcc, v5, v7, vcc
	global_load_dwordx2 v[8:9], v[6:7], off
	s_add_i32 s3, s3, -2
	s_cmp_lg_u32 s3, 0
	v_add_u32_e32 v2, 2, v2
	s_waitcnt vmcnt(0)
	v_div_scale_f32 v3, s[0:1], v1, v1, v9
	v_div_scale_f32 v11, s[0:1], v0, v0, v8
	v_rcp_f32_e32 v12, v3
	v_rcp_f32_e32 v13, v11
	v_div_scale_f32 v10, vcc, v9, v1, v9
	v_fma_f32 v15, -v3, v12, 1.0
	v_fma_f32 v16, -v11, v13, 1.0
	v_fmac_f32_e32 v12, v15, v12
	v_div_scale_f32 v14, s[0:1], v8, v0, v8
	v_fmac_f32_e32 v13, v16, v13
	v_mul_f32_e32 v15, v10, v12
	v_mul_f32_e32 v16, v14, v13
	v_fma_f32 v17, -v3, v15, v10
	v_fma_f32 v18, -v11, v16, v14
	v_fmac_f32_e32 v15, v17, v12
	v_fmac_f32_e32 v16, v18, v13
	v_fma_f32 v3, -v3, v15, v10
	v_fma_f32 v10, -v11, v16, v14
	v_div_fmas_f32 v3, v3, v12, v15
	s_mov_b64 vcc, s[0:1]
	v_div_fixup_f32 v9, v3, v1, v9
	v_div_fmas_f32 v3, v10, v13, v16
	v_div_fixup_f32 v8, v3, v0, v8
	global_store_dwordx2 v[6:7], v[8:9], off
	s_cbranch_scc1 .LBB241_37
; %bb.38:
	s_cmp_lg_u32 s2, s8
	s_cselect_b64 s[0:1], -1, 0
.LBB241_39:
	s_and_b64 vcc, exec, s[0:1]
	s_cbranch_vccz .LBB241_42
; %bb.40:
	v_ashrrev_i32_e32 v1, 31, v4
	v_add_co_u32_e32 v2, vcc, s2, v4
	v_addc_co_u32_e32 v3, vcc, 0, v1, vcc
	v_lshlrev_b64 v[2:3], 2, v[2:3]
	v_mov_b32_e32 v1, s17
	v_add_co_u32_e32 v2, vcc, s16, v2
	s_sub_i32 s0, s8, s2
	v_addc_co_u32_e32 v3, vcc, v1, v3, vcc
.LBB241_41:                             ; =>This Inner Loop Header: Depth=1
	global_load_dword v1, v[2:3], off
	s_add_i32 s0, s0, -1
	s_cmp_lg_u32 s0, 0
	s_waitcnt vmcnt(0)
	v_div_scale_f32 v4, s[2:3], v0, v0, v1
	v_rcp_f32_e32 v5, v4
	v_div_scale_f32 v6, vcc, v1, v0, v1
	v_fma_f32 v7, -v4, v5, 1.0
	v_fmac_f32_e32 v5, v7, v5
	v_mul_f32_e32 v7, v6, v5
	v_fma_f32 v8, -v4, v7, v6
	v_fmac_f32_e32 v7, v8, v5
	v_fma_f32 v4, -v4, v7, v6
	v_div_fmas_f32 v4, v4, v5, v7
	v_div_fixup_f32 v1, v4, v0, v1
	global_store_dword v[2:3], v1, off
	v_add_co_u32_e32 v2, vcc, 4, v2
	v_addc_co_u32_e32 v3, vcc, 0, v3, vcc
	s_cbranch_scc1 .LBB241_41
.LBB241_42:
	s_endpgm
	.section	.rodata,"a",@progbits
	.p2align	6, 0x0
	.amdhsa_kernel _ZN4vllm3moe10topkGatingILi4ELi64ELi4ELi16ELi64ElfLNS0_11ScoringFuncE1EEEvPKT5_PKbPfiPT4_PiiiibPKf
		.amdhsa_group_segment_fixed_size 0
		.amdhsa_private_segment_fixed_size 0
		.amdhsa_kernarg_size 72
		.amdhsa_user_sgpr_count 6
		.amdhsa_user_sgpr_private_segment_buffer 1
		.amdhsa_user_sgpr_dispatch_ptr 0
		.amdhsa_user_sgpr_queue_ptr 0
		.amdhsa_user_sgpr_kernarg_segment_ptr 1
		.amdhsa_user_sgpr_dispatch_id 0
		.amdhsa_user_sgpr_flat_scratch_init 0
		.amdhsa_user_sgpr_kernarg_preload_length 0
		.amdhsa_user_sgpr_kernarg_preload_offset 0
		.amdhsa_user_sgpr_private_segment_size 0
		.amdhsa_uses_dynamic_stack 0
		.amdhsa_system_sgpr_private_segment_wavefront_offset 0
		.amdhsa_system_sgpr_workgroup_id_x 1
		.amdhsa_system_sgpr_workgroup_id_y 0
		.amdhsa_system_sgpr_workgroup_id_z 0
		.amdhsa_system_sgpr_workgroup_info 0
		.amdhsa_system_vgpr_workitem_id 1
		.amdhsa_next_free_vgpr 28
		.amdhsa_next_free_sgpr 26
		.amdhsa_accum_offset 28
		.amdhsa_reserve_vcc 1
		.amdhsa_reserve_flat_scratch 0
		.amdhsa_float_round_mode_32 0
		.amdhsa_float_round_mode_16_64 0
		.amdhsa_float_denorm_mode_32 3
		.amdhsa_float_denorm_mode_16_64 3
		.amdhsa_dx10_clamp 1
		.amdhsa_ieee_mode 1
		.amdhsa_fp16_overflow 0
		.amdhsa_tg_split 0
		.amdhsa_exception_fp_ieee_invalid_op 0
		.amdhsa_exception_fp_denorm_src 0
		.amdhsa_exception_fp_ieee_div_zero 0
		.amdhsa_exception_fp_ieee_overflow 0
		.amdhsa_exception_fp_ieee_underflow 0
		.amdhsa_exception_fp_ieee_inexact 0
		.amdhsa_exception_int_div_zero 0
	.end_amdhsa_kernel
	.section	.text._ZN4vllm3moe10topkGatingILi4ELi64ELi4ELi16ELi64ElfLNS0_11ScoringFuncE1EEEvPKT5_PKbPfiPT4_PiiiibPKf,"axG",@progbits,_ZN4vllm3moe10topkGatingILi4ELi64ELi4ELi16ELi64ElfLNS0_11ScoringFuncE1EEEvPKT5_PKbPfiPT4_PiiiibPKf,comdat
.Lfunc_end241:
	.size	_ZN4vllm3moe10topkGatingILi4ELi64ELi4ELi16ELi64ElfLNS0_11ScoringFuncE1EEEvPKT5_PKbPfiPT4_PiiiibPKf, .Lfunc_end241-_ZN4vllm3moe10topkGatingILi4ELi64ELi4ELi16ELi64ElfLNS0_11ScoringFuncE1EEEvPKT5_PKbPfiPT4_PiiiibPKf
                                        ; -- End function
	.section	.AMDGPU.csdata,"",@progbits
; Kernel info:
; codeLenInByte = 2368
; NumSgprs: 30
; NumVgprs: 28
; NumAgprs: 0
; TotalNumVgprs: 28
; ScratchSize: 0
; MemoryBound: 0
; FloatMode: 240
; IeeeMode: 1
; LDSByteSize: 0 bytes/workgroup (compile time only)
; SGPRBlocks: 3
; VGPRBlocks: 3
; NumSGPRsForWavesPerEU: 30
; NumVGPRsForWavesPerEU: 28
; AccumOffset: 28
; Occupancy: 8
; WaveLimiterHint : 0
; COMPUTE_PGM_RSRC2:SCRATCH_EN: 0
; COMPUTE_PGM_RSRC2:USER_SGPR: 6
; COMPUTE_PGM_RSRC2:TRAP_HANDLER: 0
; COMPUTE_PGM_RSRC2:TGID_X_EN: 1
; COMPUTE_PGM_RSRC2:TGID_Y_EN: 0
; COMPUTE_PGM_RSRC2:TGID_Z_EN: 0
; COMPUTE_PGM_RSRC2:TIDIG_COMP_CNT: 1
; COMPUTE_PGM_RSRC3_GFX90A:ACCUM_OFFSET: 6
; COMPUTE_PGM_RSRC3_GFX90A:TG_SPLIT: 0
	.section	.text._ZN4vllm3moe10topkGatingILi4ELi64ELi4ELi16ELi32ElfLNS0_11ScoringFuncE1EEEvPKT5_PKbPfiPT4_PiiiibPKf,"axG",@progbits,_ZN4vllm3moe10topkGatingILi4ELi64ELi4ELi16ELi32ElfLNS0_11ScoringFuncE1EEEvPKT5_PKbPfiPT4_PiiiibPKf,comdat
	.protected	_ZN4vllm3moe10topkGatingILi4ELi64ELi4ELi16ELi32ElfLNS0_11ScoringFuncE1EEEvPKT5_PKbPfiPT4_PiiiibPKf ; -- Begin function _ZN4vllm3moe10topkGatingILi4ELi64ELi4ELi16ELi32ElfLNS0_11ScoringFuncE1EEEvPKT5_PKbPfiPT4_PiiiibPKf
	.globl	_ZN4vllm3moe10topkGatingILi4ELi64ELi4ELi16ELi32ElfLNS0_11ScoringFuncE1EEEvPKT5_PKbPfiPT4_PiiiibPKf
	.p2align	8
	.type	_ZN4vllm3moe10topkGatingILi4ELi64ELi4ELi16ELi32ElfLNS0_11ScoringFuncE1EEEvPKT5_PKbPfiPT4_PiiiibPKf,@function
_ZN4vllm3moe10topkGatingILi4ELi64ELi4ELi16ELi32ElfLNS0_11ScoringFuncE1EEEvPKT5_PKbPfiPT4_PiiiibPKf: ; @_ZN4vllm3moe10topkGatingILi4ELi64ELi4ELi16ELi32ElfLNS0_11ScoringFuncE1EEEvPKT5_PKbPfiPT4_PiiiibPKf
; %bb.0:
	s_load_dword s24, s[4:5], 0x18
	v_bfe_u32 v1, v0, 10, 10
	v_and_b32_e32 v0, 0x3ff, v0
	s_lshl_b32 s0, s6, 3
	v_lshlrev_b32_e32 v1, 1, v1
	v_lshrrev_b32_e32 v2, 4, v0
	v_add3_u32 v8, s0, v1, v2
	s_waitcnt lgkmcnt(0)
	v_cmp_gt_i32_e32 vcc, s24, v8
	s_and_saveexec_b64 s[0:1], vcc
	s_cbranch_execz .LBB242_42
; %bb.1:
	s_load_dwordx4 s[0:3], s[4:5], 0x0
	s_load_dwordx2 s[16:17], s[4:5], 0x10
	s_mov_b64 s[8:9], -1
	s_mov_b64 s[18:19], -1
	s_waitcnt lgkmcnt(0)
	s_cmp_eq_u64 s[2:3], 0
	s_cbranch_scc1 .LBB242_3
; %bb.2:
	v_ashrrev_i32_e32 v1, 31, v8
	v_mov_b32_e32 v3, s3
	v_add_co_u32_e32 v2, vcc, s2, v8
	v_addc_co_u32_e32 v3, vcc, v3, v1, vcc
	global_load_ubyte v1, v[2:3], off
	s_waitcnt vmcnt(0)
	v_and_b32_e32 v1, 1, v1
	v_cmp_eq_u32_e32 vcc, 1, v1
	s_xor_b64 s[2:3], vcc, -1
	s_orn2_b64 s[18:19], s[2:3], exec
.LBB242_3:
	v_lshlrev_b32_e32 v2, 6, v8
	v_ashrrev_i32_e32 v3, 31, v2
	v_lshlrev_b64 v[2:3], 2, v[2:3]
	v_mov_b32_e32 v1, s1
	v_add_co_u32_e32 v2, vcc, s0, v2
	v_and_b32_e32 v9, 15, v0
	v_addc_co_u32_e32 v1, vcc, v1, v3, vcc
	v_lshlrev_b32_e32 v0, 4, v9
	v_add_co_u32_e32 v0, vcc, v2, v0
	v_addc_co_u32_e32 v1, vcc, 0, v1, vcc
	global_load_dwordx4 v[0:3], v[0:1], off
	v_mov_b32_e32 v4, 0x207
	s_load_dwordx2 s[10:11], s[4:5], 0x40
	v_lshlrev_b32_e32 v10, 2, v9
	s_waitcnt lgkmcnt(0)
	s_cmp_eq_u64 s[10:11], 0
	s_waitcnt vmcnt(0)
	v_mul_f32_e32 v0, 0xbfb8aa3b, v0
	v_mul_f32_e32 v1, 0xbfb8aa3b, v1
	v_exp_f32_e32 v0, v0
	v_exp_f32_e32 v1, v1
	v_mul_f32_e32 v2, 0xbfb8aa3b, v2
	v_mul_f32_e32 v3, 0xbfb8aa3b, v3
	v_exp_f32_e32 v2, v2
	v_exp_f32_e32 v3, v3
	v_pk_add_f32 v[0:1], v[0:1], 1.0 op_sel_hi:[1,0]
	v_div_scale_f32 v5, s[0:1], v1, v1, 1.0
	v_rcp_f32_e32 v16, v5
	v_div_scale_f32 v7, s[0:1], v0, v0, 1.0
	v_pk_add_f32 v[2:3], v[2:3], 1.0 op_sel_hi:[1,0]
	v_rcp_f32_e32 v17, v7
	v_div_scale_f32 v12, s[2:3], v3, v3, 1.0
	v_rcp_f32_e32 v18, v12
	v_fma_f32 v20, -v5, v16, 1.0
	v_div_scale_f32 v6, vcc, 1.0, v1, 1.0
	v_div_scale_f32 v14, s[6:7], v2, v2, 1.0
	v_fmac_f32_e32 v16, v20, v16
	v_rcp_f32_e32 v19, v14
	v_fma_f32 v21, -v7, v17, 1.0
	v_mul_f32_e32 v20, v6, v16
	v_div_scale_f32 v11, s[0:1], 1.0, v0, 1.0
	v_fmac_f32_e32 v17, v21, v17
	v_fma_f32 v24, -v5, v20, v6
	v_fma_f32 v22, -v12, v18, 1.0
	v_mul_f32_e32 v21, v11, v17
	v_fmac_f32_e32 v20, v24, v16
	v_div_scale_f32 v13, s[2:3], 1.0, v3, 1.0
	v_fmac_f32_e32 v18, v22, v18
	v_fma_f32 v25, -v7, v21, v11
	v_fma_f32 v5, -v5, v20, v6
	v_fma_f32 v23, -v14, v19, 1.0
	v_mul_f32_e32 v22, v13, v18
	v_fmac_f32_e32 v21, v25, v17
	v_div_fmas_f32 v5, v5, v16, v20
	v_div_scale_f32 v15, s[6:7], 1.0, v2, 1.0
	v_fmac_f32_e32 v19, v23, v19
	v_fma_f32 v26, -v12, v22, v13
	v_fma_f32 v6, -v7, v21, v11
	v_div_fixup_f32 v1, v5, v1, 1.0
	s_mov_b64 vcc, s[0:1]
	v_mul_f32_e32 v23, v15, v19
	v_fmac_f32_e32 v22, v26, v18
	v_div_fmas_f32 v5, v6, v17, v21
	v_cmp_class_f32_e32 vcc, v1, v4
	v_fma_f32 v27, -v14, v23, v15
	v_fma_f32 v7, -v12, v22, v13
	v_div_fixup_f32 v0, v5, v0, 1.0
	v_cndmask_b32_e64 v1, v1, 0, vcc
	s_mov_b64 vcc, s[2:3]
	v_fmac_f32_e32 v23, v27, v19
	v_div_fmas_f32 v5, v7, v18, v22
	v_cmp_class_f32_e32 vcc, v0, v4
	v_fma_f32 v11, -v14, v23, v15
	v_cndmask_b32_e64 v0, v0, 0, vcc
	s_mov_b64 vcc, s[6:7]
	v_div_fixup_f32 v3, v5, v3, 1.0
	v_div_fmas_f32 v5, v11, v19, v23
	v_div_fixup_f32 v2, v5, v2, 1.0
	v_cmp_class_f32_e32 vcc, v3, v4
	v_cndmask_b32_e64 v3, v3, 0, vcc
	v_cmp_class_f32_e32 vcc, v2, v4
	v_cndmask_b32_e64 v2, v2, 0, vcc
	s_cbranch_scc1 .LBB242_31
; %bb.4:
	v_lshlrev_b32_e32 v4, 2, v10
	global_load_dwordx4 v[4:7], v4, s[10:11]
	s_waitcnt vmcnt(0)
	v_pk_add_f32 v[4:5], v[4:5], v[0:1]
	v_pk_add_f32 v[6:7], v[6:7], v[2:3]
	s_cbranch_execnz .LBB242_6
.LBB242_5:
	v_pk_mov_b32 v[6:7], v[2:3], v[2:3] op_sel:[0,1]
	v_pk_mov_b32 v[4:5], v[0:1], v[0:1] op_sel:[0,1]
.LBB242_6:
	s_load_dwordx4 s[8:11], s[4:5], 0x30
	s_mov_b32 s25, 0
	v_cmp_eq_u32_e64 s[0:1], 0, v9
	s_waitcnt lgkmcnt(0)
	s_bitcmp1_b32 s11, 0
	s_cselect_b64 vcc, -1, 0
	s_cmp_gt_i32 s8, 0
	s_cselect_b64 s[6:7], -1, 0
	s_cmp_lt_i32 s8, 1
	s_cbranch_scc1 .LBB242_32
; %bb.7:
	v_mbcnt_lo_u32_b32 v11, -1, 0
	v_mbcnt_hi_u32_b32 v11, -1, v11
	v_and_b32_e32 v12, 0x70, v11
	v_add_u32_e32 v16, 16, v12
	v_xor_b32_e32 v13, 8, v11
	v_cmp_lt_i32_e64 s[2:3], v13, v16
	v_xor_b32_e32 v14, 4, v11
	s_load_dwordx4 s[12:15], s[4:5], 0x20
	v_cndmask_b32_e64 v13, v11, v13, s[2:3]
	v_cmp_lt_i32_e64 s[2:3], v14, v16
	v_xor_b32_e32 v15, 2, v11
	v_cndmask_b32_e64 v14, v11, v14, s[2:3]
	v_cmp_lt_i32_e64 s[2:3], v15, v16
	v_xor_b32_e32 v17, 1, v11
	v_cndmask_b32_e64 v15, v11, v15, s[2:3]
	v_cmp_lt_i32_e64 s[2:3], v17, v16
	v_cndmask_b32_e64 v11, v11, v17, s[2:3]
	v_mul_lo_u32 v12, v8, s8
	v_lshlrev_b32_e32 v13, 2, v13
	v_lshlrev_b32_e32 v14, 2, v14
	;; [unrolled: 1-line block ×4, first 2 shown]
	v_mov_b32_e32 v11, 0
	v_mov_b32_e32 v17, 0xc61c4000
	;; [unrolled: 1-line block ×3, first 2 shown]
	s_branch .LBB242_10
.LBB242_8:                              ;   in Loop: Header=BB242_10 Depth=1
	s_or_b64 exec, exec, s[4:5]
.LBB242_9:                              ;   in Loop: Header=BB242_10 Depth=1
	s_cmp_eq_u32 s8, s25
	v_add_u32_e32 v18, s24, v18
	s_cbranch_scc1 .LBB242_33
.LBB242_10:                             ; =>This Inner Loop Header: Depth=1
	v_cmp_gt_f32_e64 s[2:3], v5, v4
	v_cndmask_b32_e64 v21, v4, v5, s[2:3]
	v_cndmask_b32_e64 v19, 0, 1, s[2:3]
	;; [unrolled: 1-line block ×3, first 2 shown]
	v_cmp_gt_f32_e64 s[2:3], v6, v21
	v_cndmask_b32_e64 v21, v21, v6, s[2:3]
	v_cndmask_b32_e64 v19, v19, 2, s[2:3]
	;; [unrolled: 1-line block ×3, first 2 shown]
	v_cmp_gt_f32_e64 s[2:3], v7, v21
	v_cndmask_b32_e64 v19, v19, 3, s[2:3]
	v_cndmask_b32_e64 v21, v21, v7, s[2:3]
	v_or_b32_e32 v19, v10, v19
	v_cndmask_b32_e64 v20, v20, v3, s[2:3]
	s_waitcnt lgkmcnt(0)
	ds_bpermute_b32 v22, v13, v21
	ds_bpermute_b32 v24, v13, v20
	;; [unrolled: 1-line block ×3, first 2 shown]
	s_waitcnt lgkmcnt(0)
	v_cmp_lt_f32_e64 s[20:21], v21, v22
	v_cmp_nlt_f32_e64 s[2:3], v21, v22
	s_and_saveexec_b64 s[22:23], s[2:3]
; %bb.11:                               ;   in Loop: Header=BB242_10 Depth=1
	v_cmp_eq_f32_e64 s[2:3], v21, v22
	v_cmp_lt_i32_e64 s[4:5], v23, v19
	s_and_b64 s[2:3], s[2:3], s[4:5]
	s_andn2_b64 s[4:5], s[20:21], exec
	s_and_b64 s[2:3], s[2:3], exec
	s_or_b64 s[20:21], s[4:5], s[2:3]
; %bb.12:                               ;   in Loop: Header=BB242_10 Depth=1
	s_or_b64 exec, exec, s[22:23]
	s_and_saveexec_b64 s[2:3], s[20:21]
; %bb.13:                               ;   in Loop: Header=BB242_10 Depth=1
	v_mov_b32_e32 v20, v24
	v_mov_b32_e32 v21, v22
	v_mov_b32_e32 v19, v23
; %bb.14:                               ;   in Loop: Header=BB242_10 Depth=1
	s_or_b64 exec, exec, s[2:3]
	ds_bpermute_b32 v22, v14, v21
	ds_bpermute_b32 v24, v14, v20
	ds_bpermute_b32 v23, v14, v19
	s_waitcnt lgkmcnt(2)
	v_cmp_lt_f32_e64 s[20:21], v21, v22
	v_cmp_nlt_f32_e64 s[2:3], v21, v22
	s_and_saveexec_b64 s[22:23], s[2:3]
	s_cbranch_execz .LBB242_16
; %bb.15:                               ;   in Loop: Header=BB242_10 Depth=1
	v_cmp_eq_f32_e64 s[2:3], v21, v22
	s_waitcnt lgkmcnt(0)
	v_cmp_lt_i32_e64 s[4:5], v23, v19
	s_and_b64 s[2:3], s[2:3], s[4:5]
	s_andn2_b64 s[4:5], s[20:21], exec
	s_and_b64 s[2:3], s[2:3], exec
	s_or_b64 s[20:21], s[4:5], s[2:3]
.LBB242_16:                             ;   in Loop: Header=BB242_10 Depth=1
	s_or_b64 exec, exec, s[22:23]
	s_and_saveexec_b64 s[2:3], s[20:21]
	s_cbranch_execz .LBB242_18
; %bb.17:                               ;   in Loop: Header=BB242_10 Depth=1
	s_waitcnt lgkmcnt(1)
	v_mov_b32_e32 v20, v24
	v_mov_b32_e32 v21, v22
	s_waitcnt lgkmcnt(0)
	v_mov_b32_e32 v19, v23
.LBB242_18:                             ;   in Loop: Header=BB242_10 Depth=1
	s_or_b64 exec, exec, s[2:3]
	ds_bpermute_b32 v22, v15, v21
	s_waitcnt lgkmcnt(2)
	ds_bpermute_b32 v24, v15, v20
	s_waitcnt lgkmcnt(2)
	;; [unrolled: 2-line block ×3, first 2 shown]
	v_cmp_lt_f32_e64 s[20:21], v21, v22
	v_cmp_nlt_f32_e64 s[2:3], v21, v22
	s_and_saveexec_b64 s[22:23], s[2:3]
	s_cbranch_execz .LBB242_20
; %bb.19:                               ;   in Loop: Header=BB242_10 Depth=1
	v_cmp_eq_f32_e64 s[2:3], v21, v22
	s_waitcnt lgkmcnt(0)
	v_cmp_lt_i32_e64 s[4:5], v23, v19
	s_and_b64 s[2:3], s[2:3], s[4:5]
	s_andn2_b64 s[4:5], s[20:21], exec
	s_and_b64 s[2:3], s[2:3], exec
	s_or_b64 s[20:21], s[4:5], s[2:3]
.LBB242_20:                             ;   in Loop: Header=BB242_10 Depth=1
	s_or_b64 exec, exec, s[22:23]
	s_and_saveexec_b64 s[2:3], s[20:21]
	s_cbranch_execz .LBB242_22
; %bb.21:                               ;   in Loop: Header=BB242_10 Depth=1
	s_waitcnt lgkmcnt(1)
	v_mov_b32_e32 v20, v24
	v_mov_b32_e32 v21, v22
	s_waitcnt lgkmcnt(0)
	v_mov_b32_e32 v19, v23
.LBB242_22:                             ;   in Loop: Header=BB242_10 Depth=1
	s_or_b64 exec, exec, s[2:3]
	s_waitcnt lgkmcnt(1)
	ds_bpermute_b32 v24, v16, v21
	ds_bpermute_b32 v22, v16, v20
	s_waitcnt lgkmcnt(2)
	ds_bpermute_b32 v23, v16, v19
	s_waitcnt lgkmcnt(2)
	v_cmp_lt_f32_e64 s[20:21], v21, v24
	v_cmp_nlt_f32_e64 s[2:3], v21, v24
	s_and_saveexec_b64 s[22:23], s[2:3]
	s_cbranch_execnz .LBB242_26
; %bb.23:                               ;   in Loop: Header=BB242_10 Depth=1
	s_or_b64 exec, exec, s[22:23]
	s_and_saveexec_b64 s[2:3], s[20:21]
	s_cbranch_execnz .LBB242_27
.LBB242_24:                             ;   in Loop: Header=BB242_10 Depth=1
	s_or_b64 exec, exec, s[2:3]
	s_and_saveexec_b64 s[20:21], s[0:1]
	s_cbranch_execnz .LBB242_28
.LBB242_25:                             ;   in Loop: Header=BB242_10 Depth=1
	s_or_b64 exec, exec, s[20:21]
	s_add_i32 s25, s25, 1
	s_cmp_ge_i32 s25, s8
	s_cbranch_scc1 .LBB242_9
	s_branch .LBB242_29
.LBB242_26:                             ;   in Loop: Header=BB242_10 Depth=1
	v_cmp_eq_f32_e64 s[2:3], v21, v24
	s_waitcnt lgkmcnt(0)
	v_cmp_lt_i32_e64 s[4:5], v23, v19
	s_and_b64 s[2:3], s[2:3], s[4:5]
	s_andn2_b64 s[4:5], s[20:21], exec
	s_and_b64 s[2:3], s[2:3], exec
	s_or_b64 s[20:21], s[4:5], s[2:3]
	s_or_b64 exec, exec, s[22:23]
	s_and_saveexec_b64 s[2:3], s[20:21]
	s_cbranch_execz .LBB242_24
.LBB242_27:                             ;   in Loop: Header=BB242_10 Depth=1
	s_waitcnt lgkmcnt(0)
	v_mov_b32_e32 v19, v23
	v_mov_b32_e32 v20, v22
	s_or_b64 exec, exec, s[2:3]
	s_and_saveexec_b64 s[20:21], s[0:1]
	s_cbranch_execz .LBB242_25
.LBB242_28:                             ;   in Loop: Header=BB242_10 Depth=1
	s_waitcnt lgkmcnt(1)
	v_add_u32_e32 v22, s25, v12
	s_waitcnt lgkmcnt(0)
	v_ashrrev_i32_e32 v23, 31, v22
	v_cmp_le_i32_e64 s[2:3], s9, v19
	v_cmp_gt_i32_e64 s[4:5], s10, v19
	v_lshlrev_b64 v[24:25], 2, v[22:23]
	s_and_b64 s[4:5], s[2:3], s[4:5]
	v_mov_b32_e32 v21, s17
	v_add_co_u32_e64 v26, s[2:3], s16, v24
	v_addc_co_u32_e64 v27, s[2:3], v21, v25, s[2:3]
	v_subrev_u32_e32 v21, s9, v19
	global_store_dword v[26:27], v20, off
	v_ashrrev_i32_e32 v26, 31, v21
	s_and_b64 s[2:3], s[18:19], s[4:5]
	v_lshlrev_b64 v[22:23], 3, v[22:23]
	v_cndmask_b32_e64 v27, 0, v26, s[2:3]
	v_cndmask_b32_e64 v26, 64, v21, s[2:3]
	v_mov_b32_e32 v21, s13
	v_add_co_u32_e64 v22, s[2:3], s12, v22
	v_addc_co_u32_e64 v23, s[2:3], v21, v23, s[2:3]
	global_store_dwordx2 v[22:23], v[26:27], off
	v_mov_b32_e32 v21, s15
	v_add_co_u32_e64 v22, s[2:3], s14, v24
	v_add_f32_e32 v20, v11, v20
	v_addc_co_u32_e64 v23, s[2:3], v21, v25, s[2:3]
	v_cndmask_b32_e32 v11, v11, v20, vcc
	global_store_dword v[22:23], v18, off
	s_or_b64 exec, exec, s[20:21]
	s_add_i32 s25, s25, 1
	s_cmp_ge_i32 s25, s8
	s_cbranch_scc1 .LBB242_9
.LBB242_29:                             ;   in Loop: Header=BB242_10 Depth=1
	v_ashrrev_i32_e32 v21, 31, v19
	v_lshrrev_b32_e32 v20, 30, v21
	s_waitcnt lgkmcnt(1)
	v_add_u32_e32 v22, v19, v20
	v_ashrrev_i32_e32 v20, 2, v22
	v_ashrrev_i32_e32 v22, 31, v22
	v_lshrrev_b32_e32 v22, 28, v22
	v_add_u32_e32 v22, v20, v22
	v_and_b32_e32 v22, -16, v22
	v_sub_u32_e32 v22, v20, v22
	v_cmp_eq_u32_e64 s[2:3], v9, v22
	s_and_saveexec_b64 s[4:5], s[2:3]
	s_cbranch_execz .LBB242_8
; %bb.30:                               ;   in Loop: Header=BB242_10 Depth=1
	v_lshrrev_b32_e32 v21, 26, v21
	v_add_u32_e32 v21, v19, v21
	v_lshlrev_b32_e32 v20, 2, v20
	v_ashrrev_i32_e32 v21, 6, v21
	v_sub_u32_e32 v19, v19, v20
	v_lshl_add_u32 v19, v21, 2, v19
	v_cmp_ne_u32_e64 s[2:3], 3, v19
	v_cndmask_b32_e64 v7, v17, v7, s[2:3]
	v_cmp_ne_u32_e64 s[2:3], 2, v19
	v_cndmask_b32_e64 v6, v17, v6, s[2:3]
	;; [unrolled: 2-line block ×4, first 2 shown]
	s_branch .LBB242_8
.LBB242_31:
                                        ; implicit-def: $vgpr4_vgpr5_vgpr6_vgpr7
	s_andn2_b64 vcc, exec, s[8:9]
	s_cbranch_vccz .LBB242_5
	s_branch .LBB242_6
.LBB242_32:
	v_mov_b32_e32 v11, 0
.LBB242_33:
	v_cmp_eq_u32_e64 s[0:1], 0, v9
	s_and_b64 s[0:1], s[0:1], vcc
	s_and_b64 exec, exec, s[0:1]
	s_cbranch_execz .LBB242_42
; %bb.34:
	s_andn2_b64 vcc, exec, s[6:7]
	s_cbranch_vccnz .LBB242_42
; %bb.35:
	v_cmp_lt_f32_e32 vcc, 0, v11
	s_mov_b32 s2, 0
	v_cndmask_b32_e32 v0, 1.0, v11, vcc
	v_mul_lo_u32 v4, v8, s8
	s_cmp_eq_u32 s8, 1
	s_mov_b64 s[0:1], -1
	s_cbranch_scc1 .LBB242_39
; %bb.36:
	s_and_b32 s2, s8, 0x7ffffffe
	v_mov_b32_e32 v1, v0
	v_mov_b32_e32 v5, s17
	s_mov_b32 s3, s2
	v_mov_b32_e32 v2, v4
.LBB242_37:                             ; =>This Inner Loop Header: Depth=1
	v_ashrrev_i32_e32 v3, 31, v2
	v_lshlrev_b64 v[6:7], 2, v[2:3]
	v_add_co_u32_e32 v6, vcc, s16, v6
	v_addc_co_u32_e32 v7, vcc, v5, v7, vcc
	global_load_dwordx2 v[8:9], v[6:7], off
	s_add_i32 s3, s3, -2
	s_cmp_lg_u32 s3, 0
	v_add_u32_e32 v2, 2, v2
	s_waitcnt vmcnt(0)
	v_div_scale_f32 v3, s[0:1], v1, v1, v9
	v_div_scale_f32 v11, s[0:1], v0, v0, v8
	v_rcp_f32_e32 v12, v3
	v_rcp_f32_e32 v13, v11
	v_div_scale_f32 v10, vcc, v9, v1, v9
	v_fma_f32 v15, -v3, v12, 1.0
	v_fma_f32 v16, -v11, v13, 1.0
	v_fmac_f32_e32 v12, v15, v12
	v_div_scale_f32 v14, s[0:1], v8, v0, v8
	v_fmac_f32_e32 v13, v16, v13
	v_mul_f32_e32 v15, v10, v12
	v_mul_f32_e32 v16, v14, v13
	v_fma_f32 v17, -v3, v15, v10
	v_fma_f32 v18, -v11, v16, v14
	v_fmac_f32_e32 v15, v17, v12
	v_fmac_f32_e32 v16, v18, v13
	v_fma_f32 v3, -v3, v15, v10
	v_fma_f32 v10, -v11, v16, v14
	v_div_fmas_f32 v3, v3, v12, v15
	s_mov_b64 vcc, s[0:1]
	v_div_fixup_f32 v9, v3, v1, v9
	v_div_fmas_f32 v3, v10, v13, v16
	v_div_fixup_f32 v8, v3, v0, v8
	global_store_dwordx2 v[6:7], v[8:9], off
	s_cbranch_scc1 .LBB242_37
; %bb.38:
	s_cmp_lg_u32 s2, s8
	s_cselect_b64 s[0:1], -1, 0
.LBB242_39:
	s_and_b64 vcc, exec, s[0:1]
	s_cbranch_vccz .LBB242_42
; %bb.40:
	v_ashrrev_i32_e32 v1, 31, v4
	v_add_co_u32_e32 v2, vcc, s2, v4
	v_addc_co_u32_e32 v3, vcc, 0, v1, vcc
	v_lshlrev_b64 v[2:3], 2, v[2:3]
	v_mov_b32_e32 v1, s17
	v_add_co_u32_e32 v2, vcc, s16, v2
	s_sub_i32 s0, s8, s2
	v_addc_co_u32_e32 v3, vcc, v1, v3, vcc
.LBB242_41:                             ; =>This Inner Loop Header: Depth=1
	global_load_dword v1, v[2:3], off
	s_add_i32 s0, s0, -1
	s_cmp_lg_u32 s0, 0
	s_waitcnt vmcnt(0)
	v_div_scale_f32 v4, s[2:3], v0, v0, v1
	v_rcp_f32_e32 v5, v4
	v_div_scale_f32 v6, vcc, v1, v0, v1
	v_fma_f32 v7, -v4, v5, 1.0
	v_fmac_f32_e32 v5, v7, v5
	v_mul_f32_e32 v7, v6, v5
	v_fma_f32 v8, -v4, v7, v6
	v_fmac_f32_e32 v7, v8, v5
	v_fma_f32 v4, -v4, v7, v6
	v_div_fmas_f32 v4, v4, v5, v7
	v_div_fixup_f32 v1, v4, v0, v1
	global_store_dword v[2:3], v1, off
	v_add_co_u32_e32 v2, vcc, 4, v2
	v_addc_co_u32_e32 v3, vcc, 0, v3, vcc
	s_cbranch_scc1 .LBB242_41
.LBB242_42:
	s_endpgm
	.section	.rodata,"a",@progbits
	.p2align	6, 0x0
	.amdhsa_kernel _ZN4vllm3moe10topkGatingILi4ELi64ELi4ELi16ELi32ElfLNS0_11ScoringFuncE1EEEvPKT5_PKbPfiPT4_PiiiibPKf
		.amdhsa_group_segment_fixed_size 0
		.amdhsa_private_segment_fixed_size 0
		.amdhsa_kernarg_size 72
		.amdhsa_user_sgpr_count 6
		.amdhsa_user_sgpr_private_segment_buffer 1
		.amdhsa_user_sgpr_dispatch_ptr 0
		.amdhsa_user_sgpr_queue_ptr 0
		.amdhsa_user_sgpr_kernarg_segment_ptr 1
		.amdhsa_user_sgpr_dispatch_id 0
		.amdhsa_user_sgpr_flat_scratch_init 0
		.amdhsa_user_sgpr_kernarg_preload_length 0
		.amdhsa_user_sgpr_kernarg_preload_offset 0
		.amdhsa_user_sgpr_private_segment_size 0
		.amdhsa_uses_dynamic_stack 0
		.amdhsa_system_sgpr_private_segment_wavefront_offset 0
		.amdhsa_system_sgpr_workgroup_id_x 1
		.amdhsa_system_sgpr_workgroup_id_y 0
		.amdhsa_system_sgpr_workgroup_id_z 0
		.amdhsa_system_sgpr_workgroup_info 0
		.amdhsa_system_vgpr_workitem_id 1
		.amdhsa_next_free_vgpr 28
		.amdhsa_next_free_sgpr 26
		.amdhsa_accum_offset 28
		.amdhsa_reserve_vcc 1
		.amdhsa_reserve_flat_scratch 0
		.amdhsa_float_round_mode_32 0
		.amdhsa_float_round_mode_16_64 0
		.amdhsa_float_denorm_mode_32 3
		.amdhsa_float_denorm_mode_16_64 3
		.amdhsa_dx10_clamp 1
		.amdhsa_ieee_mode 1
		.amdhsa_fp16_overflow 0
		.amdhsa_tg_split 0
		.amdhsa_exception_fp_ieee_invalid_op 0
		.amdhsa_exception_fp_denorm_src 0
		.amdhsa_exception_fp_ieee_div_zero 0
		.amdhsa_exception_fp_ieee_overflow 0
		.amdhsa_exception_fp_ieee_underflow 0
		.amdhsa_exception_fp_ieee_inexact 0
		.amdhsa_exception_int_div_zero 0
	.end_amdhsa_kernel
	.section	.text._ZN4vllm3moe10topkGatingILi4ELi64ELi4ELi16ELi32ElfLNS0_11ScoringFuncE1EEEvPKT5_PKbPfiPT4_PiiiibPKf,"axG",@progbits,_ZN4vllm3moe10topkGatingILi4ELi64ELi4ELi16ELi32ElfLNS0_11ScoringFuncE1EEEvPKT5_PKbPfiPT4_PiiiibPKf,comdat
.Lfunc_end242:
	.size	_ZN4vllm3moe10topkGatingILi4ELi64ELi4ELi16ELi32ElfLNS0_11ScoringFuncE1EEEvPKT5_PKbPfiPT4_PiiiibPKf, .Lfunc_end242-_ZN4vllm3moe10topkGatingILi4ELi64ELi4ELi16ELi32ElfLNS0_11ScoringFuncE1EEEvPKT5_PKbPfiPT4_PiiiibPKf
                                        ; -- End function
	.section	.AMDGPU.csdata,"",@progbits
; Kernel info:
; codeLenInByte = 2368
; NumSgprs: 30
; NumVgprs: 28
; NumAgprs: 0
; TotalNumVgprs: 28
; ScratchSize: 0
; MemoryBound: 0
; FloatMode: 240
; IeeeMode: 1
; LDSByteSize: 0 bytes/workgroup (compile time only)
; SGPRBlocks: 3
; VGPRBlocks: 3
; NumSGPRsForWavesPerEU: 30
; NumVGPRsForWavesPerEU: 28
; AccumOffset: 28
; Occupancy: 8
; WaveLimiterHint : 0
; COMPUTE_PGM_RSRC2:SCRATCH_EN: 0
; COMPUTE_PGM_RSRC2:USER_SGPR: 6
; COMPUTE_PGM_RSRC2:TRAP_HANDLER: 0
; COMPUTE_PGM_RSRC2:TGID_X_EN: 1
; COMPUTE_PGM_RSRC2:TGID_Y_EN: 0
; COMPUTE_PGM_RSRC2:TGID_Z_EN: 0
; COMPUTE_PGM_RSRC2:TIDIG_COMP_CNT: 1
; COMPUTE_PGM_RSRC3_GFX90A:ACCUM_OFFSET: 6
; COMPUTE_PGM_RSRC3_GFX90A:TG_SPLIT: 0
	.section	.text._ZN4vllm3moe10topkGatingILi4ELi128ELi4ELi16ELi64ElfLNS0_11ScoringFuncE1EEEvPKT5_PKbPfiPT4_PiiiibPKf,"axG",@progbits,_ZN4vllm3moe10topkGatingILi4ELi128ELi4ELi16ELi64ElfLNS0_11ScoringFuncE1EEEvPKT5_PKbPfiPT4_PiiiibPKf,comdat
	.protected	_ZN4vllm3moe10topkGatingILi4ELi128ELi4ELi16ELi64ElfLNS0_11ScoringFuncE1EEEvPKT5_PKbPfiPT4_PiiiibPKf ; -- Begin function _ZN4vllm3moe10topkGatingILi4ELi128ELi4ELi16ELi64ElfLNS0_11ScoringFuncE1EEEvPKT5_PKbPfiPT4_PiiiibPKf
	.globl	_ZN4vllm3moe10topkGatingILi4ELi128ELi4ELi16ELi64ElfLNS0_11ScoringFuncE1EEEvPKT5_PKbPfiPT4_PiiiibPKf
	.p2align	8
	.type	_ZN4vllm3moe10topkGatingILi4ELi128ELi4ELi16ELi64ElfLNS0_11ScoringFuncE1EEEvPKT5_PKbPfiPT4_PiiiibPKf,@function
_ZN4vllm3moe10topkGatingILi4ELi128ELi4ELi16ELi64ElfLNS0_11ScoringFuncE1EEEvPKT5_PKbPfiPT4_PiiiibPKf: ; @_ZN4vllm3moe10topkGatingILi4ELi128ELi4ELi16ELi64ElfLNS0_11ScoringFuncE1EEEvPKT5_PKbPfiPT4_PiiiibPKf
; %bb.0:
	s_load_dword s24, s[4:5], 0x18
	v_bfe_u32 v1, v0, 10, 10
	v_and_b32_e32 v0, 0x3ff, v0
	s_lshl_b32 s0, s6, 3
	v_lshlrev_b32_e32 v1, 1, v1
	v_lshrrev_b32_e32 v2, 5, v0
	v_add3_u32 v8, s0, v1, v2
	s_waitcnt lgkmcnt(0)
	v_cmp_gt_i32_e32 vcc, s24, v8
	s_and_saveexec_b64 s[0:1], vcc
	s_cbranch_execz .LBB243_46
; %bb.1:
	s_load_dwordx4 s[0:3], s[4:5], 0x0
	s_load_dwordx2 s[16:17], s[4:5], 0x10
	s_mov_b64 s[8:9], -1
	s_mov_b64 s[18:19], -1
	s_waitcnt lgkmcnt(0)
	s_cmp_eq_u64 s[2:3], 0
	s_cbranch_scc1 .LBB243_3
; %bb.2:
	v_ashrrev_i32_e32 v1, 31, v8
	v_mov_b32_e32 v3, s3
	v_add_co_u32_e32 v2, vcc, s2, v8
	v_addc_co_u32_e32 v3, vcc, v3, v1, vcc
	global_load_ubyte v1, v[2:3], off
	s_waitcnt vmcnt(0)
	v_and_b32_e32 v1, 1, v1
	v_cmp_eq_u32_e32 vcc, 1, v1
	s_xor_b64 s[2:3], vcc, -1
	s_orn2_b64 s[18:19], s[2:3], exec
.LBB243_3:
	v_lshlrev_b32_e32 v2, 7, v8
	v_ashrrev_i32_e32 v3, 31, v2
	v_lshlrev_b64 v[2:3], 2, v[2:3]
	v_mov_b32_e32 v1, s1
	v_add_co_u32_e32 v2, vcc, s0, v2
	v_and_b32_e32 v9, 31, v0
	v_addc_co_u32_e32 v1, vcc, v1, v3, vcc
	v_lshlrev_b32_e32 v0, 4, v9
	v_add_co_u32_e32 v0, vcc, v2, v0
	v_addc_co_u32_e32 v1, vcc, 0, v1, vcc
	global_load_dwordx4 v[0:3], v[0:1], off
	v_mov_b32_e32 v4, 0x207
	s_load_dwordx2 s[10:11], s[4:5], 0x40
	v_lshlrev_b32_e32 v10, 2, v9
	s_waitcnt lgkmcnt(0)
	s_cmp_eq_u64 s[10:11], 0
	s_waitcnt vmcnt(0)
	v_mul_f32_e32 v0, 0xbfb8aa3b, v0
	v_mul_f32_e32 v1, 0xbfb8aa3b, v1
	v_exp_f32_e32 v0, v0
	v_exp_f32_e32 v1, v1
	v_mul_f32_e32 v2, 0xbfb8aa3b, v2
	v_mul_f32_e32 v3, 0xbfb8aa3b, v3
	v_exp_f32_e32 v2, v2
	v_exp_f32_e32 v3, v3
	v_pk_add_f32 v[0:1], v[0:1], 1.0 op_sel_hi:[1,0]
	v_div_scale_f32 v5, s[0:1], v1, v1, 1.0
	v_rcp_f32_e32 v16, v5
	v_div_scale_f32 v7, s[0:1], v0, v0, 1.0
	v_pk_add_f32 v[2:3], v[2:3], 1.0 op_sel_hi:[1,0]
	v_rcp_f32_e32 v17, v7
	v_div_scale_f32 v12, s[2:3], v3, v3, 1.0
	v_rcp_f32_e32 v18, v12
	v_fma_f32 v20, -v5, v16, 1.0
	v_div_scale_f32 v6, vcc, 1.0, v1, 1.0
	v_div_scale_f32 v14, s[6:7], v2, v2, 1.0
	v_fmac_f32_e32 v16, v20, v16
	v_rcp_f32_e32 v19, v14
	v_fma_f32 v21, -v7, v17, 1.0
	v_mul_f32_e32 v20, v6, v16
	v_div_scale_f32 v11, s[0:1], 1.0, v0, 1.0
	v_fmac_f32_e32 v17, v21, v17
	v_fma_f32 v24, -v5, v20, v6
	v_fma_f32 v22, -v12, v18, 1.0
	v_mul_f32_e32 v21, v11, v17
	v_fmac_f32_e32 v20, v24, v16
	v_div_scale_f32 v13, s[2:3], 1.0, v3, 1.0
	v_fmac_f32_e32 v18, v22, v18
	v_fma_f32 v25, -v7, v21, v11
	v_fma_f32 v5, -v5, v20, v6
	v_fma_f32 v23, -v14, v19, 1.0
	v_mul_f32_e32 v22, v13, v18
	v_fmac_f32_e32 v21, v25, v17
	v_div_fmas_f32 v5, v5, v16, v20
	v_div_scale_f32 v15, s[6:7], 1.0, v2, 1.0
	v_fmac_f32_e32 v19, v23, v19
	v_fma_f32 v26, -v12, v22, v13
	v_fma_f32 v6, -v7, v21, v11
	v_div_fixup_f32 v1, v5, v1, 1.0
	s_mov_b64 vcc, s[0:1]
	v_mul_f32_e32 v23, v15, v19
	v_fmac_f32_e32 v22, v26, v18
	v_div_fmas_f32 v5, v6, v17, v21
	v_cmp_class_f32_e32 vcc, v1, v4
	v_fma_f32 v27, -v14, v23, v15
	v_fma_f32 v7, -v12, v22, v13
	v_div_fixup_f32 v0, v5, v0, 1.0
	v_cndmask_b32_e64 v1, v1, 0, vcc
	s_mov_b64 vcc, s[2:3]
	v_fmac_f32_e32 v23, v27, v19
	v_div_fmas_f32 v5, v7, v18, v22
	v_cmp_class_f32_e32 vcc, v0, v4
	v_fma_f32 v11, -v14, v23, v15
	v_cndmask_b32_e64 v0, v0, 0, vcc
	s_mov_b64 vcc, s[6:7]
	v_div_fixup_f32 v3, v5, v3, 1.0
	v_div_fmas_f32 v5, v11, v19, v23
	v_div_fixup_f32 v2, v5, v2, 1.0
	v_cmp_class_f32_e32 vcc, v3, v4
	v_cndmask_b32_e64 v3, v3, 0, vcc
	v_cmp_class_f32_e32 vcc, v2, v4
	v_cndmask_b32_e64 v2, v2, 0, vcc
	s_cbranch_scc1 .LBB243_35
; %bb.4:
	v_lshlrev_b32_e32 v4, 2, v10
	global_load_dwordx4 v[4:7], v4, s[10:11]
	s_waitcnt vmcnt(0)
	v_pk_add_f32 v[4:5], v[4:5], v[0:1]
	v_pk_add_f32 v[6:7], v[6:7], v[2:3]
	s_cbranch_execnz .LBB243_6
.LBB243_5:
	v_pk_mov_b32 v[6:7], v[2:3], v[2:3] op_sel:[0,1]
	v_pk_mov_b32 v[4:5], v[0:1], v[0:1] op_sel:[0,1]
.LBB243_6:
	s_load_dwordx4 s[8:11], s[4:5], 0x30
	s_mov_b32 s25, 0
	v_cmp_eq_u32_e64 s[0:1], 0, v9
	s_waitcnt lgkmcnt(0)
	s_bitcmp1_b32 s11, 0
	s_cselect_b64 vcc, -1, 0
	s_cmp_gt_i32 s8, 0
	s_cselect_b64 s[6:7], -1, 0
	s_cmp_lt_i32 s8, 1
	s_cbranch_scc1 .LBB243_36
; %bb.7:
	v_mbcnt_lo_u32_b32 v11, -1, 0
	v_mbcnt_hi_u32_b32 v11, -1, v11
	v_and_b32_e32 v12, 0x60, v11
	v_add_u32_e32 v17, 32, v12
	v_xor_b32_e32 v13, 16, v11
	v_cmp_lt_i32_e64 s[2:3], v13, v17
	v_xor_b32_e32 v14, 8, v11
	v_cndmask_b32_e64 v13, v11, v13, s[2:3]
	v_cmp_lt_i32_e64 s[2:3], v14, v17
	v_xor_b32_e32 v15, 4, v11
	s_load_dwordx4 s[12:15], s[4:5], 0x20
	v_cndmask_b32_e64 v14, v11, v14, s[2:3]
	v_cmp_lt_i32_e64 s[2:3], v15, v17
	v_xor_b32_e32 v16, 2, v11
	v_cndmask_b32_e64 v15, v11, v15, s[2:3]
	v_cmp_lt_i32_e64 s[2:3], v16, v17
	v_xor_b32_e32 v18, 1, v11
	v_cndmask_b32_e64 v16, v11, v16, s[2:3]
	v_cmp_lt_i32_e64 s[2:3], v18, v17
	v_cndmask_b32_e64 v11, v11, v18, s[2:3]
	v_mul_lo_u32 v12, v8, s8
	v_lshlrev_b32_e32 v13, 2, v13
	v_lshlrev_b32_e32 v14, 2, v14
	;; [unrolled: 1-line block ×5, first 2 shown]
	v_mov_b32_e32 v11, 0
	v_mov_b32_e32 v18, 0x80
	v_mov_b32_e32 v19, 0xc61c4000
	v_mov_b32_e32 v20, v8
	s_branch .LBB243_10
.LBB243_8:                              ;   in Loop: Header=BB243_10 Depth=1
	s_or_b64 exec, exec, s[4:5]
.LBB243_9:                              ;   in Loop: Header=BB243_10 Depth=1
	s_cmp_eq_u32 s8, s25
	v_add_u32_e32 v20, s24, v20
	s_cbranch_scc1 .LBB243_37
.LBB243_10:                             ; =>This Inner Loop Header: Depth=1
	v_cmp_gt_f32_e64 s[2:3], v5, v4
	v_cndmask_b32_e64 v23, v4, v5, s[2:3]
	v_cndmask_b32_e64 v21, 0, 1, s[2:3]
	;; [unrolled: 1-line block ×3, first 2 shown]
	v_cmp_gt_f32_e64 s[2:3], v6, v23
	v_cndmask_b32_e64 v23, v23, v6, s[2:3]
	v_cndmask_b32_e64 v21, v21, 2, s[2:3]
	;; [unrolled: 1-line block ×3, first 2 shown]
	v_cmp_gt_f32_e64 s[2:3], v7, v23
	v_cndmask_b32_e64 v21, v21, 3, s[2:3]
	v_cndmask_b32_e64 v23, v23, v7, s[2:3]
	v_or_b32_e32 v21, v10, v21
	v_cndmask_b32_e64 v22, v22, v3, s[2:3]
	s_waitcnt lgkmcnt(0)
	ds_bpermute_b32 v24, v13, v23
	ds_bpermute_b32 v26, v13, v22
	;; [unrolled: 1-line block ×3, first 2 shown]
	s_waitcnt lgkmcnt(0)
	v_cmp_lt_f32_e64 s[20:21], v23, v24
	v_cmp_nlt_f32_e64 s[2:3], v23, v24
	s_and_saveexec_b64 s[22:23], s[2:3]
; %bb.11:                               ;   in Loop: Header=BB243_10 Depth=1
	v_cmp_eq_f32_e64 s[2:3], v23, v24
	v_cmp_lt_i32_e64 s[4:5], v25, v21
	s_and_b64 s[2:3], s[2:3], s[4:5]
	s_andn2_b64 s[4:5], s[20:21], exec
	s_and_b64 s[2:3], s[2:3], exec
	s_or_b64 s[20:21], s[4:5], s[2:3]
; %bb.12:                               ;   in Loop: Header=BB243_10 Depth=1
	s_or_b64 exec, exec, s[22:23]
	s_and_saveexec_b64 s[2:3], s[20:21]
; %bb.13:                               ;   in Loop: Header=BB243_10 Depth=1
	v_mov_b32_e32 v22, v26
	v_mov_b32_e32 v23, v24
	;; [unrolled: 1-line block ×3, first 2 shown]
; %bb.14:                               ;   in Loop: Header=BB243_10 Depth=1
	s_or_b64 exec, exec, s[2:3]
	ds_bpermute_b32 v24, v14, v23
	ds_bpermute_b32 v26, v14, v22
	;; [unrolled: 1-line block ×3, first 2 shown]
	s_waitcnt lgkmcnt(2)
	v_cmp_lt_f32_e64 s[20:21], v23, v24
	v_cmp_nlt_f32_e64 s[2:3], v23, v24
	s_and_saveexec_b64 s[22:23], s[2:3]
	s_cbranch_execz .LBB243_16
; %bb.15:                               ;   in Loop: Header=BB243_10 Depth=1
	v_cmp_eq_f32_e64 s[2:3], v23, v24
	s_waitcnt lgkmcnt(0)
	v_cmp_lt_i32_e64 s[4:5], v25, v21
	s_and_b64 s[2:3], s[2:3], s[4:5]
	s_andn2_b64 s[4:5], s[20:21], exec
	s_and_b64 s[2:3], s[2:3], exec
	s_or_b64 s[20:21], s[4:5], s[2:3]
.LBB243_16:                             ;   in Loop: Header=BB243_10 Depth=1
	s_or_b64 exec, exec, s[22:23]
	s_and_saveexec_b64 s[2:3], s[20:21]
	s_cbranch_execz .LBB243_18
; %bb.17:                               ;   in Loop: Header=BB243_10 Depth=1
	s_waitcnt lgkmcnt(1)
	v_mov_b32_e32 v22, v26
	v_mov_b32_e32 v23, v24
	s_waitcnt lgkmcnt(0)
	v_mov_b32_e32 v21, v25
.LBB243_18:                             ;   in Loop: Header=BB243_10 Depth=1
	s_or_b64 exec, exec, s[2:3]
	ds_bpermute_b32 v24, v15, v23
	s_waitcnt lgkmcnt(2)
	ds_bpermute_b32 v26, v15, v22
	s_waitcnt lgkmcnt(2)
	;; [unrolled: 2-line block ×3, first 2 shown]
	v_cmp_lt_f32_e64 s[20:21], v23, v24
	v_cmp_nlt_f32_e64 s[2:3], v23, v24
	s_and_saveexec_b64 s[22:23], s[2:3]
	s_cbranch_execz .LBB243_20
; %bb.19:                               ;   in Loop: Header=BB243_10 Depth=1
	v_cmp_eq_f32_e64 s[2:3], v23, v24
	s_waitcnt lgkmcnt(0)
	v_cmp_lt_i32_e64 s[4:5], v25, v21
	s_and_b64 s[2:3], s[2:3], s[4:5]
	s_andn2_b64 s[4:5], s[20:21], exec
	s_and_b64 s[2:3], s[2:3], exec
	s_or_b64 s[20:21], s[4:5], s[2:3]
.LBB243_20:                             ;   in Loop: Header=BB243_10 Depth=1
	s_or_b64 exec, exec, s[22:23]
	s_and_saveexec_b64 s[2:3], s[20:21]
	s_cbranch_execz .LBB243_22
; %bb.21:                               ;   in Loop: Header=BB243_10 Depth=1
	s_waitcnt lgkmcnt(1)
	v_mov_b32_e32 v22, v26
	v_mov_b32_e32 v23, v24
	s_waitcnt lgkmcnt(0)
	v_mov_b32_e32 v21, v25
.LBB243_22:                             ;   in Loop: Header=BB243_10 Depth=1
	s_or_b64 exec, exec, s[2:3]
	ds_bpermute_b32 v24, v16, v23
	s_waitcnt lgkmcnt(2)
	ds_bpermute_b32 v26, v16, v22
	s_waitcnt lgkmcnt(2)
	ds_bpermute_b32 v25, v16, v21
	s_waitcnt lgkmcnt(2)
	v_cmp_lt_f32_e64 s[20:21], v23, v24
	v_cmp_nlt_f32_e64 s[2:3], v23, v24
	s_and_saveexec_b64 s[22:23], s[2:3]
	s_cbranch_execz .LBB243_24
; %bb.23:                               ;   in Loop: Header=BB243_10 Depth=1
	v_cmp_eq_f32_e64 s[2:3], v23, v24
	s_waitcnt lgkmcnt(0)
	v_cmp_lt_i32_e64 s[4:5], v25, v21
	s_and_b64 s[2:3], s[2:3], s[4:5]
	s_andn2_b64 s[4:5], s[20:21], exec
	s_and_b64 s[2:3], s[2:3], exec
	s_or_b64 s[20:21], s[4:5], s[2:3]
.LBB243_24:                             ;   in Loop: Header=BB243_10 Depth=1
	s_or_b64 exec, exec, s[22:23]
	s_and_saveexec_b64 s[2:3], s[20:21]
	s_cbranch_execz .LBB243_26
; %bb.25:                               ;   in Loop: Header=BB243_10 Depth=1
	s_waitcnt lgkmcnt(1)
	v_mov_b32_e32 v22, v26
	v_mov_b32_e32 v23, v24
	s_waitcnt lgkmcnt(0)
	v_mov_b32_e32 v21, v25
.LBB243_26:                             ;   in Loop: Header=BB243_10 Depth=1
	s_or_b64 exec, exec, s[2:3]
	s_waitcnt lgkmcnt(1)
	ds_bpermute_b32 v26, v17, v23
	ds_bpermute_b32 v24, v17, v22
	s_waitcnt lgkmcnt(2)
	ds_bpermute_b32 v25, v17, v21
	s_waitcnt lgkmcnt(2)
	v_cmp_lt_f32_e64 s[20:21], v23, v26
	v_cmp_nlt_f32_e64 s[2:3], v23, v26
	s_and_saveexec_b64 s[22:23], s[2:3]
	s_cbranch_execnz .LBB243_30
; %bb.27:                               ;   in Loop: Header=BB243_10 Depth=1
	s_or_b64 exec, exec, s[22:23]
	s_and_saveexec_b64 s[2:3], s[20:21]
	s_cbranch_execnz .LBB243_31
.LBB243_28:                             ;   in Loop: Header=BB243_10 Depth=1
	s_or_b64 exec, exec, s[2:3]
	s_and_saveexec_b64 s[20:21], s[0:1]
	s_cbranch_execnz .LBB243_32
.LBB243_29:                             ;   in Loop: Header=BB243_10 Depth=1
	s_or_b64 exec, exec, s[20:21]
	s_add_i32 s25, s25, 1
	s_cmp_ge_i32 s25, s8
	s_cbranch_scc1 .LBB243_9
	s_branch .LBB243_33
.LBB243_30:                             ;   in Loop: Header=BB243_10 Depth=1
	v_cmp_eq_f32_e64 s[2:3], v23, v26
	s_waitcnt lgkmcnt(0)
	v_cmp_lt_i32_e64 s[4:5], v25, v21
	s_and_b64 s[2:3], s[2:3], s[4:5]
	s_andn2_b64 s[4:5], s[20:21], exec
	s_and_b64 s[2:3], s[2:3], exec
	s_or_b64 s[20:21], s[4:5], s[2:3]
	s_or_b64 exec, exec, s[22:23]
	s_and_saveexec_b64 s[2:3], s[20:21]
	s_cbranch_execz .LBB243_28
.LBB243_31:                             ;   in Loop: Header=BB243_10 Depth=1
	s_waitcnt lgkmcnt(0)
	v_mov_b32_e32 v21, v25
	v_mov_b32_e32 v22, v24
	s_or_b64 exec, exec, s[2:3]
	s_and_saveexec_b64 s[20:21], s[0:1]
	s_cbranch_execz .LBB243_29
.LBB243_32:                             ;   in Loop: Header=BB243_10 Depth=1
	s_waitcnt lgkmcnt(1)
	v_add_u32_e32 v24, s25, v12
	s_waitcnt lgkmcnt(0)
	v_ashrrev_i32_e32 v25, 31, v24
	v_cmp_le_i32_e64 s[2:3], s9, v21
	v_cmp_gt_i32_e64 s[4:5], s10, v21
	v_lshlrev_b64 v[26:27], 2, v[24:25]
	s_and_b64 s[4:5], s[2:3], s[4:5]
	v_mov_b32_e32 v23, s17
	v_add_co_u32_e64 v28, s[2:3], s16, v26
	v_addc_co_u32_e64 v29, s[2:3], v23, v27, s[2:3]
	v_subrev_u32_e32 v23, s9, v21
	global_store_dword v[28:29], v22, off
	v_ashrrev_i32_e32 v28, 31, v23
	s_and_b64 s[2:3], s[18:19], s[4:5]
	v_lshlrev_b64 v[24:25], 3, v[24:25]
	v_cndmask_b32_e64 v29, 0, v28, s[2:3]
	v_cndmask_b32_e64 v28, v18, v23, s[2:3]
	v_mov_b32_e32 v23, s13
	v_add_co_u32_e64 v24, s[2:3], s12, v24
	v_addc_co_u32_e64 v25, s[2:3], v23, v25, s[2:3]
	global_store_dwordx2 v[24:25], v[28:29], off
	v_mov_b32_e32 v23, s15
	v_add_co_u32_e64 v24, s[2:3], s14, v26
	v_add_f32_e32 v22, v11, v22
	v_addc_co_u32_e64 v25, s[2:3], v23, v27, s[2:3]
	v_cndmask_b32_e32 v11, v11, v22, vcc
	global_store_dword v[24:25], v20, off
	s_or_b64 exec, exec, s[20:21]
	s_add_i32 s25, s25, 1
	s_cmp_ge_i32 s25, s8
	s_cbranch_scc1 .LBB243_9
.LBB243_33:                             ;   in Loop: Header=BB243_10 Depth=1
	v_ashrrev_i32_e32 v23, 31, v21
	v_lshrrev_b32_e32 v22, 30, v23
	s_waitcnt lgkmcnt(1)
	v_add_u32_e32 v24, v21, v22
	v_ashrrev_i32_e32 v22, 2, v24
	v_ashrrev_i32_e32 v24, 31, v24
	v_lshrrev_b32_e32 v24, 27, v24
	v_add_u32_e32 v24, v22, v24
	v_and_b32_e32 v24, 0xffffffe0, v24
	v_sub_u32_e32 v24, v22, v24
	v_cmp_eq_u32_e64 s[2:3], v9, v24
	s_and_saveexec_b64 s[4:5], s[2:3]
	s_cbranch_execz .LBB243_8
; %bb.34:                               ;   in Loop: Header=BB243_10 Depth=1
	v_lshrrev_b32_e32 v23, 25, v23
	v_add_u32_e32 v23, v21, v23
	v_lshlrev_b32_e32 v22, 2, v22
	v_ashrrev_i32_e32 v23, 7, v23
	v_sub_u32_e32 v21, v21, v22
	v_lshl_add_u32 v21, v23, 2, v21
	v_cmp_ne_u32_e64 s[2:3], 3, v21
	v_cndmask_b32_e64 v7, v19, v7, s[2:3]
	v_cmp_ne_u32_e64 s[2:3], 2, v21
	v_cndmask_b32_e64 v6, v19, v6, s[2:3]
	;; [unrolled: 2-line block ×4, first 2 shown]
	s_branch .LBB243_8
.LBB243_35:
                                        ; implicit-def: $vgpr4_vgpr5_vgpr6_vgpr7
	s_andn2_b64 vcc, exec, s[8:9]
	s_cbranch_vccz .LBB243_5
	s_branch .LBB243_6
.LBB243_36:
	v_mov_b32_e32 v11, 0
.LBB243_37:
	v_cmp_eq_u32_e64 s[0:1], 0, v9
	s_and_b64 s[0:1], s[0:1], vcc
	s_and_b64 exec, exec, s[0:1]
	s_cbranch_execz .LBB243_46
; %bb.38:
	s_andn2_b64 vcc, exec, s[6:7]
	s_cbranch_vccnz .LBB243_46
; %bb.39:
	v_cmp_lt_f32_e32 vcc, 0, v11
	s_mov_b32 s2, 0
	v_cndmask_b32_e32 v0, 1.0, v11, vcc
	v_mul_lo_u32 v4, v8, s8
	s_cmp_eq_u32 s8, 1
	s_mov_b64 s[0:1], -1
	s_cbranch_scc1 .LBB243_43
; %bb.40:
	s_and_b32 s2, s8, 0x7ffffffe
	v_mov_b32_e32 v1, v0
	v_mov_b32_e32 v5, s17
	s_mov_b32 s3, s2
	v_mov_b32_e32 v2, v4
.LBB243_41:                             ; =>This Inner Loop Header: Depth=1
	v_ashrrev_i32_e32 v3, 31, v2
	v_lshlrev_b64 v[6:7], 2, v[2:3]
	v_add_co_u32_e32 v6, vcc, s16, v6
	v_addc_co_u32_e32 v7, vcc, v5, v7, vcc
	global_load_dwordx2 v[8:9], v[6:7], off
	s_add_i32 s3, s3, -2
	s_cmp_lg_u32 s3, 0
	v_add_u32_e32 v2, 2, v2
	s_waitcnt vmcnt(0)
	v_div_scale_f32 v3, s[0:1], v1, v1, v9
	v_div_scale_f32 v11, s[0:1], v0, v0, v8
	v_rcp_f32_e32 v12, v3
	v_rcp_f32_e32 v13, v11
	v_div_scale_f32 v10, vcc, v9, v1, v9
	v_fma_f32 v15, -v3, v12, 1.0
	v_fma_f32 v16, -v11, v13, 1.0
	v_fmac_f32_e32 v12, v15, v12
	v_div_scale_f32 v14, s[0:1], v8, v0, v8
	v_fmac_f32_e32 v13, v16, v13
	v_mul_f32_e32 v15, v10, v12
	v_mul_f32_e32 v16, v14, v13
	v_fma_f32 v17, -v3, v15, v10
	v_fma_f32 v18, -v11, v16, v14
	v_fmac_f32_e32 v15, v17, v12
	v_fmac_f32_e32 v16, v18, v13
	v_fma_f32 v3, -v3, v15, v10
	v_fma_f32 v10, -v11, v16, v14
	v_div_fmas_f32 v3, v3, v12, v15
	s_mov_b64 vcc, s[0:1]
	v_div_fixup_f32 v9, v3, v1, v9
	v_div_fmas_f32 v3, v10, v13, v16
	v_div_fixup_f32 v8, v3, v0, v8
	global_store_dwordx2 v[6:7], v[8:9], off
	s_cbranch_scc1 .LBB243_41
; %bb.42:
	s_cmp_lg_u32 s2, s8
	s_cselect_b64 s[0:1], -1, 0
.LBB243_43:
	s_and_b64 vcc, exec, s[0:1]
	s_cbranch_vccz .LBB243_46
; %bb.44:
	v_ashrrev_i32_e32 v1, 31, v4
	v_add_co_u32_e32 v2, vcc, s2, v4
	v_addc_co_u32_e32 v3, vcc, 0, v1, vcc
	v_lshlrev_b64 v[2:3], 2, v[2:3]
	v_mov_b32_e32 v1, s17
	v_add_co_u32_e32 v2, vcc, s16, v2
	s_sub_i32 s0, s8, s2
	v_addc_co_u32_e32 v3, vcc, v1, v3, vcc
.LBB243_45:                             ; =>This Inner Loop Header: Depth=1
	global_load_dword v1, v[2:3], off
	s_add_i32 s0, s0, -1
	s_cmp_lg_u32 s0, 0
	s_waitcnt vmcnt(0)
	v_div_scale_f32 v4, s[2:3], v0, v0, v1
	v_rcp_f32_e32 v5, v4
	v_div_scale_f32 v6, vcc, v1, v0, v1
	v_fma_f32 v7, -v4, v5, 1.0
	v_fmac_f32_e32 v5, v7, v5
	v_mul_f32_e32 v7, v6, v5
	v_fma_f32 v8, -v4, v7, v6
	v_fmac_f32_e32 v7, v8, v5
	v_fma_f32 v4, -v4, v7, v6
	v_div_fmas_f32 v4, v4, v5, v7
	v_div_fixup_f32 v1, v4, v0, v1
	global_store_dword v[2:3], v1, off
	v_add_co_u32_e32 v2, vcc, 4, v2
	v_addc_co_u32_e32 v3, vcc, 0, v3, vcc
	s_cbranch_scc1 .LBB243_45
.LBB243_46:
	s_endpgm
	.section	.rodata,"a",@progbits
	.p2align	6, 0x0
	.amdhsa_kernel _ZN4vllm3moe10topkGatingILi4ELi128ELi4ELi16ELi64ElfLNS0_11ScoringFuncE1EEEvPKT5_PKbPfiPT4_PiiiibPKf
		.amdhsa_group_segment_fixed_size 0
		.amdhsa_private_segment_fixed_size 0
		.amdhsa_kernarg_size 72
		.amdhsa_user_sgpr_count 6
		.amdhsa_user_sgpr_private_segment_buffer 1
		.amdhsa_user_sgpr_dispatch_ptr 0
		.amdhsa_user_sgpr_queue_ptr 0
		.amdhsa_user_sgpr_kernarg_segment_ptr 1
		.amdhsa_user_sgpr_dispatch_id 0
		.amdhsa_user_sgpr_flat_scratch_init 0
		.amdhsa_user_sgpr_kernarg_preload_length 0
		.amdhsa_user_sgpr_kernarg_preload_offset 0
		.amdhsa_user_sgpr_private_segment_size 0
		.amdhsa_uses_dynamic_stack 0
		.amdhsa_system_sgpr_private_segment_wavefront_offset 0
		.amdhsa_system_sgpr_workgroup_id_x 1
		.amdhsa_system_sgpr_workgroup_id_y 0
		.amdhsa_system_sgpr_workgroup_id_z 0
		.amdhsa_system_sgpr_workgroup_info 0
		.amdhsa_system_vgpr_workitem_id 1
		.amdhsa_next_free_vgpr 30
		.amdhsa_next_free_sgpr 26
		.amdhsa_accum_offset 32
		.amdhsa_reserve_vcc 1
		.amdhsa_reserve_flat_scratch 0
		.amdhsa_float_round_mode_32 0
		.amdhsa_float_round_mode_16_64 0
		.amdhsa_float_denorm_mode_32 3
		.amdhsa_float_denorm_mode_16_64 3
		.amdhsa_dx10_clamp 1
		.amdhsa_ieee_mode 1
		.amdhsa_fp16_overflow 0
		.amdhsa_tg_split 0
		.amdhsa_exception_fp_ieee_invalid_op 0
		.amdhsa_exception_fp_denorm_src 0
		.amdhsa_exception_fp_ieee_div_zero 0
		.amdhsa_exception_fp_ieee_overflow 0
		.amdhsa_exception_fp_ieee_underflow 0
		.amdhsa_exception_fp_ieee_inexact 0
		.amdhsa_exception_int_div_zero 0
	.end_amdhsa_kernel
	.section	.text._ZN4vllm3moe10topkGatingILi4ELi128ELi4ELi16ELi64ElfLNS0_11ScoringFuncE1EEEvPKT5_PKbPfiPT4_PiiiibPKf,"axG",@progbits,_ZN4vllm3moe10topkGatingILi4ELi128ELi4ELi16ELi64ElfLNS0_11ScoringFuncE1EEEvPKT5_PKbPfiPT4_PiiiibPKf,comdat
.Lfunc_end243:
	.size	_ZN4vllm3moe10topkGatingILi4ELi128ELi4ELi16ELi64ElfLNS0_11ScoringFuncE1EEEvPKT5_PKbPfiPT4_PiiiibPKf, .Lfunc_end243-_ZN4vllm3moe10topkGatingILi4ELi128ELi4ELi16ELi64ElfLNS0_11ScoringFuncE1EEEvPKT5_PKbPfiPT4_PiiiibPKf
                                        ; -- End function
	.section	.AMDGPU.csdata,"",@progbits
; Kernel info:
; codeLenInByte = 2536
; NumSgprs: 30
; NumVgprs: 30
; NumAgprs: 0
; TotalNumVgprs: 30
; ScratchSize: 0
; MemoryBound: 0
; FloatMode: 240
; IeeeMode: 1
; LDSByteSize: 0 bytes/workgroup (compile time only)
; SGPRBlocks: 3
; VGPRBlocks: 3
; NumSGPRsForWavesPerEU: 30
; NumVGPRsForWavesPerEU: 30
; AccumOffset: 32
; Occupancy: 8
; WaveLimiterHint : 0
; COMPUTE_PGM_RSRC2:SCRATCH_EN: 0
; COMPUTE_PGM_RSRC2:USER_SGPR: 6
; COMPUTE_PGM_RSRC2:TRAP_HANDLER: 0
; COMPUTE_PGM_RSRC2:TGID_X_EN: 1
; COMPUTE_PGM_RSRC2:TGID_Y_EN: 0
; COMPUTE_PGM_RSRC2:TGID_Z_EN: 0
; COMPUTE_PGM_RSRC2:TIDIG_COMP_CNT: 1
; COMPUTE_PGM_RSRC3_GFX90A:ACCUM_OFFSET: 7
; COMPUTE_PGM_RSRC3_GFX90A:TG_SPLIT: 0
	.section	.text._ZN4vllm3moe10topkGatingILi4ELi128ELi4ELi16ELi32ElfLNS0_11ScoringFuncE1EEEvPKT5_PKbPfiPT4_PiiiibPKf,"axG",@progbits,_ZN4vllm3moe10topkGatingILi4ELi128ELi4ELi16ELi32ElfLNS0_11ScoringFuncE1EEEvPKT5_PKbPfiPT4_PiiiibPKf,comdat
	.protected	_ZN4vllm3moe10topkGatingILi4ELi128ELi4ELi16ELi32ElfLNS0_11ScoringFuncE1EEEvPKT5_PKbPfiPT4_PiiiibPKf ; -- Begin function _ZN4vllm3moe10topkGatingILi4ELi128ELi4ELi16ELi32ElfLNS0_11ScoringFuncE1EEEvPKT5_PKbPfiPT4_PiiiibPKf
	.globl	_ZN4vllm3moe10topkGatingILi4ELi128ELi4ELi16ELi32ElfLNS0_11ScoringFuncE1EEEvPKT5_PKbPfiPT4_PiiiibPKf
	.p2align	8
	.type	_ZN4vllm3moe10topkGatingILi4ELi128ELi4ELi16ELi32ElfLNS0_11ScoringFuncE1EEEvPKT5_PKbPfiPT4_PiiiibPKf,@function
_ZN4vllm3moe10topkGatingILi4ELi128ELi4ELi16ELi32ElfLNS0_11ScoringFuncE1EEEvPKT5_PKbPfiPT4_PiiiibPKf: ; @_ZN4vllm3moe10topkGatingILi4ELi128ELi4ELi16ELi32ElfLNS0_11ScoringFuncE1EEEvPKT5_PKbPfiPT4_PiiiibPKf
; %bb.0:
	s_load_dword s24, s[4:5], 0x18
	v_and_b32_e32 v1, 0x3ff, v0
	s_lshl_b32 s0, s6, 2
	v_lshrrev_b32_e32 v2, 5, v1
	v_bfe_u32 v0, v0, 10, 10
	v_add3_u32 v8, s0, v0, v2
	s_waitcnt lgkmcnt(0)
	v_cmp_gt_i32_e32 vcc, s24, v8
	s_and_saveexec_b64 s[0:1], vcc
	s_cbranch_execz .LBB244_46
; %bb.1:
	s_load_dwordx4 s[0:3], s[4:5], 0x0
	s_load_dwordx2 s[16:17], s[4:5], 0x10
	s_mov_b64 s[8:9], -1
	s_mov_b64 s[18:19], -1
	s_waitcnt lgkmcnt(0)
	s_cmp_eq_u64 s[2:3], 0
	s_cbranch_scc1 .LBB244_3
; %bb.2:
	v_ashrrev_i32_e32 v0, 31, v8
	v_mov_b32_e32 v3, s3
	v_add_co_u32_e32 v2, vcc, s2, v8
	v_addc_co_u32_e32 v3, vcc, v3, v0, vcc
	global_load_ubyte v0, v[2:3], off
	s_waitcnt vmcnt(0)
	v_and_b32_e32 v0, 1, v0
	v_cmp_eq_u32_e32 vcc, 1, v0
	s_xor_b64 s[2:3], vcc, -1
	s_orn2_b64 s[18:19], s[2:3], exec
.LBB244_3:
	v_lshlrev_b32_e32 v2, 7, v8
	v_ashrrev_i32_e32 v3, 31, v2
	v_lshlrev_b64 v[2:3], 2, v[2:3]
	v_mov_b32_e32 v0, s1
	v_add_co_u32_e32 v2, vcc, s0, v2
	v_and_b32_e32 v9, 31, v1
	v_addc_co_u32_e32 v3, vcc, v0, v3, vcc
	v_lshlrev_b32_e32 v0, 4, v9
	v_add_co_u32_e32 v0, vcc, v2, v0
	v_addc_co_u32_e32 v1, vcc, 0, v3, vcc
	global_load_dwordx4 v[0:3], v[0:1], off
	v_mov_b32_e32 v4, 0x207
	s_load_dwordx2 s[10:11], s[4:5], 0x40
	v_lshlrev_b32_e32 v10, 2, v9
	s_waitcnt lgkmcnt(0)
	s_cmp_eq_u64 s[10:11], 0
	s_waitcnt vmcnt(0)
	v_mul_f32_e32 v0, 0xbfb8aa3b, v0
	v_mul_f32_e32 v1, 0xbfb8aa3b, v1
	v_exp_f32_e32 v0, v0
	v_exp_f32_e32 v1, v1
	v_mul_f32_e32 v2, 0xbfb8aa3b, v2
	v_mul_f32_e32 v3, 0xbfb8aa3b, v3
	v_exp_f32_e32 v2, v2
	v_exp_f32_e32 v3, v3
	v_pk_add_f32 v[0:1], v[0:1], 1.0 op_sel_hi:[1,0]
	v_div_scale_f32 v5, s[0:1], v1, v1, 1.0
	v_rcp_f32_e32 v16, v5
	v_div_scale_f32 v7, s[0:1], v0, v0, 1.0
	v_pk_add_f32 v[2:3], v[2:3], 1.0 op_sel_hi:[1,0]
	v_rcp_f32_e32 v17, v7
	v_div_scale_f32 v12, s[2:3], v3, v3, 1.0
	v_rcp_f32_e32 v18, v12
	v_fma_f32 v20, -v5, v16, 1.0
	v_div_scale_f32 v6, vcc, 1.0, v1, 1.0
	v_div_scale_f32 v14, s[6:7], v2, v2, 1.0
	v_fmac_f32_e32 v16, v20, v16
	v_rcp_f32_e32 v19, v14
	v_fma_f32 v21, -v7, v17, 1.0
	v_mul_f32_e32 v20, v6, v16
	v_div_scale_f32 v11, s[0:1], 1.0, v0, 1.0
	v_fmac_f32_e32 v17, v21, v17
	v_fma_f32 v24, -v5, v20, v6
	v_fma_f32 v22, -v12, v18, 1.0
	v_mul_f32_e32 v21, v11, v17
	v_fmac_f32_e32 v20, v24, v16
	v_div_scale_f32 v13, s[2:3], 1.0, v3, 1.0
	v_fmac_f32_e32 v18, v22, v18
	v_fma_f32 v25, -v7, v21, v11
	v_fma_f32 v5, -v5, v20, v6
	v_fma_f32 v23, -v14, v19, 1.0
	v_mul_f32_e32 v22, v13, v18
	v_fmac_f32_e32 v21, v25, v17
	v_div_fmas_f32 v5, v5, v16, v20
	v_div_scale_f32 v15, s[6:7], 1.0, v2, 1.0
	v_fmac_f32_e32 v19, v23, v19
	v_fma_f32 v26, -v12, v22, v13
	v_fma_f32 v6, -v7, v21, v11
	v_div_fixup_f32 v1, v5, v1, 1.0
	s_mov_b64 vcc, s[0:1]
	v_mul_f32_e32 v23, v15, v19
	v_fmac_f32_e32 v22, v26, v18
	v_div_fmas_f32 v5, v6, v17, v21
	v_cmp_class_f32_e32 vcc, v1, v4
	v_fma_f32 v27, -v14, v23, v15
	v_fma_f32 v7, -v12, v22, v13
	v_div_fixup_f32 v0, v5, v0, 1.0
	v_cndmask_b32_e64 v1, v1, 0, vcc
	s_mov_b64 vcc, s[2:3]
	v_fmac_f32_e32 v23, v27, v19
	v_div_fmas_f32 v5, v7, v18, v22
	v_cmp_class_f32_e32 vcc, v0, v4
	v_fma_f32 v11, -v14, v23, v15
	v_cndmask_b32_e64 v0, v0, 0, vcc
	s_mov_b64 vcc, s[6:7]
	v_div_fixup_f32 v3, v5, v3, 1.0
	v_div_fmas_f32 v5, v11, v19, v23
	v_div_fixup_f32 v2, v5, v2, 1.0
	v_cmp_class_f32_e32 vcc, v3, v4
	v_cndmask_b32_e64 v3, v3, 0, vcc
	v_cmp_class_f32_e32 vcc, v2, v4
	v_cndmask_b32_e64 v2, v2, 0, vcc
	s_cbranch_scc1 .LBB244_35
; %bb.4:
	v_lshlrev_b32_e32 v4, 2, v10
	global_load_dwordx4 v[4:7], v4, s[10:11]
	s_waitcnt vmcnt(0)
	v_pk_add_f32 v[4:5], v[4:5], v[0:1]
	v_pk_add_f32 v[6:7], v[6:7], v[2:3]
	s_cbranch_execnz .LBB244_6
.LBB244_5:
	v_pk_mov_b32 v[6:7], v[2:3], v[2:3] op_sel:[0,1]
	v_pk_mov_b32 v[4:5], v[0:1], v[0:1] op_sel:[0,1]
.LBB244_6:
	s_load_dwordx4 s[8:11], s[4:5], 0x30
	s_mov_b32 s25, 0
	v_cmp_eq_u32_e64 s[0:1], 0, v9
	s_waitcnt lgkmcnt(0)
	s_bitcmp1_b32 s11, 0
	s_cselect_b64 vcc, -1, 0
	s_cmp_gt_i32 s8, 0
	s_cselect_b64 s[6:7], -1, 0
	s_cmp_lt_i32 s8, 1
	s_cbranch_scc1 .LBB244_36
; %bb.7:
	v_mbcnt_lo_u32_b32 v11, -1, 0
	v_mbcnt_hi_u32_b32 v11, -1, v11
	v_and_b32_e32 v12, 0x60, v11
	v_add_u32_e32 v17, 32, v12
	v_xor_b32_e32 v13, 16, v11
	v_cmp_lt_i32_e64 s[2:3], v13, v17
	v_xor_b32_e32 v14, 8, v11
	v_cndmask_b32_e64 v13, v11, v13, s[2:3]
	v_cmp_lt_i32_e64 s[2:3], v14, v17
	v_xor_b32_e32 v15, 4, v11
	s_load_dwordx4 s[12:15], s[4:5], 0x20
	v_cndmask_b32_e64 v14, v11, v14, s[2:3]
	v_cmp_lt_i32_e64 s[2:3], v15, v17
	v_xor_b32_e32 v16, 2, v11
	v_cndmask_b32_e64 v15, v11, v15, s[2:3]
	v_cmp_lt_i32_e64 s[2:3], v16, v17
	v_xor_b32_e32 v18, 1, v11
	v_cndmask_b32_e64 v16, v11, v16, s[2:3]
	v_cmp_lt_i32_e64 s[2:3], v18, v17
	v_cndmask_b32_e64 v11, v11, v18, s[2:3]
	v_mul_lo_u32 v12, v8, s8
	v_lshlrev_b32_e32 v13, 2, v13
	v_lshlrev_b32_e32 v14, 2, v14
	;; [unrolled: 1-line block ×5, first 2 shown]
	v_mov_b32_e32 v11, 0
	v_mov_b32_e32 v18, 0x80
	;; [unrolled: 1-line block ×4, first 2 shown]
	s_branch .LBB244_10
.LBB244_8:                              ;   in Loop: Header=BB244_10 Depth=1
	s_or_b64 exec, exec, s[4:5]
.LBB244_9:                              ;   in Loop: Header=BB244_10 Depth=1
	s_cmp_eq_u32 s8, s25
	v_add_u32_e32 v20, s24, v20
	s_cbranch_scc1 .LBB244_37
.LBB244_10:                             ; =>This Inner Loop Header: Depth=1
	v_cmp_gt_f32_e64 s[2:3], v5, v4
	v_cndmask_b32_e64 v23, v4, v5, s[2:3]
	v_cndmask_b32_e64 v21, 0, 1, s[2:3]
	;; [unrolled: 1-line block ×3, first 2 shown]
	v_cmp_gt_f32_e64 s[2:3], v6, v23
	v_cndmask_b32_e64 v23, v23, v6, s[2:3]
	v_cndmask_b32_e64 v21, v21, 2, s[2:3]
	;; [unrolled: 1-line block ×3, first 2 shown]
	v_cmp_gt_f32_e64 s[2:3], v7, v23
	v_cndmask_b32_e64 v21, v21, 3, s[2:3]
	v_cndmask_b32_e64 v23, v23, v7, s[2:3]
	v_or_b32_e32 v21, v10, v21
	v_cndmask_b32_e64 v22, v22, v3, s[2:3]
	s_waitcnt lgkmcnt(0)
	ds_bpermute_b32 v24, v13, v23
	ds_bpermute_b32 v26, v13, v22
	;; [unrolled: 1-line block ×3, first 2 shown]
	s_waitcnt lgkmcnt(0)
	v_cmp_lt_f32_e64 s[20:21], v23, v24
	v_cmp_nlt_f32_e64 s[2:3], v23, v24
	s_and_saveexec_b64 s[22:23], s[2:3]
; %bb.11:                               ;   in Loop: Header=BB244_10 Depth=1
	v_cmp_eq_f32_e64 s[2:3], v23, v24
	v_cmp_lt_i32_e64 s[4:5], v25, v21
	s_and_b64 s[2:3], s[2:3], s[4:5]
	s_andn2_b64 s[4:5], s[20:21], exec
	s_and_b64 s[2:3], s[2:3], exec
	s_or_b64 s[20:21], s[4:5], s[2:3]
; %bb.12:                               ;   in Loop: Header=BB244_10 Depth=1
	s_or_b64 exec, exec, s[22:23]
	s_and_saveexec_b64 s[2:3], s[20:21]
; %bb.13:                               ;   in Loop: Header=BB244_10 Depth=1
	v_mov_b32_e32 v22, v26
	v_mov_b32_e32 v23, v24
	;; [unrolled: 1-line block ×3, first 2 shown]
; %bb.14:                               ;   in Loop: Header=BB244_10 Depth=1
	s_or_b64 exec, exec, s[2:3]
	ds_bpermute_b32 v24, v14, v23
	ds_bpermute_b32 v26, v14, v22
	;; [unrolled: 1-line block ×3, first 2 shown]
	s_waitcnt lgkmcnt(2)
	v_cmp_lt_f32_e64 s[20:21], v23, v24
	v_cmp_nlt_f32_e64 s[2:3], v23, v24
	s_and_saveexec_b64 s[22:23], s[2:3]
	s_cbranch_execz .LBB244_16
; %bb.15:                               ;   in Loop: Header=BB244_10 Depth=1
	v_cmp_eq_f32_e64 s[2:3], v23, v24
	s_waitcnt lgkmcnt(0)
	v_cmp_lt_i32_e64 s[4:5], v25, v21
	s_and_b64 s[2:3], s[2:3], s[4:5]
	s_andn2_b64 s[4:5], s[20:21], exec
	s_and_b64 s[2:3], s[2:3], exec
	s_or_b64 s[20:21], s[4:5], s[2:3]
.LBB244_16:                             ;   in Loop: Header=BB244_10 Depth=1
	s_or_b64 exec, exec, s[22:23]
	s_and_saveexec_b64 s[2:3], s[20:21]
	s_cbranch_execz .LBB244_18
; %bb.17:                               ;   in Loop: Header=BB244_10 Depth=1
	s_waitcnt lgkmcnt(1)
	v_mov_b32_e32 v22, v26
	v_mov_b32_e32 v23, v24
	s_waitcnt lgkmcnt(0)
	v_mov_b32_e32 v21, v25
.LBB244_18:                             ;   in Loop: Header=BB244_10 Depth=1
	s_or_b64 exec, exec, s[2:3]
	ds_bpermute_b32 v24, v15, v23
	s_waitcnt lgkmcnt(2)
	ds_bpermute_b32 v26, v15, v22
	s_waitcnt lgkmcnt(2)
	;; [unrolled: 2-line block ×3, first 2 shown]
	v_cmp_lt_f32_e64 s[20:21], v23, v24
	v_cmp_nlt_f32_e64 s[2:3], v23, v24
	s_and_saveexec_b64 s[22:23], s[2:3]
	s_cbranch_execz .LBB244_20
; %bb.19:                               ;   in Loop: Header=BB244_10 Depth=1
	v_cmp_eq_f32_e64 s[2:3], v23, v24
	s_waitcnt lgkmcnt(0)
	v_cmp_lt_i32_e64 s[4:5], v25, v21
	s_and_b64 s[2:3], s[2:3], s[4:5]
	s_andn2_b64 s[4:5], s[20:21], exec
	s_and_b64 s[2:3], s[2:3], exec
	s_or_b64 s[20:21], s[4:5], s[2:3]
.LBB244_20:                             ;   in Loop: Header=BB244_10 Depth=1
	s_or_b64 exec, exec, s[22:23]
	s_and_saveexec_b64 s[2:3], s[20:21]
	s_cbranch_execz .LBB244_22
; %bb.21:                               ;   in Loop: Header=BB244_10 Depth=1
	s_waitcnt lgkmcnt(1)
	v_mov_b32_e32 v22, v26
	v_mov_b32_e32 v23, v24
	s_waitcnt lgkmcnt(0)
	v_mov_b32_e32 v21, v25
.LBB244_22:                             ;   in Loop: Header=BB244_10 Depth=1
	s_or_b64 exec, exec, s[2:3]
	ds_bpermute_b32 v24, v16, v23
	s_waitcnt lgkmcnt(2)
	ds_bpermute_b32 v26, v16, v22
	s_waitcnt lgkmcnt(2)
	;; [unrolled: 2-line block ×3, first 2 shown]
	v_cmp_lt_f32_e64 s[20:21], v23, v24
	v_cmp_nlt_f32_e64 s[2:3], v23, v24
	s_and_saveexec_b64 s[22:23], s[2:3]
	s_cbranch_execz .LBB244_24
; %bb.23:                               ;   in Loop: Header=BB244_10 Depth=1
	v_cmp_eq_f32_e64 s[2:3], v23, v24
	s_waitcnt lgkmcnt(0)
	v_cmp_lt_i32_e64 s[4:5], v25, v21
	s_and_b64 s[2:3], s[2:3], s[4:5]
	s_andn2_b64 s[4:5], s[20:21], exec
	s_and_b64 s[2:3], s[2:3], exec
	s_or_b64 s[20:21], s[4:5], s[2:3]
.LBB244_24:                             ;   in Loop: Header=BB244_10 Depth=1
	s_or_b64 exec, exec, s[22:23]
	s_and_saveexec_b64 s[2:3], s[20:21]
	s_cbranch_execz .LBB244_26
; %bb.25:                               ;   in Loop: Header=BB244_10 Depth=1
	s_waitcnt lgkmcnt(1)
	v_mov_b32_e32 v22, v26
	v_mov_b32_e32 v23, v24
	s_waitcnt lgkmcnt(0)
	v_mov_b32_e32 v21, v25
.LBB244_26:                             ;   in Loop: Header=BB244_10 Depth=1
	s_or_b64 exec, exec, s[2:3]
	s_waitcnt lgkmcnt(1)
	ds_bpermute_b32 v26, v17, v23
	ds_bpermute_b32 v24, v17, v22
	s_waitcnt lgkmcnt(2)
	ds_bpermute_b32 v25, v17, v21
	s_waitcnt lgkmcnt(2)
	v_cmp_lt_f32_e64 s[20:21], v23, v26
	v_cmp_nlt_f32_e64 s[2:3], v23, v26
	s_and_saveexec_b64 s[22:23], s[2:3]
	s_cbranch_execnz .LBB244_30
; %bb.27:                               ;   in Loop: Header=BB244_10 Depth=1
	s_or_b64 exec, exec, s[22:23]
	s_and_saveexec_b64 s[2:3], s[20:21]
	s_cbranch_execnz .LBB244_31
.LBB244_28:                             ;   in Loop: Header=BB244_10 Depth=1
	s_or_b64 exec, exec, s[2:3]
	s_and_saveexec_b64 s[20:21], s[0:1]
	s_cbranch_execnz .LBB244_32
.LBB244_29:                             ;   in Loop: Header=BB244_10 Depth=1
	s_or_b64 exec, exec, s[20:21]
	s_add_i32 s25, s25, 1
	s_cmp_ge_i32 s25, s8
	s_cbranch_scc1 .LBB244_9
	s_branch .LBB244_33
.LBB244_30:                             ;   in Loop: Header=BB244_10 Depth=1
	v_cmp_eq_f32_e64 s[2:3], v23, v26
	s_waitcnt lgkmcnt(0)
	v_cmp_lt_i32_e64 s[4:5], v25, v21
	s_and_b64 s[2:3], s[2:3], s[4:5]
	s_andn2_b64 s[4:5], s[20:21], exec
	s_and_b64 s[2:3], s[2:3], exec
	s_or_b64 s[20:21], s[4:5], s[2:3]
	s_or_b64 exec, exec, s[22:23]
	s_and_saveexec_b64 s[2:3], s[20:21]
	s_cbranch_execz .LBB244_28
.LBB244_31:                             ;   in Loop: Header=BB244_10 Depth=1
	s_waitcnt lgkmcnt(0)
	v_mov_b32_e32 v21, v25
	v_mov_b32_e32 v22, v24
	s_or_b64 exec, exec, s[2:3]
	s_and_saveexec_b64 s[20:21], s[0:1]
	s_cbranch_execz .LBB244_29
.LBB244_32:                             ;   in Loop: Header=BB244_10 Depth=1
	s_waitcnt lgkmcnt(1)
	v_add_u32_e32 v24, s25, v12
	s_waitcnt lgkmcnt(0)
	v_ashrrev_i32_e32 v25, 31, v24
	v_cmp_le_i32_e64 s[2:3], s9, v21
	v_cmp_gt_i32_e64 s[4:5], s10, v21
	v_lshlrev_b64 v[26:27], 2, v[24:25]
	s_and_b64 s[4:5], s[2:3], s[4:5]
	v_mov_b32_e32 v23, s17
	v_add_co_u32_e64 v28, s[2:3], s16, v26
	v_addc_co_u32_e64 v29, s[2:3], v23, v27, s[2:3]
	v_subrev_u32_e32 v23, s9, v21
	global_store_dword v[28:29], v22, off
	v_ashrrev_i32_e32 v28, 31, v23
	s_and_b64 s[2:3], s[18:19], s[4:5]
	v_lshlrev_b64 v[24:25], 3, v[24:25]
	v_cndmask_b32_e64 v29, 0, v28, s[2:3]
	v_cndmask_b32_e64 v28, v18, v23, s[2:3]
	v_mov_b32_e32 v23, s13
	v_add_co_u32_e64 v24, s[2:3], s12, v24
	v_addc_co_u32_e64 v25, s[2:3], v23, v25, s[2:3]
	global_store_dwordx2 v[24:25], v[28:29], off
	v_mov_b32_e32 v23, s15
	v_add_co_u32_e64 v24, s[2:3], s14, v26
	v_add_f32_e32 v22, v11, v22
	v_addc_co_u32_e64 v25, s[2:3], v23, v27, s[2:3]
	v_cndmask_b32_e32 v11, v11, v22, vcc
	global_store_dword v[24:25], v20, off
	s_or_b64 exec, exec, s[20:21]
	s_add_i32 s25, s25, 1
	s_cmp_ge_i32 s25, s8
	s_cbranch_scc1 .LBB244_9
.LBB244_33:                             ;   in Loop: Header=BB244_10 Depth=1
	v_ashrrev_i32_e32 v23, 31, v21
	v_lshrrev_b32_e32 v22, 30, v23
	s_waitcnt lgkmcnt(1)
	v_add_u32_e32 v24, v21, v22
	v_ashrrev_i32_e32 v22, 2, v24
	v_ashrrev_i32_e32 v24, 31, v24
	v_lshrrev_b32_e32 v24, 27, v24
	v_add_u32_e32 v24, v22, v24
	v_and_b32_e32 v24, 0xffffffe0, v24
	v_sub_u32_e32 v24, v22, v24
	v_cmp_eq_u32_e64 s[2:3], v9, v24
	s_and_saveexec_b64 s[4:5], s[2:3]
	s_cbranch_execz .LBB244_8
; %bb.34:                               ;   in Loop: Header=BB244_10 Depth=1
	v_lshrrev_b32_e32 v23, 25, v23
	v_add_u32_e32 v23, v21, v23
	v_lshlrev_b32_e32 v22, 2, v22
	v_ashrrev_i32_e32 v23, 7, v23
	v_sub_u32_e32 v21, v21, v22
	v_lshl_add_u32 v21, v23, 2, v21
	v_cmp_ne_u32_e64 s[2:3], 3, v21
	v_cndmask_b32_e64 v7, v19, v7, s[2:3]
	v_cmp_ne_u32_e64 s[2:3], 2, v21
	v_cndmask_b32_e64 v6, v19, v6, s[2:3]
	;; [unrolled: 2-line block ×4, first 2 shown]
	s_branch .LBB244_8
.LBB244_35:
                                        ; implicit-def: $vgpr4_vgpr5_vgpr6_vgpr7
	s_andn2_b64 vcc, exec, s[8:9]
	s_cbranch_vccz .LBB244_5
	s_branch .LBB244_6
.LBB244_36:
	v_mov_b32_e32 v11, 0
.LBB244_37:
	v_cmp_eq_u32_e64 s[0:1], 0, v9
	s_and_b64 s[0:1], s[0:1], vcc
	s_and_b64 exec, exec, s[0:1]
	s_cbranch_execz .LBB244_46
; %bb.38:
	s_andn2_b64 vcc, exec, s[6:7]
	s_cbranch_vccnz .LBB244_46
; %bb.39:
	v_cmp_lt_f32_e32 vcc, 0, v11
	s_mov_b32 s2, 0
	v_cndmask_b32_e32 v0, 1.0, v11, vcc
	v_mul_lo_u32 v4, v8, s8
	s_cmp_eq_u32 s8, 1
	s_mov_b64 s[0:1], -1
	s_cbranch_scc1 .LBB244_43
; %bb.40:
	s_and_b32 s2, s8, 0x7ffffffe
	v_mov_b32_e32 v1, v0
	v_mov_b32_e32 v5, s17
	s_mov_b32 s3, s2
	v_mov_b32_e32 v2, v4
.LBB244_41:                             ; =>This Inner Loop Header: Depth=1
	v_ashrrev_i32_e32 v3, 31, v2
	v_lshlrev_b64 v[6:7], 2, v[2:3]
	v_add_co_u32_e32 v6, vcc, s16, v6
	v_addc_co_u32_e32 v7, vcc, v5, v7, vcc
	global_load_dwordx2 v[8:9], v[6:7], off
	s_add_i32 s3, s3, -2
	s_cmp_lg_u32 s3, 0
	v_add_u32_e32 v2, 2, v2
	s_waitcnt vmcnt(0)
	v_div_scale_f32 v3, s[0:1], v1, v1, v9
	v_div_scale_f32 v11, s[0:1], v0, v0, v8
	v_rcp_f32_e32 v12, v3
	v_rcp_f32_e32 v13, v11
	v_div_scale_f32 v10, vcc, v9, v1, v9
	v_fma_f32 v15, -v3, v12, 1.0
	v_fma_f32 v16, -v11, v13, 1.0
	v_fmac_f32_e32 v12, v15, v12
	v_div_scale_f32 v14, s[0:1], v8, v0, v8
	v_fmac_f32_e32 v13, v16, v13
	v_mul_f32_e32 v15, v10, v12
	v_mul_f32_e32 v16, v14, v13
	v_fma_f32 v17, -v3, v15, v10
	v_fma_f32 v18, -v11, v16, v14
	v_fmac_f32_e32 v15, v17, v12
	v_fmac_f32_e32 v16, v18, v13
	v_fma_f32 v3, -v3, v15, v10
	v_fma_f32 v10, -v11, v16, v14
	v_div_fmas_f32 v3, v3, v12, v15
	s_mov_b64 vcc, s[0:1]
	v_div_fixup_f32 v9, v3, v1, v9
	v_div_fmas_f32 v3, v10, v13, v16
	v_div_fixup_f32 v8, v3, v0, v8
	global_store_dwordx2 v[6:7], v[8:9], off
	s_cbranch_scc1 .LBB244_41
; %bb.42:
	s_cmp_lg_u32 s2, s8
	s_cselect_b64 s[0:1], -1, 0
.LBB244_43:
	s_and_b64 vcc, exec, s[0:1]
	s_cbranch_vccz .LBB244_46
; %bb.44:
	v_ashrrev_i32_e32 v1, 31, v4
	v_add_co_u32_e32 v2, vcc, s2, v4
	v_addc_co_u32_e32 v3, vcc, 0, v1, vcc
	v_lshlrev_b64 v[2:3], 2, v[2:3]
	v_mov_b32_e32 v1, s17
	v_add_co_u32_e32 v2, vcc, s16, v2
	s_sub_i32 s0, s8, s2
	v_addc_co_u32_e32 v3, vcc, v1, v3, vcc
.LBB244_45:                             ; =>This Inner Loop Header: Depth=1
	global_load_dword v1, v[2:3], off
	s_add_i32 s0, s0, -1
	s_cmp_lg_u32 s0, 0
	s_waitcnt vmcnt(0)
	v_div_scale_f32 v4, s[2:3], v0, v0, v1
	v_rcp_f32_e32 v5, v4
	v_div_scale_f32 v6, vcc, v1, v0, v1
	v_fma_f32 v7, -v4, v5, 1.0
	v_fmac_f32_e32 v5, v7, v5
	v_mul_f32_e32 v7, v6, v5
	v_fma_f32 v8, -v4, v7, v6
	v_fmac_f32_e32 v7, v8, v5
	v_fma_f32 v4, -v4, v7, v6
	v_div_fmas_f32 v4, v4, v5, v7
	v_div_fixup_f32 v1, v4, v0, v1
	global_store_dword v[2:3], v1, off
	v_add_co_u32_e32 v2, vcc, 4, v2
	v_addc_co_u32_e32 v3, vcc, 0, v3, vcc
	s_cbranch_scc1 .LBB244_45
.LBB244_46:
	s_endpgm
	.section	.rodata,"a",@progbits
	.p2align	6, 0x0
	.amdhsa_kernel _ZN4vllm3moe10topkGatingILi4ELi128ELi4ELi16ELi32ElfLNS0_11ScoringFuncE1EEEvPKT5_PKbPfiPT4_PiiiibPKf
		.amdhsa_group_segment_fixed_size 0
		.amdhsa_private_segment_fixed_size 0
		.amdhsa_kernarg_size 72
		.amdhsa_user_sgpr_count 6
		.amdhsa_user_sgpr_private_segment_buffer 1
		.amdhsa_user_sgpr_dispatch_ptr 0
		.amdhsa_user_sgpr_queue_ptr 0
		.amdhsa_user_sgpr_kernarg_segment_ptr 1
		.amdhsa_user_sgpr_dispatch_id 0
		.amdhsa_user_sgpr_flat_scratch_init 0
		.amdhsa_user_sgpr_kernarg_preload_length 0
		.amdhsa_user_sgpr_kernarg_preload_offset 0
		.amdhsa_user_sgpr_private_segment_size 0
		.amdhsa_uses_dynamic_stack 0
		.amdhsa_system_sgpr_private_segment_wavefront_offset 0
		.amdhsa_system_sgpr_workgroup_id_x 1
		.amdhsa_system_sgpr_workgroup_id_y 0
		.amdhsa_system_sgpr_workgroup_id_z 0
		.amdhsa_system_sgpr_workgroup_info 0
		.amdhsa_system_vgpr_workitem_id 1
		.amdhsa_next_free_vgpr 30
		.amdhsa_next_free_sgpr 26
		.amdhsa_accum_offset 32
		.amdhsa_reserve_vcc 1
		.amdhsa_reserve_flat_scratch 0
		.amdhsa_float_round_mode_32 0
		.amdhsa_float_round_mode_16_64 0
		.amdhsa_float_denorm_mode_32 3
		.amdhsa_float_denorm_mode_16_64 3
		.amdhsa_dx10_clamp 1
		.amdhsa_ieee_mode 1
		.amdhsa_fp16_overflow 0
		.amdhsa_tg_split 0
		.amdhsa_exception_fp_ieee_invalid_op 0
		.amdhsa_exception_fp_denorm_src 0
		.amdhsa_exception_fp_ieee_div_zero 0
		.amdhsa_exception_fp_ieee_overflow 0
		.amdhsa_exception_fp_ieee_underflow 0
		.amdhsa_exception_fp_ieee_inexact 0
		.amdhsa_exception_int_div_zero 0
	.end_amdhsa_kernel
	.section	.text._ZN4vllm3moe10topkGatingILi4ELi128ELi4ELi16ELi32ElfLNS0_11ScoringFuncE1EEEvPKT5_PKbPfiPT4_PiiiibPKf,"axG",@progbits,_ZN4vllm3moe10topkGatingILi4ELi128ELi4ELi16ELi32ElfLNS0_11ScoringFuncE1EEEvPKT5_PKbPfiPT4_PiiiibPKf,comdat
.Lfunc_end244:
	.size	_ZN4vllm3moe10topkGatingILi4ELi128ELi4ELi16ELi32ElfLNS0_11ScoringFuncE1EEEvPKT5_PKbPfiPT4_PiiiibPKf, .Lfunc_end244-_ZN4vllm3moe10topkGatingILi4ELi128ELi4ELi16ELi32ElfLNS0_11ScoringFuncE1EEEvPKT5_PKbPfiPT4_PiiiibPKf
                                        ; -- End function
	.section	.AMDGPU.csdata,"",@progbits
; Kernel info:
; codeLenInByte = 2532
; NumSgprs: 30
; NumVgprs: 30
; NumAgprs: 0
; TotalNumVgprs: 30
; ScratchSize: 0
; MemoryBound: 0
; FloatMode: 240
; IeeeMode: 1
; LDSByteSize: 0 bytes/workgroup (compile time only)
; SGPRBlocks: 3
; VGPRBlocks: 3
; NumSGPRsForWavesPerEU: 30
; NumVGPRsForWavesPerEU: 30
; AccumOffset: 32
; Occupancy: 8
; WaveLimiterHint : 0
; COMPUTE_PGM_RSRC2:SCRATCH_EN: 0
; COMPUTE_PGM_RSRC2:USER_SGPR: 6
; COMPUTE_PGM_RSRC2:TRAP_HANDLER: 0
; COMPUTE_PGM_RSRC2:TGID_X_EN: 1
; COMPUTE_PGM_RSRC2:TGID_Y_EN: 0
; COMPUTE_PGM_RSRC2:TGID_Z_EN: 0
; COMPUTE_PGM_RSRC2:TIDIG_COMP_CNT: 1
; COMPUTE_PGM_RSRC3_GFX90A:ACCUM_OFFSET: 7
; COMPUTE_PGM_RSRC3_GFX90A:TG_SPLIT: 0
	.section	.text._ZN4vllm3moe10topkGatingILi4ELi256ELi4ELi16ELi64ElfLNS0_11ScoringFuncE1EEEvPKT5_PKbPfiPT4_PiiiibPKf,"axG",@progbits,_ZN4vllm3moe10topkGatingILi4ELi256ELi4ELi16ELi64ElfLNS0_11ScoringFuncE1EEEvPKT5_PKbPfiPT4_PiiiibPKf,comdat
	.protected	_ZN4vllm3moe10topkGatingILi4ELi256ELi4ELi16ELi64ElfLNS0_11ScoringFuncE1EEEvPKT5_PKbPfiPT4_PiiiibPKf ; -- Begin function _ZN4vllm3moe10topkGatingILi4ELi256ELi4ELi16ELi64ElfLNS0_11ScoringFuncE1EEEvPKT5_PKbPfiPT4_PiiiibPKf
	.globl	_ZN4vllm3moe10topkGatingILi4ELi256ELi4ELi16ELi64ElfLNS0_11ScoringFuncE1EEEvPKT5_PKbPfiPT4_PiiiibPKf
	.p2align	8
	.type	_ZN4vllm3moe10topkGatingILi4ELi256ELi4ELi16ELi64ElfLNS0_11ScoringFuncE1EEEvPKT5_PKbPfiPT4_PiiiibPKf,@function
_ZN4vllm3moe10topkGatingILi4ELi256ELi4ELi16ELi64ElfLNS0_11ScoringFuncE1EEEvPKT5_PKbPfiPT4_PiiiibPKf: ; @_ZN4vllm3moe10topkGatingILi4ELi256ELi4ELi16ELi64ElfLNS0_11ScoringFuncE1EEEvPKT5_PKbPfiPT4_PiiiibPKf
; %bb.0:
	s_load_dword s24, s[4:5], 0x18
	v_and_b32_e32 v1, 0x3ff, v0
	s_lshl_b32 s0, s6, 2
	v_lshrrev_b32_e32 v2, 6, v1
	v_bfe_u32 v0, v0, 10, 10
	v_add3_u32 v8, s0, v0, v2
	s_waitcnt lgkmcnt(0)
	v_cmp_gt_i32_e32 vcc, s24, v8
	s_and_saveexec_b64 s[0:1], vcc
	s_cbranch_execz .LBB245_50
; %bb.1:
	s_load_dwordx4 s[0:3], s[4:5], 0x0
	s_load_dwordx2 s[16:17], s[4:5], 0x10
	s_mov_b64 s[8:9], -1
	s_mov_b64 s[18:19], -1
	s_waitcnt lgkmcnt(0)
	s_cmp_eq_u64 s[2:3], 0
	s_cbranch_scc1 .LBB245_3
; %bb.2:
	v_ashrrev_i32_e32 v0, 31, v8
	v_mov_b32_e32 v3, s3
	v_add_co_u32_e32 v2, vcc, s2, v8
	v_addc_co_u32_e32 v3, vcc, v3, v0, vcc
	global_load_ubyte v0, v[2:3], off
	s_waitcnt vmcnt(0)
	v_and_b32_e32 v0, 1, v0
	v_cmp_eq_u32_e32 vcc, 1, v0
	s_xor_b64 s[2:3], vcc, -1
	s_orn2_b64 s[18:19], s[2:3], exec
.LBB245_3:
	v_lshlrev_b32_e32 v2, 8, v8
	v_ashrrev_i32_e32 v3, 31, v2
	v_lshlrev_b64 v[2:3], 2, v[2:3]
	v_mov_b32_e32 v0, s1
	v_add_co_u32_e32 v2, vcc, s0, v2
	v_and_b32_e32 v9, 63, v1
	v_addc_co_u32_e32 v3, vcc, v0, v3, vcc
	v_lshlrev_b32_e32 v0, 4, v9
	v_add_co_u32_e32 v0, vcc, v2, v0
	v_addc_co_u32_e32 v1, vcc, 0, v3, vcc
	global_load_dwordx4 v[0:3], v[0:1], off
	v_mov_b32_e32 v4, 0x207
	s_load_dwordx2 s[10:11], s[4:5], 0x40
	v_lshlrev_b32_e32 v10, 2, v9
	s_waitcnt lgkmcnt(0)
	s_cmp_eq_u64 s[10:11], 0
	s_waitcnt vmcnt(0)
	v_mul_f32_e32 v0, 0xbfb8aa3b, v0
	v_mul_f32_e32 v1, 0xbfb8aa3b, v1
	v_exp_f32_e32 v0, v0
	v_exp_f32_e32 v1, v1
	v_mul_f32_e32 v2, 0xbfb8aa3b, v2
	v_mul_f32_e32 v3, 0xbfb8aa3b, v3
	v_exp_f32_e32 v2, v2
	v_exp_f32_e32 v3, v3
	v_pk_add_f32 v[0:1], v[0:1], 1.0 op_sel_hi:[1,0]
	v_div_scale_f32 v5, s[0:1], v1, v1, 1.0
	v_rcp_f32_e32 v16, v5
	v_div_scale_f32 v7, s[0:1], v0, v0, 1.0
	v_pk_add_f32 v[2:3], v[2:3], 1.0 op_sel_hi:[1,0]
	v_rcp_f32_e32 v17, v7
	v_div_scale_f32 v12, s[2:3], v3, v3, 1.0
	v_rcp_f32_e32 v18, v12
	v_fma_f32 v20, -v5, v16, 1.0
	v_div_scale_f32 v6, vcc, 1.0, v1, 1.0
	v_div_scale_f32 v14, s[6:7], v2, v2, 1.0
	v_fmac_f32_e32 v16, v20, v16
	v_rcp_f32_e32 v19, v14
	v_fma_f32 v21, -v7, v17, 1.0
	v_mul_f32_e32 v20, v6, v16
	v_div_scale_f32 v11, s[0:1], 1.0, v0, 1.0
	v_fmac_f32_e32 v17, v21, v17
	v_fma_f32 v24, -v5, v20, v6
	v_fma_f32 v22, -v12, v18, 1.0
	v_mul_f32_e32 v21, v11, v17
	v_fmac_f32_e32 v20, v24, v16
	v_div_scale_f32 v13, s[2:3], 1.0, v3, 1.0
	v_fmac_f32_e32 v18, v22, v18
	v_fma_f32 v25, -v7, v21, v11
	v_fma_f32 v5, -v5, v20, v6
	v_fma_f32 v23, -v14, v19, 1.0
	v_mul_f32_e32 v22, v13, v18
	v_fmac_f32_e32 v21, v25, v17
	v_div_fmas_f32 v5, v5, v16, v20
	v_div_scale_f32 v15, s[6:7], 1.0, v2, 1.0
	v_fmac_f32_e32 v19, v23, v19
	v_fma_f32 v26, -v12, v22, v13
	v_fma_f32 v6, -v7, v21, v11
	v_div_fixup_f32 v1, v5, v1, 1.0
	s_mov_b64 vcc, s[0:1]
	v_mul_f32_e32 v23, v15, v19
	v_fmac_f32_e32 v22, v26, v18
	v_div_fmas_f32 v5, v6, v17, v21
	v_cmp_class_f32_e32 vcc, v1, v4
	v_fma_f32 v27, -v14, v23, v15
	v_fma_f32 v7, -v12, v22, v13
	v_div_fixup_f32 v0, v5, v0, 1.0
	v_cndmask_b32_e64 v1, v1, 0, vcc
	s_mov_b64 vcc, s[2:3]
	v_fmac_f32_e32 v23, v27, v19
	v_div_fmas_f32 v5, v7, v18, v22
	v_cmp_class_f32_e32 vcc, v0, v4
	v_fma_f32 v11, -v14, v23, v15
	v_cndmask_b32_e64 v0, v0, 0, vcc
	s_mov_b64 vcc, s[6:7]
	v_div_fixup_f32 v3, v5, v3, 1.0
	v_div_fmas_f32 v5, v11, v19, v23
	v_div_fixup_f32 v2, v5, v2, 1.0
	v_cmp_class_f32_e32 vcc, v3, v4
	v_cndmask_b32_e64 v3, v3, 0, vcc
	v_cmp_class_f32_e32 vcc, v2, v4
	v_cndmask_b32_e64 v2, v2, 0, vcc
	s_cbranch_scc1 .LBB245_39
; %bb.4:
	v_lshlrev_b32_e32 v4, 2, v10
	global_load_dwordx4 v[4:7], v4, s[10:11]
	s_waitcnt vmcnt(0)
	v_pk_add_f32 v[4:5], v[4:5], v[0:1]
	v_pk_add_f32 v[6:7], v[6:7], v[2:3]
	s_cbranch_execnz .LBB245_6
.LBB245_5:
	v_pk_mov_b32 v[6:7], v[2:3], v[2:3] op_sel:[0,1]
	v_pk_mov_b32 v[4:5], v[0:1], v[0:1] op_sel:[0,1]
.LBB245_6:
	s_load_dwordx4 s[8:11], s[4:5], 0x30
	s_mov_b32 s25, 0
	v_cmp_eq_u32_e64 s[0:1], 0, v9
	s_waitcnt lgkmcnt(0)
	s_bitcmp1_b32 s11, 0
	s_cselect_b64 vcc, -1, 0
	s_cmp_gt_i32 s8, 0
	s_cselect_b64 s[6:7], -1, 0
	s_cmp_lt_i32 s8, 1
	s_cbranch_scc1 .LBB245_40
; %bb.7:
	v_mbcnt_lo_u32_b32 v11, -1, 0
	v_mbcnt_hi_u32_b32 v11, -1, v11
	v_and_b32_e32 v12, 64, v11
	v_add_u32_e32 v18, 64, v12
	v_xor_b32_e32 v13, 32, v11
	v_cmp_lt_i32_e64 s[2:3], v13, v18
	v_xor_b32_e32 v14, 16, v11
	v_cndmask_b32_e64 v13, v11, v13, s[2:3]
	v_cmp_lt_i32_e64 s[2:3], v14, v18
	v_xor_b32_e32 v15, 8, v11
	v_cndmask_b32_e64 v14, v11, v14, s[2:3]
	v_cmp_lt_i32_e64 s[2:3], v15, v18
	v_xor_b32_e32 v16, 4, v11
	s_load_dwordx4 s[12:15], s[4:5], 0x20
	v_cndmask_b32_e64 v15, v11, v15, s[2:3]
	v_cmp_lt_i32_e64 s[2:3], v16, v18
	v_xor_b32_e32 v17, 2, v11
	v_cndmask_b32_e64 v16, v11, v16, s[2:3]
	v_cmp_lt_i32_e64 s[2:3], v17, v18
	v_xor_b32_e32 v19, 1, v11
	v_cndmask_b32_e64 v17, v11, v17, s[2:3]
	v_cmp_lt_i32_e64 s[2:3], v19, v18
	v_cndmask_b32_e64 v11, v11, v19, s[2:3]
	v_mul_lo_u32 v12, v8, s8
	v_lshlrev_b32_e32 v13, 2, v13
	v_lshlrev_b32_e32 v14, 2, v14
	v_lshlrev_b32_e32 v15, 2, v15
	v_lshlrev_b32_e32 v16, 2, v16
	v_lshlrev_b32_e32 v17, 2, v17
	v_lshlrev_b32_e32 v18, 2, v11
	v_mov_b32_e32 v11, 0
	v_mov_b32_e32 v19, 0x100
	v_mov_b32_e32 v20, 0xc61c4000
	v_mov_b32_e32 v21, v8
	s_branch .LBB245_10
.LBB245_8:                              ;   in Loop: Header=BB245_10 Depth=1
	s_or_b64 exec, exec, s[4:5]
.LBB245_9:                              ;   in Loop: Header=BB245_10 Depth=1
	s_cmp_eq_u32 s8, s25
	v_add_u32_e32 v21, s24, v21
	s_cbranch_scc1 .LBB245_41
.LBB245_10:                             ; =>This Inner Loop Header: Depth=1
	v_cmp_gt_f32_e64 s[2:3], v5, v4
	v_cndmask_b32_e64 v24, v4, v5, s[2:3]
	v_cndmask_b32_e64 v22, 0, 1, s[2:3]
	v_cndmask_b32_e64 v23, v0, v1, s[2:3]
	v_cmp_gt_f32_e64 s[2:3], v6, v24
	v_cndmask_b32_e64 v24, v24, v6, s[2:3]
	v_cndmask_b32_e64 v22, v22, 2, s[2:3]
	;; [unrolled: 1-line block ×3, first 2 shown]
	v_cmp_gt_f32_e64 s[2:3], v7, v24
	v_cndmask_b32_e64 v22, v22, 3, s[2:3]
	v_cndmask_b32_e64 v24, v24, v7, s[2:3]
	v_or_b32_e32 v22, v10, v22
	v_cndmask_b32_e64 v23, v23, v3, s[2:3]
	s_waitcnt lgkmcnt(0)
	ds_bpermute_b32 v25, v13, v24
	ds_bpermute_b32 v27, v13, v23
	;; [unrolled: 1-line block ×3, first 2 shown]
	s_waitcnt lgkmcnt(0)
	v_cmp_lt_f32_e64 s[20:21], v24, v25
	v_cmp_nlt_f32_e64 s[2:3], v24, v25
	s_and_saveexec_b64 s[22:23], s[2:3]
; %bb.11:                               ;   in Loop: Header=BB245_10 Depth=1
	v_cmp_eq_f32_e64 s[2:3], v24, v25
	v_cmp_lt_i32_e64 s[4:5], v26, v22
	s_and_b64 s[2:3], s[2:3], s[4:5]
	s_andn2_b64 s[4:5], s[20:21], exec
	s_and_b64 s[2:3], s[2:3], exec
	s_or_b64 s[20:21], s[4:5], s[2:3]
; %bb.12:                               ;   in Loop: Header=BB245_10 Depth=1
	s_or_b64 exec, exec, s[22:23]
	s_and_saveexec_b64 s[2:3], s[20:21]
; %bb.13:                               ;   in Loop: Header=BB245_10 Depth=1
	v_mov_b32_e32 v23, v27
	v_mov_b32_e32 v24, v25
	;; [unrolled: 1-line block ×3, first 2 shown]
; %bb.14:                               ;   in Loop: Header=BB245_10 Depth=1
	s_or_b64 exec, exec, s[2:3]
	ds_bpermute_b32 v25, v14, v24
	ds_bpermute_b32 v27, v14, v23
	;; [unrolled: 1-line block ×3, first 2 shown]
	s_waitcnt lgkmcnt(2)
	v_cmp_lt_f32_e64 s[20:21], v24, v25
	v_cmp_nlt_f32_e64 s[2:3], v24, v25
	s_and_saveexec_b64 s[22:23], s[2:3]
	s_cbranch_execz .LBB245_16
; %bb.15:                               ;   in Loop: Header=BB245_10 Depth=1
	v_cmp_eq_f32_e64 s[2:3], v24, v25
	s_waitcnt lgkmcnt(0)
	v_cmp_lt_i32_e64 s[4:5], v26, v22
	s_and_b64 s[2:3], s[2:3], s[4:5]
	s_andn2_b64 s[4:5], s[20:21], exec
	s_and_b64 s[2:3], s[2:3], exec
	s_or_b64 s[20:21], s[4:5], s[2:3]
.LBB245_16:                             ;   in Loop: Header=BB245_10 Depth=1
	s_or_b64 exec, exec, s[22:23]
	s_and_saveexec_b64 s[2:3], s[20:21]
	s_cbranch_execz .LBB245_18
; %bb.17:                               ;   in Loop: Header=BB245_10 Depth=1
	s_waitcnt lgkmcnt(1)
	v_mov_b32_e32 v23, v27
	v_mov_b32_e32 v24, v25
	s_waitcnt lgkmcnt(0)
	v_mov_b32_e32 v22, v26
.LBB245_18:                             ;   in Loop: Header=BB245_10 Depth=1
	s_or_b64 exec, exec, s[2:3]
	ds_bpermute_b32 v25, v15, v24
	s_waitcnt lgkmcnt(2)
	ds_bpermute_b32 v27, v15, v23
	s_waitcnt lgkmcnt(2)
	ds_bpermute_b32 v26, v15, v22
	s_waitcnt lgkmcnt(2)
	v_cmp_lt_f32_e64 s[20:21], v24, v25
	v_cmp_nlt_f32_e64 s[2:3], v24, v25
	s_and_saveexec_b64 s[22:23], s[2:3]
	s_cbranch_execz .LBB245_20
; %bb.19:                               ;   in Loop: Header=BB245_10 Depth=1
	v_cmp_eq_f32_e64 s[2:3], v24, v25
	s_waitcnt lgkmcnt(0)
	v_cmp_lt_i32_e64 s[4:5], v26, v22
	s_and_b64 s[2:3], s[2:3], s[4:5]
	s_andn2_b64 s[4:5], s[20:21], exec
	s_and_b64 s[2:3], s[2:3], exec
	s_or_b64 s[20:21], s[4:5], s[2:3]
.LBB245_20:                             ;   in Loop: Header=BB245_10 Depth=1
	s_or_b64 exec, exec, s[22:23]
	s_and_saveexec_b64 s[2:3], s[20:21]
	s_cbranch_execz .LBB245_22
; %bb.21:                               ;   in Loop: Header=BB245_10 Depth=1
	s_waitcnt lgkmcnt(1)
	v_mov_b32_e32 v23, v27
	v_mov_b32_e32 v24, v25
	s_waitcnt lgkmcnt(0)
	v_mov_b32_e32 v22, v26
.LBB245_22:                             ;   in Loop: Header=BB245_10 Depth=1
	s_or_b64 exec, exec, s[2:3]
	ds_bpermute_b32 v25, v16, v24
	s_waitcnt lgkmcnt(2)
	ds_bpermute_b32 v27, v16, v23
	s_waitcnt lgkmcnt(2)
	ds_bpermute_b32 v26, v16, v22
	;; [unrolled: 30-line block ×3, first 2 shown]
	s_waitcnt lgkmcnt(2)
	v_cmp_lt_f32_e64 s[20:21], v24, v25
	v_cmp_nlt_f32_e64 s[2:3], v24, v25
	s_and_saveexec_b64 s[22:23], s[2:3]
	s_cbranch_execz .LBB245_28
; %bb.27:                               ;   in Loop: Header=BB245_10 Depth=1
	v_cmp_eq_f32_e64 s[2:3], v24, v25
	s_waitcnt lgkmcnt(0)
	v_cmp_lt_i32_e64 s[4:5], v26, v22
	s_and_b64 s[2:3], s[2:3], s[4:5]
	s_andn2_b64 s[4:5], s[20:21], exec
	s_and_b64 s[2:3], s[2:3], exec
	s_or_b64 s[20:21], s[4:5], s[2:3]
.LBB245_28:                             ;   in Loop: Header=BB245_10 Depth=1
	s_or_b64 exec, exec, s[22:23]
	s_and_saveexec_b64 s[2:3], s[20:21]
	s_cbranch_execz .LBB245_30
; %bb.29:                               ;   in Loop: Header=BB245_10 Depth=1
	s_waitcnt lgkmcnt(1)
	v_mov_b32_e32 v23, v27
	v_mov_b32_e32 v24, v25
	s_waitcnt lgkmcnt(0)
	v_mov_b32_e32 v22, v26
.LBB245_30:                             ;   in Loop: Header=BB245_10 Depth=1
	s_or_b64 exec, exec, s[2:3]
	s_waitcnt lgkmcnt(1)
	ds_bpermute_b32 v27, v18, v24
	ds_bpermute_b32 v25, v18, v23
	s_waitcnt lgkmcnt(2)
	ds_bpermute_b32 v26, v18, v22
	s_waitcnt lgkmcnt(2)
	v_cmp_lt_f32_e64 s[20:21], v24, v27
	v_cmp_nlt_f32_e64 s[2:3], v24, v27
	s_and_saveexec_b64 s[22:23], s[2:3]
	s_cbranch_execnz .LBB245_34
; %bb.31:                               ;   in Loop: Header=BB245_10 Depth=1
	s_or_b64 exec, exec, s[22:23]
	s_and_saveexec_b64 s[2:3], s[20:21]
	s_cbranch_execnz .LBB245_35
.LBB245_32:                             ;   in Loop: Header=BB245_10 Depth=1
	s_or_b64 exec, exec, s[2:3]
	s_and_saveexec_b64 s[20:21], s[0:1]
	s_cbranch_execnz .LBB245_36
.LBB245_33:                             ;   in Loop: Header=BB245_10 Depth=1
	s_or_b64 exec, exec, s[20:21]
	s_add_i32 s25, s25, 1
	s_cmp_ge_i32 s25, s8
	s_cbranch_scc1 .LBB245_9
	s_branch .LBB245_37
.LBB245_34:                             ;   in Loop: Header=BB245_10 Depth=1
	v_cmp_eq_f32_e64 s[2:3], v24, v27
	s_waitcnt lgkmcnt(0)
	v_cmp_lt_i32_e64 s[4:5], v26, v22
	s_and_b64 s[2:3], s[2:3], s[4:5]
	s_andn2_b64 s[4:5], s[20:21], exec
	s_and_b64 s[2:3], s[2:3], exec
	s_or_b64 s[20:21], s[4:5], s[2:3]
	s_or_b64 exec, exec, s[22:23]
	s_and_saveexec_b64 s[2:3], s[20:21]
	s_cbranch_execz .LBB245_32
.LBB245_35:                             ;   in Loop: Header=BB245_10 Depth=1
	s_waitcnt lgkmcnt(0)
	v_mov_b32_e32 v22, v26
	v_mov_b32_e32 v23, v25
	s_or_b64 exec, exec, s[2:3]
	s_and_saveexec_b64 s[20:21], s[0:1]
	s_cbranch_execz .LBB245_33
.LBB245_36:                             ;   in Loop: Header=BB245_10 Depth=1
	v_add_u32_e32 v24, s25, v12
	s_waitcnt lgkmcnt(1)
	v_ashrrev_i32_e32 v25, 31, v24
	v_cmp_le_i32_e64 s[2:3], s9, v22
	v_cmp_gt_i32_e64 s[4:5], s10, v22
	s_waitcnt lgkmcnt(0)
	v_lshlrev_b64 v[26:27], 2, v[24:25]
	s_and_b64 s[4:5], s[2:3], s[4:5]
	v_mov_b32_e32 v29, s17
	v_add_co_u32_e64 v28, s[2:3], s16, v26
	v_addc_co_u32_e64 v29, s[2:3], v29, v27, s[2:3]
	global_store_dword v[28:29], v23, off
	v_subrev_u32_e32 v28, s9, v22
	v_ashrrev_i32_e32 v29, 31, v28
	s_and_b64 s[2:3], s[18:19], s[4:5]
	v_lshlrev_b64 v[24:25], 3, v[24:25]
	v_cndmask_b32_e64 v29, 0, v29, s[2:3]
	v_cndmask_b32_e64 v28, v19, v28, s[2:3]
	v_mov_b32_e32 v30, s13
	v_add_co_u32_e64 v24, s[2:3], s12, v24
	v_addc_co_u32_e64 v25, s[2:3], v30, v25, s[2:3]
	global_store_dwordx2 v[24:25], v[28:29], off
	v_mov_b32_e32 v25, s15
	v_add_co_u32_e64 v24, s[2:3], s14, v26
	v_add_f32_e32 v23, v11, v23
	v_addc_co_u32_e64 v25, s[2:3], v25, v27, s[2:3]
	v_cndmask_b32_e32 v11, v11, v23, vcc
	global_store_dword v[24:25], v21, off
	s_or_b64 exec, exec, s[20:21]
	s_add_i32 s25, s25, 1
	s_cmp_ge_i32 s25, s8
	s_cbranch_scc1 .LBB245_9
.LBB245_37:                             ;   in Loop: Header=BB245_10 Depth=1
	v_ashrrev_i32_e32 v23, 31, v22
	v_lshrrev_b32_e32 v24, 30, v23
	s_waitcnt lgkmcnt(1)
	v_add_u32_e32 v25, v22, v24
	v_ashrrev_i32_e32 v24, 2, v25
	v_ashrrev_i32_e32 v25, 31, v25
	v_lshrrev_b32_e32 v25, 26, v25
	v_add_u32_e32 v25, v24, v25
	v_and_b32_e32 v25, 0xffffffc0, v25
	v_sub_u32_e32 v25, v24, v25
	v_cmp_eq_u32_e64 s[2:3], v9, v25
	s_and_saveexec_b64 s[4:5], s[2:3]
	s_cbranch_execz .LBB245_8
; %bb.38:                               ;   in Loop: Header=BB245_10 Depth=1
	v_add_u32_sdwa v23, v22, v23 dst_sel:DWORD dst_unused:UNUSED_PAD src0_sel:DWORD src1_sel:BYTE_3
	v_lshlrev_b32_e32 v24, 2, v24
	v_ashrrev_i32_e32 v23, 8, v23
	v_sub_u32_e32 v22, v22, v24
	v_lshl_add_u32 v22, v23, 2, v22
	v_cmp_ne_u32_e64 s[2:3], 3, v22
	v_cndmask_b32_e64 v7, v20, v7, s[2:3]
	v_cmp_ne_u32_e64 s[2:3], 2, v22
	v_cndmask_b32_e64 v6, v20, v6, s[2:3]
	;; [unrolled: 2-line block ×4, first 2 shown]
	s_branch .LBB245_8
.LBB245_39:
                                        ; implicit-def: $vgpr4_vgpr5_vgpr6_vgpr7
	s_andn2_b64 vcc, exec, s[8:9]
	s_cbranch_vccz .LBB245_5
	s_branch .LBB245_6
.LBB245_40:
	v_mov_b32_e32 v11, 0
.LBB245_41:
	v_cmp_eq_u32_e64 s[0:1], 0, v9
	s_and_b64 s[0:1], s[0:1], vcc
	s_and_b64 exec, exec, s[0:1]
	s_cbranch_execz .LBB245_50
; %bb.42:
	s_andn2_b64 vcc, exec, s[6:7]
	s_cbranch_vccnz .LBB245_50
; %bb.43:
	v_cmp_lt_f32_e32 vcc, 0, v11
	s_mov_b32 s2, 0
	v_cndmask_b32_e32 v0, 1.0, v11, vcc
	v_mul_lo_u32 v4, v8, s8
	s_cmp_eq_u32 s8, 1
	s_mov_b64 s[0:1], -1
	s_cbranch_scc1 .LBB245_47
; %bb.44:
	s_and_b32 s2, s8, 0x7ffffffe
	v_mov_b32_e32 v1, v0
	v_mov_b32_e32 v5, s17
	s_mov_b32 s3, s2
	v_mov_b32_e32 v2, v4
.LBB245_45:                             ; =>This Inner Loop Header: Depth=1
	v_ashrrev_i32_e32 v3, 31, v2
	v_lshlrev_b64 v[6:7], 2, v[2:3]
	v_add_co_u32_e32 v6, vcc, s16, v6
	v_addc_co_u32_e32 v7, vcc, v5, v7, vcc
	global_load_dwordx2 v[8:9], v[6:7], off
	s_add_i32 s3, s3, -2
	s_cmp_lg_u32 s3, 0
	v_add_u32_e32 v2, 2, v2
	s_waitcnt vmcnt(0)
	v_div_scale_f32 v3, s[0:1], v1, v1, v9
	v_div_scale_f32 v11, s[0:1], v0, v0, v8
	v_rcp_f32_e32 v12, v3
	v_rcp_f32_e32 v13, v11
	v_div_scale_f32 v10, vcc, v9, v1, v9
	v_fma_f32 v15, -v3, v12, 1.0
	v_fma_f32 v16, -v11, v13, 1.0
	v_fmac_f32_e32 v12, v15, v12
	v_div_scale_f32 v14, s[0:1], v8, v0, v8
	v_fmac_f32_e32 v13, v16, v13
	v_mul_f32_e32 v15, v10, v12
	v_mul_f32_e32 v16, v14, v13
	v_fma_f32 v17, -v3, v15, v10
	v_fma_f32 v18, -v11, v16, v14
	v_fmac_f32_e32 v15, v17, v12
	v_fmac_f32_e32 v16, v18, v13
	v_fma_f32 v3, -v3, v15, v10
	v_fma_f32 v10, -v11, v16, v14
	v_div_fmas_f32 v3, v3, v12, v15
	s_mov_b64 vcc, s[0:1]
	v_div_fixup_f32 v9, v3, v1, v9
	v_div_fmas_f32 v3, v10, v13, v16
	v_div_fixup_f32 v8, v3, v0, v8
	global_store_dwordx2 v[6:7], v[8:9], off
	s_cbranch_scc1 .LBB245_45
; %bb.46:
	s_cmp_lg_u32 s2, s8
	s_cselect_b64 s[0:1], -1, 0
.LBB245_47:
	s_and_b64 vcc, exec, s[0:1]
	s_cbranch_vccz .LBB245_50
; %bb.48:
	v_ashrrev_i32_e32 v1, 31, v4
	v_add_co_u32_e32 v2, vcc, s2, v4
	v_addc_co_u32_e32 v3, vcc, 0, v1, vcc
	v_lshlrev_b64 v[2:3], 2, v[2:3]
	v_mov_b32_e32 v1, s17
	v_add_co_u32_e32 v2, vcc, s16, v2
	s_sub_i32 s0, s8, s2
	v_addc_co_u32_e32 v3, vcc, v1, v3, vcc
.LBB245_49:                             ; =>This Inner Loop Header: Depth=1
	global_load_dword v1, v[2:3], off
	s_add_i32 s0, s0, -1
	s_cmp_lg_u32 s0, 0
	s_waitcnt vmcnt(0)
	v_div_scale_f32 v4, s[2:3], v0, v0, v1
	v_rcp_f32_e32 v5, v4
	v_div_scale_f32 v6, vcc, v1, v0, v1
	v_fma_f32 v7, -v4, v5, 1.0
	v_fmac_f32_e32 v5, v7, v5
	v_mul_f32_e32 v7, v6, v5
	v_fma_f32 v8, -v4, v7, v6
	v_fmac_f32_e32 v7, v8, v5
	v_fma_f32 v4, -v4, v7, v6
	v_div_fmas_f32 v4, v4, v5, v7
	v_div_fixup_f32 v1, v4, v0, v1
	global_store_dword v[2:3], v1, off
	v_add_co_u32_e32 v2, vcc, 4, v2
	v_addc_co_u32_e32 v3, vcc, 0, v3, vcc
	s_cbranch_scc1 .LBB245_49
.LBB245_50:
	s_endpgm
	.section	.rodata,"a",@progbits
	.p2align	6, 0x0
	.amdhsa_kernel _ZN4vllm3moe10topkGatingILi4ELi256ELi4ELi16ELi64ElfLNS0_11ScoringFuncE1EEEvPKT5_PKbPfiPT4_PiiiibPKf
		.amdhsa_group_segment_fixed_size 0
		.amdhsa_private_segment_fixed_size 0
		.amdhsa_kernarg_size 72
		.amdhsa_user_sgpr_count 6
		.amdhsa_user_sgpr_private_segment_buffer 1
		.amdhsa_user_sgpr_dispatch_ptr 0
		.amdhsa_user_sgpr_queue_ptr 0
		.amdhsa_user_sgpr_kernarg_segment_ptr 1
		.amdhsa_user_sgpr_dispatch_id 0
		.amdhsa_user_sgpr_flat_scratch_init 0
		.amdhsa_user_sgpr_kernarg_preload_length 0
		.amdhsa_user_sgpr_kernarg_preload_offset 0
		.amdhsa_user_sgpr_private_segment_size 0
		.amdhsa_uses_dynamic_stack 0
		.amdhsa_system_sgpr_private_segment_wavefront_offset 0
		.amdhsa_system_sgpr_workgroup_id_x 1
		.amdhsa_system_sgpr_workgroup_id_y 0
		.amdhsa_system_sgpr_workgroup_id_z 0
		.amdhsa_system_sgpr_workgroup_info 0
		.amdhsa_system_vgpr_workitem_id 1
		.amdhsa_next_free_vgpr 31
		.amdhsa_next_free_sgpr 26
		.amdhsa_accum_offset 32
		.amdhsa_reserve_vcc 1
		.amdhsa_reserve_flat_scratch 0
		.amdhsa_float_round_mode_32 0
		.amdhsa_float_round_mode_16_64 0
		.amdhsa_float_denorm_mode_32 3
		.amdhsa_float_denorm_mode_16_64 3
		.amdhsa_dx10_clamp 1
		.amdhsa_ieee_mode 1
		.amdhsa_fp16_overflow 0
		.amdhsa_tg_split 0
		.amdhsa_exception_fp_ieee_invalid_op 0
		.amdhsa_exception_fp_denorm_src 0
		.amdhsa_exception_fp_ieee_div_zero 0
		.amdhsa_exception_fp_ieee_overflow 0
		.amdhsa_exception_fp_ieee_underflow 0
		.amdhsa_exception_fp_ieee_inexact 0
		.amdhsa_exception_int_div_zero 0
	.end_amdhsa_kernel
	.section	.text._ZN4vllm3moe10topkGatingILi4ELi256ELi4ELi16ELi64ElfLNS0_11ScoringFuncE1EEEvPKT5_PKbPfiPT4_PiiiibPKf,"axG",@progbits,_ZN4vllm3moe10topkGatingILi4ELi256ELi4ELi16ELi64ElfLNS0_11ScoringFuncE1EEEvPKT5_PKbPfiPT4_PiiiibPKf,comdat
.Lfunc_end245:
	.size	_ZN4vllm3moe10topkGatingILi4ELi256ELi4ELi16ELi64ElfLNS0_11ScoringFuncE1EEEvPKT5_PKbPfiPT4_PiiiibPKf, .Lfunc_end245-_ZN4vllm3moe10topkGatingILi4ELi256ELi4ELi16ELi64ElfLNS0_11ScoringFuncE1EEEvPKT5_PKbPfiPT4_PiiiibPKf
                                        ; -- End function
	.section	.AMDGPU.csdata,"",@progbits
; Kernel info:
; codeLenInByte = 2684
; NumSgprs: 30
; NumVgprs: 31
; NumAgprs: 0
; TotalNumVgprs: 31
; ScratchSize: 0
; MemoryBound: 0
; FloatMode: 240
; IeeeMode: 1
; LDSByteSize: 0 bytes/workgroup (compile time only)
; SGPRBlocks: 3
; VGPRBlocks: 3
; NumSGPRsForWavesPerEU: 30
; NumVGPRsForWavesPerEU: 31
; AccumOffset: 32
; Occupancy: 8
; WaveLimiterHint : 0
; COMPUTE_PGM_RSRC2:SCRATCH_EN: 0
; COMPUTE_PGM_RSRC2:USER_SGPR: 6
; COMPUTE_PGM_RSRC2:TRAP_HANDLER: 0
; COMPUTE_PGM_RSRC2:TGID_X_EN: 1
; COMPUTE_PGM_RSRC2:TGID_Y_EN: 0
; COMPUTE_PGM_RSRC2:TGID_Z_EN: 0
; COMPUTE_PGM_RSRC2:TIDIG_COMP_CNT: 1
; COMPUTE_PGM_RSRC3_GFX90A:ACCUM_OFFSET: 7
; COMPUTE_PGM_RSRC3_GFX90A:TG_SPLIT: 0
	.section	.text._ZN4vllm3moe10topkGatingILi8ELi256ELi4ELi16ELi32ElfLNS0_11ScoringFuncE1EEEvPKT5_PKbPfiPT4_PiiiibPKf,"axG",@progbits,_ZN4vllm3moe10topkGatingILi8ELi256ELi4ELi16ELi32ElfLNS0_11ScoringFuncE1EEEvPKT5_PKbPfiPT4_PiiiibPKf,comdat
	.protected	_ZN4vllm3moe10topkGatingILi8ELi256ELi4ELi16ELi32ElfLNS0_11ScoringFuncE1EEEvPKT5_PKbPfiPT4_PiiiibPKf ; -- Begin function _ZN4vllm3moe10topkGatingILi8ELi256ELi4ELi16ELi32ElfLNS0_11ScoringFuncE1EEEvPKT5_PKbPfiPT4_PiiiibPKf
	.globl	_ZN4vllm3moe10topkGatingILi8ELi256ELi4ELi16ELi32ElfLNS0_11ScoringFuncE1EEEvPKT5_PKbPfiPT4_PiiiibPKf
	.p2align	8
	.type	_ZN4vllm3moe10topkGatingILi8ELi256ELi4ELi16ELi32ElfLNS0_11ScoringFuncE1EEEvPKT5_PKbPfiPT4_PiiiibPKf,@function
_ZN4vllm3moe10topkGatingILi8ELi256ELi4ELi16ELi32ElfLNS0_11ScoringFuncE1EEEvPKT5_PKbPfiPT4_PiiiibPKf: ; @_ZN4vllm3moe10topkGatingILi8ELi256ELi4ELi16ELi32ElfLNS0_11ScoringFuncE1EEEvPKT5_PKbPfiPT4_PiiiibPKf
; %bb.0:
	s_load_dword s24, s[4:5], 0x18
	v_and_b32_e32 v1, 0x3ff, v0
	s_lshl_b32 s0, s6, 2
	v_lshrrev_b32_e32 v2, 5, v1
	v_bfe_u32 v0, v0, 10, 10
	v_add3_u32 v17, s0, v0, v2
	s_waitcnt lgkmcnt(0)
	v_cmp_gt_i32_e32 vcc, s24, v17
	s_and_saveexec_b64 s[0:1], vcc
	s_cbranch_execz .LBB246_42
; %bb.1:
	s_load_dwordx4 s[0:3], s[4:5], 0x0
	s_load_dwordx2 s[16:17], s[4:5], 0x10
	s_mov_b64 s[8:9], -1
	s_mov_b64 s[18:19], -1
	s_waitcnt lgkmcnt(0)
	s_cmp_eq_u64 s[2:3], 0
	s_cbranch_scc1 .LBB246_3
; %bb.2:
	v_ashrrev_i32_e32 v0, 31, v17
	v_mov_b32_e32 v3, s3
	v_add_co_u32_e32 v2, vcc, s2, v17
	v_addc_co_u32_e32 v3, vcc, v3, v0, vcc
	global_load_ubyte v0, v[2:3], off
	s_waitcnt vmcnt(0)
	v_and_b32_e32 v0, 1, v0
	v_cmp_eq_u32_e32 vcc, 1, v0
	s_xor_b64 s[2:3], vcc, -1
	s_orn2_b64 s[18:19], s[2:3], exec
.LBB246_3:
	v_lshlrev_b32_e32 v2, 8, v17
	v_ashrrev_i32_e32 v3, 31, v2
	v_lshlrev_b64 v[2:3], 2, v[2:3]
	v_mov_b32_e32 v0, s1
	v_add_co_u32_e32 v2, vcc, s0, v2
	v_and_b32_e32 v21, 31, v1
	v_addc_co_u32_e32 v0, vcc, v0, v3, vcc
	v_lshlrev_b32_e32 v1, 4, v21
	v_add_co_u32_e32 v8, vcc, v2, v1
	v_addc_co_u32_e32 v9, vcc, 0, v0, vcc
	global_load_dwordx4 v[0:3], v[8:9], off
	global_load_dwordx4 v[4:7], v[8:9], off offset:512
	v_mov_b32_e32 v8, 0x207
	s_load_dwordx2 s[10:11], s[4:5], 0x40
	v_lshlrev_b32_e32 v22, 2, v21
	s_waitcnt lgkmcnt(0)
	s_cmp_eq_u64 s[10:11], 0
	s_waitcnt vmcnt(1)
	v_mul_f32_e32 v0, 0xbfb8aa3b, v0
	v_mul_f32_e32 v1, 0xbfb8aa3b, v1
	v_exp_f32_e32 v0, v0
	v_exp_f32_e32 v1, v1
	s_waitcnt vmcnt(0)
	v_mul_f32_e32 v4, 0xbfb8aa3b, v4
	v_mul_f32_e32 v5, 0xbfb8aa3b, v5
	v_exp_f32_e32 v4, v4
	v_exp_f32_e32 v5, v5
	v_mul_f32_e32 v2, 0xbfb8aa3b, v2
	v_mul_f32_e32 v3, 0xbfb8aa3b, v3
	v_exp_f32_e32 v2, v2
	v_exp_f32_e32 v3, v3
	v_pk_add_f32 v[0:1], v[0:1], 1.0 op_sel_hi:[1,0]
	v_div_scale_f32 v9, s[0:1], v1, v1, 1.0
	v_pk_add_f32 v[4:5], v[4:5], 1.0 op_sel_hi:[1,0]
	v_rcp_f32_e32 v19, v9
	v_div_scale_f32 v11, s[0:1], v0, v0, 1.0
	v_div_scale_f32 v18, s[12:13], v5, v5, 1.0
	v_pk_add_f32 v[2:3], v[2:3], 1.0 op_sel_hi:[1,0]
	v_rcp_f32_e32 v20, v11
	v_rcp_f32_e32 v25, v18
	v_div_scale_f32 v13, s[2:3], v3, v3, 1.0
	v_rcp_f32_e32 v23, v13
	v_fma_f32 v26, -v9, v19, 1.0
	v_div_scale_f32 v10, vcc, 1.0, v1, 1.0
	v_div_scale_f32 v15, s[6:7], v2, v2, 1.0
	v_fmac_f32_e32 v19, v26, v19
	v_rcp_f32_e32 v24, v15
	v_fma_f32 v27, -v11, v20, 1.0
	v_fma_f32 v30, -v18, v25, 1.0
	v_mul_f32_e32 v26, v10, v19
	v_div_scale_f32 v12, s[0:1], 1.0, v0, 1.0
	v_fmac_f32_e32 v20, v27, v20
	v_fmac_f32_e32 v25, v30, v25
	v_fma_f32 v30, -v9, v26, v10
	v_fma_f32 v28, -v13, v23, 1.0
	v_mul_f32_e32 v27, v12, v20
	v_fmac_f32_e32 v26, v30, v19
	v_div_scale_f32 v14, s[2:3], 1.0, v3, 1.0
	v_fmac_f32_e32 v23, v28, v23
	v_fma_f32 v31, -v11, v27, v12
	v_fma_f32 v9, -v9, v26, v10
	v_fma_f32 v29, -v15, v24, 1.0
	v_mul_f32_e32 v28, v14, v23
	v_fmac_f32_e32 v27, v31, v20
	v_div_fmas_f32 v9, v9, v19, v26
	v_div_scale_f32 v16, s[6:7], 1.0, v2, 1.0
	v_fmac_f32_e32 v24, v29, v24
	v_fma_f32 v32, -v13, v28, v14
	v_fma_f32 v10, -v11, v27, v12
	v_div_fixup_f32 v1, v9, v1, 1.0
	s_mov_b64 vcc, s[0:1]
	v_mul_f32_e32 v29, v16, v24
	v_fmac_f32_e32 v28, v32, v23
	v_div_fmas_f32 v9, v10, v20, v27
	v_cmp_class_f32_e32 vcc, v1, v8
	v_fma_f32 v33, -v15, v29, v16
	v_fma_f32 v11, -v13, v28, v14
	v_div_fixup_f32 v0, v9, v0, 1.0
	v_cndmask_b32_e64 v1, v1, 0, vcc
	s_mov_b64 vcc, s[2:3]
	v_fmac_f32_e32 v29, v33, v24
	v_div_fmas_f32 v9, v11, v23, v28
	v_cmp_class_f32_e32 vcc, v0, v8
	v_fma_f32 v12, -v15, v29, v16
	v_cndmask_b32_e64 v0, v0, 0, vcc
	s_mov_b64 vcc, s[6:7]
	v_div_fixup_f32 v3, v9, v3, 1.0
	v_div_fmas_f32 v9, v12, v24, v29
	v_div_fixup_f32 v2, v9, v2, 1.0
	v_cmp_class_f32_e32 vcc, v3, v8
	v_cndmask_b32_e64 v3, v3, 0, vcc
	v_cmp_class_f32_e32 vcc, v2, v8
	v_cndmask_b32_e64 v2, v2, 0, vcc
	v_div_scale_f32 v9, vcc, 1.0, v5, 1.0
	v_mul_f32_e32 v10, v9, v25
	v_fma_f32 v11, -v18, v10, v9
	v_fmac_f32_e32 v10, v11, v25
	v_div_scale_f32 v11, s[0:1], v4, v4, 1.0
	v_rcp_f32_e32 v12, v11
	v_fma_f32 v9, -v18, v10, v9
	v_div_fmas_f32 v9, v9, v25, v10
	v_div_fixup_f32 v5, v9, v5, 1.0
	v_fma_f32 v9, -v11, v12, 1.0
	v_mul_f32_e32 v6, 0xbfb8aa3b, v6
	v_mul_f32_e32 v7, 0xbfb8aa3b, v7
	v_fmac_f32_e32 v12, v9, v12
	v_div_scale_f32 v9, vcc, 1.0, v4, 1.0
	v_exp_f32_e32 v6, v6
	v_exp_f32_e32 v7, v7
	v_mul_f32_e32 v10, v9, v12
	v_fma_f32 v13, -v11, v10, v9
	v_fmac_f32_e32 v10, v13, v12
	v_fma_f32 v9, -v11, v10, v9
	v_div_fmas_f32 v9, v9, v12, v10
	v_pk_add_f32 v[6:7], v[6:7], 1.0 op_sel_hi:[1,0]
	v_div_fixup_f32 v4, v9, v4, 1.0
	v_div_scale_f32 v9, s[0:1], v7, v7, 1.0
	v_rcp_f32_e32 v10, v9
	v_cmp_class_f32_e32 vcc, v5, v8
	v_cndmask_b32_e64 v5, v5, 0, vcc
	v_cmp_class_f32_e32 vcc, v4, v8
	v_fma_f32 v11, -v9, v10, 1.0
	v_cndmask_b32_e64 v4, v4, 0, vcc
	v_fmac_f32_e32 v10, v11, v10
	v_div_scale_f32 v11, vcc, 1.0, v7, 1.0
	v_mul_f32_e32 v12, v11, v10
	v_fma_f32 v13, -v9, v12, v11
	v_fmac_f32_e32 v12, v13, v10
	v_fma_f32 v9, -v9, v12, v11
	v_div_scale_f32 v11, s[0:1], v6, v6, 1.0
	v_rcp_f32_e32 v13, v11
	v_div_fmas_f32 v9, v9, v10, v12
	v_div_fixup_f32 v7, v9, v7, 1.0
	v_fma_f32 v9, -v11, v13, 1.0
	v_fmac_f32_e32 v13, v9, v13
	v_div_scale_f32 v9, vcc, 1.0, v6, 1.0
	v_mul_f32_e32 v10, v9, v13
	v_fma_f32 v12, -v11, v10, v9
	v_fmac_f32_e32 v10, v12, v13
	v_fma_f32 v9, -v11, v10, v9
	v_div_fmas_f32 v9, v9, v13, v10
	v_div_fixup_f32 v6, v9, v6, 1.0
	v_cmp_class_f32_e32 vcc, v7, v8
	v_cndmask_b32_e64 v7, v7, 0, vcc
	v_cmp_class_f32_e32 vcc, v6, v8
	v_cndmask_b32_e64 v6, v6, 0, vcc
	s_cbranch_scc1 .LBB246_31
; %bb.4:
	v_lshlrev_b32_e32 v16, 2, v22
	global_load_dwordx4 v[8:11], v16, s[10:11]
	global_load_dwordx4 v[12:15], v16, s[10:11] offset:512
	s_waitcnt vmcnt(1)
	v_pk_add_f32 v[8:9], v[8:9], v[0:1]
	v_pk_add_f32 v[10:11], v[10:11], v[2:3]
	s_waitcnt vmcnt(0)
	v_pk_add_f32 v[12:13], v[12:13], v[4:5]
	v_pk_add_f32 v[14:15], v[14:15], v[6:7]
	s_cbranch_execnz .LBB246_6
.LBB246_5:
	v_pk_mov_b32 v[14:15], v[6:7], v[6:7] op_sel:[0,1]
	v_pk_mov_b32 v[12:13], v[4:5], v[4:5] op_sel:[0,1]
	;; [unrolled: 1-line block ×4, first 2 shown]
.LBB246_6:
	s_load_dwordx4 s[8:11], s[4:5], 0x30
	s_mov_b32 s25, 0
	v_cmp_eq_u32_e64 s[0:1], 0, v21
	s_waitcnt lgkmcnt(0)
	s_bitcmp1_b32 s11, 0
	s_cselect_b64 vcc, -1, 0
	s_cmp_gt_i32 s8, 0
	s_cselect_b64 s[20:21], -1, 0
	s_cmp_lt_i32 s8, 1
	s_cbranch_scc1 .LBB246_32
; %bb.7:
	v_mbcnt_lo_u32_b32 v16, -1, 0
	v_mbcnt_hi_u32_b32 v16, -1, v16
	v_and_b32_e32 v18, 0x60, v16
	v_add_u32_e32 v18, 32, v18
	v_xor_b32_e32 v19, 16, v16
	v_cmp_lt_i32_e64 s[2:3], v19, v18
	v_cndmask_b32_e64 v19, v16, v19, s[2:3]
	v_lshlrev_b32_e32 v25, 2, v19
	v_xor_b32_e32 v19, 8, v16
	v_cmp_lt_i32_e64 s[2:3], v19, v18
	v_cndmask_b32_e64 v19, v16, v19, s[2:3]
	v_lshlrev_b32_e32 v26, 2, v19
	;; [unrolled: 4-line block ×3, first 2 shown]
	v_xor_b32_e32 v19, 2, v16
	v_cmp_lt_i32_e64 s[2:3], v19, v18
	s_load_dwordx4 s[12:15], s[4:5], 0x20
	v_cndmask_b32_e64 v19, v16, v19, s[2:3]
	v_lshlrev_b32_e32 v28, 2, v19
	v_xor_b32_e32 v19, 1, v16
	v_cmp_lt_i32_e64 s[2:3], v19, v18
	v_cndmask_b32_e64 v16, v16, v19, s[2:3]
	v_mul_lo_u32 v24, v17, s8
	v_lshlrev_b32_e32 v29, 2, v16
	v_mov_b32_e32 v23, 0
	v_mov_b32_e32 v30, 0x80
	;; [unrolled: 1-line block ×8, first 2 shown]
	s_branch .LBB246_10
.LBB246_8:                              ;   in Loop: Header=BB246_10 Depth=1
	s_or_b64 exec, exec, s[4:5]
.LBB246_9:                              ;   in Loop: Header=BB246_10 Depth=1
	s_cmp_eq_u32 s8, s25
	v_add_u32_e32 v36, s24, v36
	s_cbranch_scc1 .LBB246_33
.LBB246_10:                             ; =>This Inner Loop Header: Depth=1
	v_cmp_gt_f32_e64 s[2:3], v9, v8
	s_waitcnt lgkmcnt(0)
	v_cndmask_b32_e64 v19, v8, v9, s[2:3]
	v_cndmask_b32_e64 v16, 0, 1, s[2:3]
	v_cndmask_b32_e64 v18, v0, v1, s[2:3]
	v_cmp_gt_f32_e64 s[2:3], v10, v19
	v_cndmask_b32_e64 v19, v19, v10, s[2:3]
	v_cndmask_b32_e64 v16, v16, 2, s[2:3]
	v_cndmask_b32_e64 v18, v18, v2, s[2:3]
	v_cmp_gt_f32_e64 s[2:3], v11, v19
	;; [unrolled: 4-line block ×6, first 2 shown]
	v_cndmask_b32_e64 v16, v16, v33, s[2:3]
	v_cndmask_b32_e64 v37, v19, v15, s[2:3]
	v_or_b32_e32 v38, v22, v16
	v_cndmask_b32_e64 v16, v18, v7, s[2:3]
	ds_bpermute_b32 v40, v25, v37
	ds_bpermute_b32 v20, v25, v16
	;; [unrolled: 1-line block ×3, first 2 shown]
                                        ; implicit-def: $vgpr18_vgpr19
	s_waitcnt lgkmcnt(0)
	v_cmp_lt_f32_e64 s[6:7], v37, v40
	v_cmp_nlt_f32_e64 s[2:3], v37, v40
	s_and_saveexec_b64 s[22:23], s[2:3]
; %bb.11:                               ;   in Loop: Header=BB246_10 Depth=1
	v_cmp_eq_f32_e64 s[2:3], v37, v40
	v_cmp_lt_i32_e64 s[4:5], v39, v38
	s_and_b64 s[2:3], s[2:3], s[4:5]
	s_andn2_b64 s[4:5], s[6:7], exec
	s_and_b64 s[2:3], s[2:3], exec
	s_or_b64 s[6:7], s[4:5], s[2:3]
	v_pk_mov_b32 v[18:19], v[16:17], v[16:17] op_sel:[0,1]
; %bb.12:                               ;   in Loop: Header=BB246_10 Depth=1
	s_or_b64 exec, exec, s[22:23]
	s_and_saveexec_b64 s[2:3], s[6:7]
; %bb.13:                               ;   in Loop: Header=BB246_10 Depth=1
	v_mov_b32_e32 v37, v40
	v_mov_b32_e32 v16, v20
	;; [unrolled: 1-line block ×3, first 2 shown]
	v_pk_mov_b32 v[18:19], v[20:21], v[20:21] op_sel:[0,1]
; %bb.14:                               ;   in Loop: Header=BB246_10 Depth=1
	s_or_b64 exec, exec, s[2:3]
	ds_bpermute_b32 v39, v26, v37
	ds_bpermute_b32 v20, v26, v16
	;; [unrolled: 1-line block ×3, first 2 shown]
	s_waitcnt lgkmcnt(2)
	v_cmp_lt_f32_e64 s[6:7], v37, v39
	v_cmp_nlt_f32_e64 s[2:3], v37, v39
	s_and_saveexec_b64 s[22:23], s[2:3]
	s_cbranch_execz .LBB246_16
; %bb.15:                               ;   in Loop: Header=BB246_10 Depth=1
	v_cmp_eq_f32_e64 s[2:3], v37, v39
	s_waitcnt lgkmcnt(0)
	v_cmp_lt_i32_e64 s[4:5], v19, v38
	s_and_b64 s[2:3], s[2:3], s[4:5]
	s_andn2_b64 s[4:5], s[6:7], exec
	s_and_b64 s[2:3], s[2:3], exec
	s_or_b64 s[6:7], s[4:5], s[2:3]
.LBB246_16:                             ;   in Loop: Header=BB246_10 Depth=1
	s_or_b64 exec, exec, s[22:23]
	s_and_saveexec_b64 s[2:3], s[6:7]
	s_cbranch_execz .LBB246_18
; %bb.17:                               ;   in Loop: Header=BB246_10 Depth=1
	v_mov_b32_e32 v37, v39
	s_waitcnt lgkmcnt(1)
	v_mov_b32_e32 v16, v20
	s_waitcnt lgkmcnt(0)
	v_mov_b32_e32 v38, v19
	v_pk_mov_b32 v[18:19], v[20:21], v[20:21] op_sel:[0,1]
.LBB246_18:                             ;   in Loop: Header=BB246_10 Depth=1
	s_or_b64 exec, exec, s[2:3]
	ds_bpermute_b32 v39, v27, v37
	s_waitcnt lgkmcnt(2)
	ds_bpermute_b32 v20, v27, v16
	s_waitcnt lgkmcnt(2)
	;; [unrolled: 2-line block ×3, first 2 shown]
	v_cmp_lt_f32_e64 s[6:7], v37, v39
	v_cmp_nlt_f32_e64 s[2:3], v37, v39
	s_and_saveexec_b64 s[22:23], s[2:3]
	s_cbranch_execz .LBB246_20
; %bb.19:                               ;   in Loop: Header=BB246_10 Depth=1
	v_cmp_eq_f32_e64 s[2:3], v37, v39
	s_waitcnt lgkmcnt(0)
	v_cmp_lt_i32_e64 s[4:5], v19, v38
	s_and_b64 s[2:3], s[2:3], s[4:5]
	s_andn2_b64 s[4:5], s[6:7], exec
	s_and_b64 s[2:3], s[2:3], exec
	s_or_b64 s[6:7], s[4:5], s[2:3]
.LBB246_20:                             ;   in Loop: Header=BB246_10 Depth=1
	s_or_b64 exec, exec, s[22:23]
	s_and_saveexec_b64 s[2:3], s[6:7]
	s_cbranch_execz .LBB246_22
; %bb.21:                               ;   in Loop: Header=BB246_10 Depth=1
	v_mov_b32_e32 v37, v39
	s_waitcnt lgkmcnt(1)
	v_mov_b32_e32 v16, v20
	s_waitcnt lgkmcnt(0)
	v_mov_b32_e32 v38, v19
	v_pk_mov_b32 v[18:19], v[20:21], v[20:21] op_sel:[0,1]
.LBB246_22:                             ;   in Loop: Header=BB246_10 Depth=1
	s_or_b64 exec, exec, s[2:3]
	ds_bpermute_b32 v39, v28, v37
	s_waitcnt lgkmcnt(2)
	ds_bpermute_b32 v20, v28, v16
	s_waitcnt lgkmcnt(2)
	;; [unrolled: 2-line block ×3, first 2 shown]
	v_cmp_lt_f32_e64 s[6:7], v37, v39
	v_cmp_nlt_f32_e64 s[2:3], v37, v39
	s_and_saveexec_b64 s[22:23], s[2:3]
	s_cbranch_execz .LBB246_24
; %bb.23:                               ;   in Loop: Header=BB246_10 Depth=1
	v_cmp_eq_f32_e64 s[2:3], v37, v39
	s_waitcnt lgkmcnt(0)
	v_cmp_lt_i32_e64 s[4:5], v19, v38
	s_and_b64 s[2:3], s[2:3], s[4:5]
	s_andn2_b64 s[4:5], s[6:7], exec
	s_and_b64 s[2:3], s[2:3], exec
	s_or_b64 s[6:7], s[4:5], s[2:3]
.LBB246_24:                             ;   in Loop: Header=BB246_10 Depth=1
	s_or_b64 exec, exec, s[22:23]
	s_and_saveexec_b64 s[2:3], s[6:7]
	s_cbranch_execz .LBB246_26
; %bb.25:                               ;   in Loop: Header=BB246_10 Depth=1
	v_mov_b32_e32 v37, v39
	s_waitcnt lgkmcnt(1)
	v_mov_b32_e32 v16, v20
	s_waitcnt lgkmcnt(0)
	v_mov_b32_e32 v38, v19
	v_pk_mov_b32 v[18:19], v[20:21], v[20:21] op_sel:[0,1]
.LBB246_26:                             ;   in Loop: Header=BB246_10 Depth=1
	s_or_b64 exec, exec, s[2:3]
	s_waitcnt lgkmcnt(1)
	ds_bpermute_b32 v20, v29, v37
	ds_bpermute_b32 v39, v29, v38
	s_waitcnt lgkmcnt(2)
	ds_bpermute_b32 v19, v29, v16
	s_waitcnt lgkmcnt(2)
	v_cmp_eq_f32_e64 s[4:5], v37, v20
	s_waitcnt lgkmcnt(1)
	v_cmp_lt_i32_e64 s[6:7], v39, v38
	v_cmp_lt_f32_e64 s[2:3], v37, v20
	s_and_b64 s[4:5], s[4:5], s[6:7]
	s_or_b64 s[2:3], s[2:3], s[4:5]
	v_cndmask_b32_e64 v16, v38, v39, s[2:3]
	s_and_saveexec_b64 s[6:7], s[0:1]
	s_cbranch_execnz .LBB246_28
; %bb.27:                               ;   in Loop: Header=BB246_10 Depth=1
	s_or_b64 exec, exec, s[6:7]
	s_add_i32 s25, s25, 1
	s_cmp_ge_i32 s25, s8
	s_cbranch_scc1 .LBB246_9
	s_branch .LBB246_29
.LBB246_28:                             ;   in Loop: Header=BB246_10 Depth=1
	s_waitcnt lgkmcnt(0)
	v_cndmask_b32_e64 v20, v18, v19, s[2:3]
	v_add_u32_e32 v18, s25, v24
	v_ashrrev_i32_e32 v19, 31, v18
	v_cmp_le_i32_e64 s[2:3], s9, v16
	v_cmp_gt_i32_e64 s[4:5], s10, v16
	v_lshlrev_b64 v[38:39], 2, v[18:19]
	s_and_b64 s[4:5], s[2:3], s[4:5]
	v_mov_b32_e32 v37, s17
	v_add_co_u32_e64 v40, s[2:3], s16, v38
	v_addc_co_u32_e64 v41, s[2:3], v37, v39, s[2:3]
	v_subrev_u32_e32 v37, s9, v16
	global_store_dword v[40:41], v20, off
	v_ashrrev_i32_e32 v40, 31, v37
	s_and_b64 s[2:3], s[18:19], s[4:5]
	v_lshlrev_b64 v[18:19], 3, v[18:19]
	v_cndmask_b32_e64 v41, 0, v40, s[2:3]
	v_cndmask_b32_e64 v40, v34, v37, s[2:3]
	v_mov_b32_e32 v37, s13
	v_add_co_u32_e64 v18, s[2:3], s12, v18
	v_addc_co_u32_e64 v19, s[2:3], v37, v19, s[2:3]
	global_store_dwordx2 v[18:19], v[40:41], off
	v_mov_b32_e32 v19, s15
	v_add_co_u32_e64 v18, s[2:3], s14, v38
	v_addc_co_u32_e64 v19, s[2:3], v19, v39, s[2:3]
	global_store_dword v[18:19], v36, off
	v_add_f32_e32 v18, v23, v20
	v_cndmask_b32_e32 v23, v23, v18, vcc
	s_or_b64 exec, exec, s[6:7]
	s_add_i32 s25, s25, 1
	s_cmp_ge_i32 s25, s8
	s_cbranch_scc1 .LBB246_9
.LBB246_29:                             ;   in Loop: Header=BB246_10 Depth=1
	s_waitcnt lgkmcnt(0)
	v_ashrrev_i32_e32 v19, 31, v16
	v_lshrrev_b32_e32 v18, 30, v19
	v_add_u32_e32 v20, v16, v18
	v_ashrrev_i32_e32 v18, 2, v20
	v_ashrrev_i32_e32 v20, 31, v20
	v_lshrrev_b32_e32 v20, 27, v20
	v_add_u32_e32 v20, v18, v20
	v_and_b32_e32 v20, 0xffffffe0, v20
	v_sub_u32_e32 v20, v18, v20
	v_cmp_eq_u32_e64 s[2:3], v21, v20
	s_and_saveexec_b64 s[4:5], s[2:3]
	s_cbranch_execz .LBB246_8
; %bb.30:                               ;   in Loop: Header=BB246_10 Depth=1
	v_lshrrev_b32_e32 v19, 25, v19
	v_add_u32_e32 v19, v16, v19
	v_lshlrev_b32_e32 v18, 2, v18
	v_ashrrev_i32_e32 v19, 7, v19
	v_sub_u32_e32 v16, v16, v18
	v_lshl_add_u32 v16, v19, 2, v16
	v_cmp_ne_u32_e64 s[2:3], 7, v16
	v_cndmask_b32_e64 v15, v35, v15, s[2:3]
	v_cmp_ne_u32_e64 s[2:3], 6, v16
	v_cndmask_b32_e64 v14, v35, v14, s[2:3]
	;; [unrolled: 2-line block ×8, first 2 shown]
	s_branch .LBB246_8
.LBB246_31:
                                        ; implicit-def: $vgpr8_vgpr9_vgpr10_vgpr11_vgpr12_vgpr13_vgpr14_vgpr15
	s_andn2_b64 vcc, exec, s[8:9]
	s_cbranch_vccz .LBB246_5
	s_branch .LBB246_6
.LBB246_32:
	v_mov_b32_e32 v23, 0
.LBB246_33:
	v_cmp_eq_u32_e64 s[0:1], 0, v21
	s_and_b64 s[0:1], s[0:1], vcc
	s_and_b64 exec, exec, s[0:1]
	s_cbranch_execz .LBB246_42
; %bb.34:
	s_andn2_b64 vcc, exec, s[20:21]
	s_cbranch_vccnz .LBB246_42
; %bb.35:
	v_cmp_lt_f32_e32 vcc, 0, v23
	s_mov_b32 s2, 0
	v_cndmask_b32_e32 v0, 1.0, v23, vcc
	v_mul_lo_u32 v4, v17, s8
	s_cmp_eq_u32 s8, 1
	s_mov_b64 s[0:1], -1
	s_cbranch_scc1 .LBB246_39
; %bb.36:
	s_and_b32 s2, s8, 0x7ffffffe
	v_mov_b32_e32 v1, v0
	v_mov_b32_e32 v5, s17
	s_mov_b32 s3, s2
	v_mov_b32_e32 v2, v4
.LBB246_37:                             ; =>This Inner Loop Header: Depth=1
	v_ashrrev_i32_e32 v3, 31, v2
	v_lshlrev_b64 v[6:7], 2, v[2:3]
	v_add_co_u32_e32 v6, vcc, s16, v6
	v_addc_co_u32_e32 v7, vcc, v5, v7, vcc
	global_load_dwordx2 v[8:9], v[6:7], off
	s_add_i32 s3, s3, -2
	s_cmp_lg_u32 s3, 0
	v_add_u32_e32 v2, 2, v2
	s_waitcnt vmcnt(0)
	v_div_scale_f32 v3, s[0:1], v1, v1, v9
	v_div_scale_f32 v11, s[0:1], v0, v0, v8
	v_rcp_f32_e32 v12, v3
	v_rcp_f32_e32 v13, v11
	v_div_scale_f32 v10, vcc, v9, v1, v9
	v_fma_f32 v15, -v3, v12, 1.0
	v_fma_f32 v16, -v11, v13, 1.0
	v_fmac_f32_e32 v12, v15, v12
	v_div_scale_f32 v14, s[0:1], v8, v0, v8
	v_fmac_f32_e32 v13, v16, v13
	v_mul_f32_e32 v15, v10, v12
	v_mul_f32_e32 v16, v14, v13
	v_fma_f32 v17, -v3, v15, v10
	v_fma_f32 v18, -v11, v16, v14
	v_fmac_f32_e32 v15, v17, v12
	v_fmac_f32_e32 v16, v18, v13
	v_fma_f32 v3, -v3, v15, v10
	v_fma_f32 v10, -v11, v16, v14
	v_div_fmas_f32 v3, v3, v12, v15
	s_mov_b64 vcc, s[0:1]
	v_div_fixup_f32 v9, v3, v1, v9
	v_div_fmas_f32 v3, v10, v13, v16
	v_div_fixup_f32 v8, v3, v0, v8
	global_store_dwordx2 v[6:7], v[8:9], off
	s_cbranch_scc1 .LBB246_37
; %bb.38:
	s_cmp_lg_u32 s2, s8
	s_cselect_b64 s[0:1], -1, 0
.LBB246_39:
	s_and_b64 vcc, exec, s[0:1]
	s_cbranch_vccz .LBB246_42
; %bb.40:
	v_ashrrev_i32_e32 v1, 31, v4
	v_add_co_u32_e32 v2, vcc, s2, v4
	v_addc_co_u32_e32 v3, vcc, 0, v1, vcc
	v_lshlrev_b64 v[2:3], 2, v[2:3]
	v_mov_b32_e32 v1, s17
	v_add_co_u32_e32 v2, vcc, s16, v2
	s_sub_i32 s0, s8, s2
	v_addc_co_u32_e32 v3, vcc, v1, v3, vcc
.LBB246_41:                             ; =>This Inner Loop Header: Depth=1
	global_load_dword v1, v[2:3], off
	s_add_i32 s0, s0, -1
	s_cmp_lg_u32 s0, 0
	s_waitcnt vmcnt(0)
	v_div_scale_f32 v4, s[2:3], v0, v0, v1
	v_rcp_f32_e32 v5, v4
	v_div_scale_f32 v6, vcc, v1, v0, v1
	v_fma_f32 v7, -v4, v5, 1.0
	v_fmac_f32_e32 v5, v7, v5
	v_mul_f32_e32 v7, v6, v5
	v_fma_f32 v8, -v4, v7, v6
	v_fmac_f32_e32 v7, v8, v5
	v_fma_f32 v4, -v4, v7, v6
	v_div_fmas_f32 v4, v4, v5, v7
	v_div_fixup_f32 v1, v4, v0, v1
	global_store_dword v[2:3], v1, off
	v_add_co_u32_e32 v2, vcc, 4, v2
	v_addc_co_u32_e32 v3, vcc, 0, v3, vcc
	s_cbranch_scc1 .LBB246_41
.LBB246_42:
	s_endpgm
	.section	.rodata,"a",@progbits
	.p2align	6, 0x0
	.amdhsa_kernel _ZN4vllm3moe10topkGatingILi8ELi256ELi4ELi16ELi32ElfLNS0_11ScoringFuncE1EEEvPKT5_PKbPfiPT4_PiiiibPKf
		.amdhsa_group_segment_fixed_size 0
		.amdhsa_private_segment_fixed_size 0
		.amdhsa_kernarg_size 72
		.amdhsa_user_sgpr_count 6
		.amdhsa_user_sgpr_private_segment_buffer 1
		.amdhsa_user_sgpr_dispatch_ptr 0
		.amdhsa_user_sgpr_queue_ptr 0
		.amdhsa_user_sgpr_kernarg_segment_ptr 1
		.amdhsa_user_sgpr_dispatch_id 0
		.amdhsa_user_sgpr_flat_scratch_init 0
		.amdhsa_user_sgpr_kernarg_preload_length 0
		.amdhsa_user_sgpr_kernarg_preload_offset 0
		.amdhsa_user_sgpr_private_segment_size 0
		.amdhsa_uses_dynamic_stack 0
		.amdhsa_system_sgpr_private_segment_wavefront_offset 0
		.amdhsa_system_sgpr_workgroup_id_x 1
		.amdhsa_system_sgpr_workgroup_id_y 0
		.amdhsa_system_sgpr_workgroup_id_z 0
		.amdhsa_system_sgpr_workgroup_info 0
		.amdhsa_system_vgpr_workitem_id 1
		.amdhsa_next_free_vgpr 42
		.amdhsa_next_free_sgpr 26
		.amdhsa_accum_offset 44
		.amdhsa_reserve_vcc 1
		.amdhsa_reserve_flat_scratch 0
		.amdhsa_float_round_mode_32 0
		.amdhsa_float_round_mode_16_64 0
		.amdhsa_float_denorm_mode_32 3
		.amdhsa_float_denorm_mode_16_64 3
		.amdhsa_dx10_clamp 1
		.amdhsa_ieee_mode 1
		.amdhsa_fp16_overflow 0
		.amdhsa_tg_split 0
		.amdhsa_exception_fp_ieee_invalid_op 0
		.amdhsa_exception_fp_denorm_src 0
		.amdhsa_exception_fp_ieee_div_zero 0
		.amdhsa_exception_fp_ieee_overflow 0
		.amdhsa_exception_fp_ieee_underflow 0
		.amdhsa_exception_fp_ieee_inexact 0
		.amdhsa_exception_int_div_zero 0
	.end_amdhsa_kernel
	.section	.text._ZN4vllm3moe10topkGatingILi8ELi256ELi4ELi16ELi32ElfLNS0_11ScoringFuncE1EEEvPKT5_PKbPfiPT4_PiiiibPKf,"axG",@progbits,_ZN4vllm3moe10topkGatingILi8ELi256ELi4ELi16ELi32ElfLNS0_11ScoringFuncE1EEEvPKT5_PKbPfiPT4_PiiiibPKf,comdat
.Lfunc_end246:
	.size	_ZN4vllm3moe10topkGatingILi8ELi256ELi4ELi16ELi32ElfLNS0_11ScoringFuncE1EEEvPKT5_PKbPfiPT4_PiiiibPKf, .Lfunc_end246-_ZN4vllm3moe10topkGatingILi8ELi256ELi4ELi16ELi32ElfLNS0_11ScoringFuncE1EEEvPKT5_PKbPfiPT4_PiiiibPKf
                                        ; -- End function
	.section	.AMDGPU.csdata,"",@progbits
; Kernel info:
; codeLenInByte = 3188
; NumSgprs: 30
; NumVgprs: 42
; NumAgprs: 0
; TotalNumVgprs: 42
; ScratchSize: 0
; MemoryBound: 0
; FloatMode: 240
; IeeeMode: 1
; LDSByteSize: 0 bytes/workgroup (compile time only)
; SGPRBlocks: 3
; VGPRBlocks: 5
; NumSGPRsForWavesPerEU: 30
; NumVGPRsForWavesPerEU: 42
; AccumOffset: 44
; Occupancy: 8
; WaveLimiterHint : 1
; COMPUTE_PGM_RSRC2:SCRATCH_EN: 0
; COMPUTE_PGM_RSRC2:USER_SGPR: 6
; COMPUTE_PGM_RSRC2:TRAP_HANDLER: 0
; COMPUTE_PGM_RSRC2:TGID_X_EN: 1
; COMPUTE_PGM_RSRC2:TGID_Y_EN: 0
; COMPUTE_PGM_RSRC2:TGID_Z_EN: 0
; COMPUTE_PGM_RSRC2:TIDIG_COMP_CNT: 1
; COMPUTE_PGM_RSRC3_GFX90A:ACCUM_OFFSET: 10
; COMPUTE_PGM_RSRC3_GFX90A:TG_SPLIT: 0
	.section	.text._ZN4vllm3moe10topkGatingILi8ELi512ELi4ELi16ELi64ElfLNS0_11ScoringFuncE1EEEvPKT5_PKbPfiPT4_PiiiibPKf,"axG",@progbits,_ZN4vllm3moe10topkGatingILi8ELi512ELi4ELi16ELi64ElfLNS0_11ScoringFuncE1EEEvPKT5_PKbPfiPT4_PiiiibPKf,comdat
	.protected	_ZN4vllm3moe10topkGatingILi8ELi512ELi4ELi16ELi64ElfLNS0_11ScoringFuncE1EEEvPKT5_PKbPfiPT4_PiiiibPKf ; -- Begin function _ZN4vllm3moe10topkGatingILi8ELi512ELi4ELi16ELi64ElfLNS0_11ScoringFuncE1EEEvPKT5_PKbPfiPT4_PiiiibPKf
	.globl	_ZN4vllm3moe10topkGatingILi8ELi512ELi4ELi16ELi64ElfLNS0_11ScoringFuncE1EEEvPKT5_PKbPfiPT4_PiiiibPKf
	.p2align	8
	.type	_ZN4vllm3moe10topkGatingILi8ELi512ELi4ELi16ELi64ElfLNS0_11ScoringFuncE1EEEvPKT5_PKbPfiPT4_PiiiibPKf,@function
_ZN4vllm3moe10topkGatingILi8ELi512ELi4ELi16ELi64ElfLNS0_11ScoringFuncE1EEEvPKT5_PKbPfiPT4_PiiiibPKf: ; @_ZN4vllm3moe10topkGatingILi8ELi512ELi4ELi16ELi64ElfLNS0_11ScoringFuncE1EEEvPKT5_PKbPfiPT4_PiiiibPKf
; %bb.0:
	s_load_dword s24, s[4:5], 0x18
	v_and_b32_e32 v1, 0x3ff, v0
	s_lshl_b32 s0, s6, 2
	v_lshrrev_b32_e32 v2, 6, v1
	v_bfe_u32 v0, v0, 10, 10
	v_add3_u32 v17, s0, v0, v2
	s_waitcnt lgkmcnt(0)
	v_cmp_gt_i32_e32 vcc, s24, v17
	s_and_saveexec_b64 s[0:1], vcc
	s_cbranch_execz .LBB247_46
; %bb.1:
	s_load_dwordx4 s[0:3], s[4:5], 0x0
	s_load_dwordx2 s[16:17], s[4:5], 0x10
	s_mov_b64 s[8:9], -1
	s_mov_b64 s[18:19], -1
	s_waitcnt lgkmcnt(0)
	s_cmp_eq_u64 s[2:3], 0
	s_cbranch_scc1 .LBB247_3
; %bb.2:
	v_ashrrev_i32_e32 v0, 31, v17
	v_mov_b32_e32 v3, s3
	v_add_co_u32_e32 v2, vcc, s2, v17
	v_addc_co_u32_e32 v3, vcc, v3, v0, vcc
	global_load_ubyte v0, v[2:3], off
	s_waitcnt vmcnt(0)
	v_and_b32_e32 v0, 1, v0
	v_cmp_eq_u32_e32 vcc, 1, v0
	s_xor_b64 s[2:3], vcc, -1
	s_orn2_b64 s[18:19], s[2:3], exec
.LBB247_3:
	v_lshlrev_b32_e32 v2, 9, v17
	v_ashrrev_i32_e32 v3, 31, v2
	v_lshlrev_b64 v[2:3], 2, v[2:3]
	v_mov_b32_e32 v0, s1
	v_add_co_u32_e32 v2, vcc, s0, v2
	v_and_b32_e32 v21, 63, v1
	v_addc_co_u32_e32 v0, vcc, v0, v3, vcc
	v_lshlrev_b32_e32 v1, 4, v21
	v_add_co_u32_e32 v8, vcc, v2, v1
	v_addc_co_u32_e32 v9, vcc, 0, v0, vcc
	global_load_dwordx4 v[0:3], v[8:9], off
	global_load_dwordx4 v[4:7], v[8:9], off offset:1024
	v_mov_b32_e32 v8, 0x207
	s_load_dwordx2 s[10:11], s[4:5], 0x40
	v_lshlrev_b32_e32 v22, 2, v21
	s_waitcnt lgkmcnt(0)
	s_cmp_eq_u64 s[10:11], 0
	s_waitcnt vmcnt(1)
	v_mul_f32_e32 v0, 0xbfb8aa3b, v0
	v_mul_f32_e32 v1, 0xbfb8aa3b, v1
	v_exp_f32_e32 v0, v0
	v_exp_f32_e32 v1, v1
	s_waitcnt vmcnt(0)
	v_mul_f32_e32 v4, 0xbfb8aa3b, v4
	v_mul_f32_e32 v5, 0xbfb8aa3b, v5
	v_exp_f32_e32 v4, v4
	v_exp_f32_e32 v5, v5
	v_mul_f32_e32 v2, 0xbfb8aa3b, v2
	v_mul_f32_e32 v3, 0xbfb8aa3b, v3
	v_exp_f32_e32 v2, v2
	v_exp_f32_e32 v3, v3
	v_pk_add_f32 v[0:1], v[0:1], 1.0 op_sel_hi:[1,0]
	v_div_scale_f32 v9, s[0:1], v1, v1, 1.0
	v_pk_add_f32 v[4:5], v[4:5], 1.0 op_sel_hi:[1,0]
	v_rcp_f32_e32 v19, v9
	v_div_scale_f32 v11, s[0:1], v0, v0, 1.0
	v_div_scale_f32 v18, s[12:13], v5, v5, 1.0
	v_pk_add_f32 v[2:3], v[2:3], 1.0 op_sel_hi:[1,0]
	v_rcp_f32_e32 v20, v11
	v_rcp_f32_e32 v25, v18
	v_div_scale_f32 v13, s[2:3], v3, v3, 1.0
	v_rcp_f32_e32 v23, v13
	v_fma_f32 v26, -v9, v19, 1.0
	v_div_scale_f32 v10, vcc, 1.0, v1, 1.0
	v_div_scale_f32 v15, s[6:7], v2, v2, 1.0
	v_fmac_f32_e32 v19, v26, v19
	v_rcp_f32_e32 v24, v15
	v_fma_f32 v27, -v11, v20, 1.0
	v_fma_f32 v30, -v18, v25, 1.0
	v_mul_f32_e32 v26, v10, v19
	v_div_scale_f32 v12, s[0:1], 1.0, v0, 1.0
	v_fmac_f32_e32 v20, v27, v20
	v_fmac_f32_e32 v25, v30, v25
	v_fma_f32 v30, -v9, v26, v10
	v_fma_f32 v28, -v13, v23, 1.0
	v_mul_f32_e32 v27, v12, v20
	v_fmac_f32_e32 v26, v30, v19
	v_div_scale_f32 v14, s[2:3], 1.0, v3, 1.0
	v_fmac_f32_e32 v23, v28, v23
	v_fma_f32 v31, -v11, v27, v12
	v_fma_f32 v9, -v9, v26, v10
	v_fma_f32 v29, -v15, v24, 1.0
	v_mul_f32_e32 v28, v14, v23
	v_fmac_f32_e32 v27, v31, v20
	v_div_fmas_f32 v9, v9, v19, v26
	v_div_scale_f32 v16, s[6:7], 1.0, v2, 1.0
	v_fmac_f32_e32 v24, v29, v24
	v_fma_f32 v32, -v13, v28, v14
	v_fma_f32 v10, -v11, v27, v12
	v_div_fixup_f32 v1, v9, v1, 1.0
	s_mov_b64 vcc, s[0:1]
	v_mul_f32_e32 v29, v16, v24
	v_fmac_f32_e32 v28, v32, v23
	v_div_fmas_f32 v9, v10, v20, v27
	v_cmp_class_f32_e32 vcc, v1, v8
	v_fma_f32 v33, -v15, v29, v16
	v_fma_f32 v11, -v13, v28, v14
	v_div_fixup_f32 v0, v9, v0, 1.0
	v_cndmask_b32_e64 v1, v1, 0, vcc
	s_mov_b64 vcc, s[2:3]
	v_fmac_f32_e32 v29, v33, v24
	v_div_fmas_f32 v9, v11, v23, v28
	v_cmp_class_f32_e32 vcc, v0, v8
	v_fma_f32 v12, -v15, v29, v16
	v_cndmask_b32_e64 v0, v0, 0, vcc
	s_mov_b64 vcc, s[6:7]
	v_div_fixup_f32 v3, v9, v3, 1.0
	v_div_fmas_f32 v9, v12, v24, v29
	v_div_fixup_f32 v2, v9, v2, 1.0
	v_cmp_class_f32_e32 vcc, v3, v8
	v_cndmask_b32_e64 v3, v3, 0, vcc
	v_cmp_class_f32_e32 vcc, v2, v8
	v_cndmask_b32_e64 v2, v2, 0, vcc
	v_div_scale_f32 v9, vcc, 1.0, v5, 1.0
	v_mul_f32_e32 v10, v9, v25
	v_fma_f32 v11, -v18, v10, v9
	v_fmac_f32_e32 v10, v11, v25
	v_div_scale_f32 v11, s[0:1], v4, v4, 1.0
	v_rcp_f32_e32 v12, v11
	v_fma_f32 v9, -v18, v10, v9
	v_div_fmas_f32 v9, v9, v25, v10
	v_div_fixup_f32 v5, v9, v5, 1.0
	v_fma_f32 v9, -v11, v12, 1.0
	v_mul_f32_e32 v6, 0xbfb8aa3b, v6
	v_mul_f32_e32 v7, 0xbfb8aa3b, v7
	v_fmac_f32_e32 v12, v9, v12
	v_div_scale_f32 v9, vcc, 1.0, v4, 1.0
	v_exp_f32_e32 v6, v6
	v_exp_f32_e32 v7, v7
	v_mul_f32_e32 v10, v9, v12
	v_fma_f32 v13, -v11, v10, v9
	v_fmac_f32_e32 v10, v13, v12
	v_fma_f32 v9, -v11, v10, v9
	v_div_fmas_f32 v9, v9, v12, v10
	v_pk_add_f32 v[6:7], v[6:7], 1.0 op_sel_hi:[1,0]
	v_div_fixup_f32 v4, v9, v4, 1.0
	v_div_scale_f32 v9, s[0:1], v7, v7, 1.0
	v_rcp_f32_e32 v10, v9
	v_cmp_class_f32_e32 vcc, v5, v8
	v_cndmask_b32_e64 v5, v5, 0, vcc
	v_cmp_class_f32_e32 vcc, v4, v8
	v_fma_f32 v11, -v9, v10, 1.0
	v_cndmask_b32_e64 v4, v4, 0, vcc
	v_fmac_f32_e32 v10, v11, v10
	v_div_scale_f32 v11, vcc, 1.0, v7, 1.0
	v_mul_f32_e32 v12, v11, v10
	v_fma_f32 v13, -v9, v12, v11
	v_fmac_f32_e32 v12, v13, v10
	v_fma_f32 v9, -v9, v12, v11
	v_div_scale_f32 v11, s[0:1], v6, v6, 1.0
	v_rcp_f32_e32 v13, v11
	v_div_fmas_f32 v9, v9, v10, v12
	v_div_fixup_f32 v7, v9, v7, 1.0
	v_fma_f32 v9, -v11, v13, 1.0
	v_fmac_f32_e32 v13, v9, v13
	v_div_scale_f32 v9, vcc, 1.0, v6, 1.0
	v_mul_f32_e32 v10, v9, v13
	v_fma_f32 v12, -v11, v10, v9
	v_fmac_f32_e32 v10, v12, v13
	v_fma_f32 v9, -v11, v10, v9
	v_div_fmas_f32 v9, v9, v13, v10
	v_div_fixup_f32 v6, v9, v6, 1.0
	v_cmp_class_f32_e32 vcc, v7, v8
	v_cndmask_b32_e64 v7, v7, 0, vcc
	v_cmp_class_f32_e32 vcc, v6, v8
	v_cndmask_b32_e64 v6, v6, 0, vcc
	s_cbranch_scc1 .LBB247_35
; %bb.4:
	v_lshlrev_b32_e32 v16, 2, v22
	global_load_dwordx4 v[8:11], v16, s[10:11]
	global_load_dwordx4 v[12:15], v16, s[10:11] offset:1024
	s_waitcnt vmcnt(1)
	v_pk_add_f32 v[8:9], v[8:9], v[0:1]
	v_pk_add_f32 v[10:11], v[10:11], v[2:3]
	s_waitcnt vmcnt(0)
	v_pk_add_f32 v[12:13], v[12:13], v[4:5]
	v_pk_add_f32 v[14:15], v[14:15], v[6:7]
	s_cbranch_execnz .LBB247_6
.LBB247_5:
	v_pk_mov_b32 v[14:15], v[6:7], v[6:7] op_sel:[0,1]
	v_pk_mov_b32 v[12:13], v[4:5], v[4:5] op_sel:[0,1]
	;; [unrolled: 1-line block ×4, first 2 shown]
.LBB247_6:
	s_load_dwordx4 s[8:11], s[4:5], 0x30
	s_mov_b32 s25, 0
	v_cmp_eq_u32_e64 s[0:1], 0, v21
	s_waitcnt lgkmcnt(0)
	s_bitcmp1_b32 s11, 0
	s_cselect_b64 vcc, -1, 0
	s_cmp_gt_i32 s8, 0
	s_cselect_b64 s[20:21], -1, 0
	s_cmp_lt_i32 s8, 1
	s_cbranch_scc1 .LBB247_36
; %bb.7:
	v_mbcnt_lo_u32_b32 v16, -1, 0
	v_mbcnt_hi_u32_b32 v16, -1, v16
	v_and_b32_e32 v18, 64, v16
	v_add_u32_e32 v18, 64, v18
	v_xor_b32_e32 v19, 32, v16
	v_cmp_lt_i32_e64 s[2:3], v19, v18
	v_cndmask_b32_e64 v19, v16, v19, s[2:3]
	v_lshlrev_b32_e32 v25, 2, v19
	v_xor_b32_e32 v19, 16, v16
	v_cmp_lt_i32_e64 s[2:3], v19, v18
	v_cndmask_b32_e64 v19, v16, v19, s[2:3]
	v_lshlrev_b32_e32 v26, 2, v19
	;; [unrolled: 4-line block ×4, first 2 shown]
	v_xor_b32_e32 v19, 2, v16
	v_cmp_lt_i32_e64 s[2:3], v19, v18
	s_load_dwordx4 s[12:15], s[4:5], 0x20
	v_cndmask_b32_e64 v19, v16, v19, s[2:3]
	v_lshlrev_b32_e32 v29, 2, v19
	v_xor_b32_e32 v19, 1, v16
	v_cmp_lt_i32_e64 s[2:3], v19, v18
	v_cndmask_b32_e64 v16, v16, v19, s[2:3]
	v_mul_lo_u32 v24, v17, s8
	v_lshlrev_b32_e32 v30, 2, v16
	v_mov_b32_e32 v23, 0
	v_mov_b32_e32 v31, 0x100
	;; [unrolled: 1-line block ×3, first 2 shown]
	v_bfrev_b32_e32 v33, 4.0
	v_bfrev_b32_e32 v34, -4.0
	v_mov_b32_e32 v35, 0x200
	v_mov_b32_e32 v36, 0xc61c4000
	;; [unrolled: 1-line block ×3, first 2 shown]
	s_branch .LBB247_10
.LBB247_8:                              ;   in Loop: Header=BB247_10 Depth=1
	s_or_b64 exec, exec, s[4:5]
.LBB247_9:                              ;   in Loop: Header=BB247_10 Depth=1
	s_cmp_eq_u32 s8, s25
	v_add_u32_e32 v37, s24, v37
	s_cbranch_scc1 .LBB247_37
.LBB247_10:                             ; =>This Inner Loop Header: Depth=1
	v_cmp_gt_f32_e64 s[2:3], v9, v8
	s_waitcnt lgkmcnt(0)
	v_cndmask_b32_e64 v19, v8, v9, s[2:3]
	v_cndmask_b32_e64 v16, 0, 1, s[2:3]
	v_cndmask_b32_e64 v18, v0, v1, s[2:3]
	v_cmp_gt_f32_e64 s[2:3], v10, v19
	v_cndmask_b32_e64 v19, v19, v10, s[2:3]
	v_cndmask_b32_e64 v16, v16, 2, s[2:3]
	v_cndmask_b32_e64 v18, v18, v2, s[2:3]
	v_cmp_gt_f32_e64 s[2:3], v11, v19
	v_cndmask_b32_e64 v19, v19, v11, s[2:3]
	v_cndmask_b32_e64 v16, v16, 3, s[2:3]
	v_cndmask_b32_e64 v18, v18, v3, s[2:3]
	v_cmp_gt_f32_e64 s[2:3], v12, v19
	v_cndmask_b32_e64 v19, v19, v12, s[2:3]
	v_cndmask_b32_e64 v16, v16, v31, s[2:3]
	v_cndmask_b32_e64 v18, v18, v4, s[2:3]
	v_cmp_gt_f32_e64 s[2:3], v13, v19
	v_cndmask_b32_e64 v19, v19, v13, s[2:3]
	v_cndmask_b32_e64 v16, v16, v32, s[2:3]
	v_cndmask_b32_e64 v18, v18, v5, s[2:3]
	v_cmp_gt_f32_e64 s[2:3], v14, v19
	v_cndmask_b32_e64 v19, v19, v14, s[2:3]
	v_cndmask_b32_e64 v16, v16, v33, s[2:3]
	v_cndmask_b32_e64 v18, v18, v6, s[2:3]
	v_cmp_gt_f32_e64 s[2:3], v15, v19
	v_cndmask_b32_e64 v16, v16, v34, s[2:3]
	v_cndmask_b32_e64 v38, v19, v15, s[2:3]
	v_or_b32_e32 v39, v22, v16
	v_cndmask_b32_e64 v16, v18, v7, s[2:3]
	ds_bpermute_b32 v41, v25, v38
	ds_bpermute_b32 v20, v25, v16
	;; [unrolled: 1-line block ×3, first 2 shown]
                                        ; implicit-def: $vgpr18_vgpr19
	s_waitcnt lgkmcnt(0)
	v_cmp_lt_f32_e64 s[6:7], v38, v41
	v_cmp_nlt_f32_e64 s[2:3], v38, v41
	s_and_saveexec_b64 s[22:23], s[2:3]
; %bb.11:                               ;   in Loop: Header=BB247_10 Depth=1
	v_cmp_eq_f32_e64 s[2:3], v38, v41
	v_cmp_lt_i32_e64 s[4:5], v40, v39
	s_and_b64 s[2:3], s[2:3], s[4:5]
	s_andn2_b64 s[4:5], s[6:7], exec
	s_and_b64 s[2:3], s[2:3], exec
	s_or_b64 s[6:7], s[4:5], s[2:3]
	v_pk_mov_b32 v[18:19], v[16:17], v[16:17] op_sel:[0,1]
; %bb.12:                               ;   in Loop: Header=BB247_10 Depth=1
	s_or_b64 exec, exec, s[22:23]
	s_and_saveexec_b64 s[2:3], s[6:7]
; %bb.13:                               ;   in Loop: Header=BB247_10 Depth=1
	v_mov_b32_e32 v38, v41
	v_mov_b32_e32 v16, v20
	;; [unrolled: 1-line block ×3, first 2 shown]
	v_pk_mov_b32 v[18:19], v[20:21], v[20:21] op_sel:[0,1]
; %bb.14:                               ;   in Loop: Header=BB247_10 Depth=1
	s_or_b64 exec, exec, s[2:3]
	ds_bpermute_b32 v40, v26, v38
	ds_bpermute_b32 v20, v26, v16
	;; [unrolled: 1-line block ×3, first 2 shown]
	s_waitcnt lgkmcnt(2)
	v_cmp_lt_f32_e64 s[6:7], v38, v40
	v_cmp_nlt_f32_e64 s[2:3], v38, v40
	s_and_saveexec_b64 s[22:23], s[2:3]
	s_cbranch_execz .LBB247_16
; %bb.15:                               ;   in Loop: Header=BB247_10 Depth=1
	v_cmp_eq_f32_e64 s[2:3], v38, v40
	s_waitcnt lgkmcnt(0)
	v_cmp_lt_i32_e64 s[4:5], v19, v39
	s_and_b64 s[2:3], s[2:3], s[4:5]
	s_andn2_b64 s[4:5], s[6:7], exec
	s_and_b64 s[2:3], s[2:3], exec
	s_or_b64 s[6:7], s[4:5], s[2:3]
.LBB247_16:                             ;   in Loop: Header=BB247_10 Depth=1
	s_or_b64 exec, exec, s[22:23]
	s_and_saveexec_b64 s[2:3], s[6:7]
	s_cbranch_execz .LBB247_18
; %bb.17:                               ;   in Loop: Header=BB247_10 Depth=1
	v_mov_b32_e32 v38, v40
	s_waitcnt lgkmcnt(1)
	v_mov_b32_e32 v16, v20
	s_waitcnt lgkmcnt(0)
	v_mov_b32_e32 v39, v19
	v_pk_mov_b32 v[18:19], v[20:21], v[20:21] op_sel:[0,1]
.LBB247_18:                             ;   in Loop: Header=BB247_10 Depth=1
	s_or_b64 exec, exec, s[2:3]
	ds_bpermute_b32 v40, v27, v38
	s_waitcnt lgkmcnt(2)
	ds_bpermute_b32 v20, v27, v16
	s_waitcnt lgkmcnt(2)
	ds_bpermute_b32 v19, v27, v39
	s_waitcnt lgkmcnt(2)
	v_cmp_lt_f32_e64 s[6:7], v38, v40
	v_cmp_nlt_f32_e64 s[2:3], v38, v40
	s_and_saveexec_b64 s[22:23], s[2:3]
	s_cbranch_execz .LBB247_20
; %bb.19:                               ;   in Loop: Header=BB247_10 Depth=1
	v_cmp_eq_f32_e64 s[2:3], v38, v40
	s_waitcnt lgkmcnt(0)
	v_cmp_lt_i32_e64 s[4:5], v19, v39
	s_and_b64 s[2:3], s[2:3], s[4:5]
	s_andn2_b64 s[4:5], s[6:7], exec
	s_and_b64 s[2:3], s[2:3], exec
	s_or_b64 s[6:7], s[4:5], s[2:3]
.LBB247_20:                             ;   in Loop: Header=BB247_10 Depth=1
	s_or_b64 exec, exec, s[22:23]
	s_and_saveexec_b64 s[2:3], s[6:7]
	s_cbranch_execz .LBB247_22
; %bb.21:                               ;   in Loop: Header=BB247_10 Depth=1
	v_mov_b32_e32 v38, v40
	s_waitcnt lgkmcnt(1)
	v_mov_b32_e32 v16, v20
	s_waitcnt lgkmcnt(0)
	v_mov_b32_e32 v39, v19
	v_pk_mov_b32 v[18:19], v[20:21], v[20:21] op_sel:[0,1]
.LBB247_22:                             ;   in Loop: Header=BB247_10 Depth=1
	s_or_b64 exec, exec, s[2:3]
	ds_bpermute_b32 v40, v28, v38
	s_waitcnt lgkmcnt(2)
	ds_bpermute_b32 v20, v28, v16
	s_waitcnt lgkmcnt(2)
	ds_bpermute_b32 v19, v28, v39
	;; [unrolled: 31-line block ×3, first 2 shown]
	s_waitcnt lgkmcnt(2)
	v_cmp_lt_f32_e64 s[6:7], v38, v40
	v_cmp_nlt_f32_e64 s[2:3], v38, v40
	s_and_saveexec_b64 s[22:23], s[2:3]
	s_cbranch_execz .LBB247_28
; %bb.27:                               ;   in Loop: Header=BB247_10 Depth=1
	v_cmp_eq_f32_e64 s[2:3], v38, v40
	s_waitcnt lgkmcnt(0)
	v_cmp_lt_i32_e64 s[4:5], v19, v39
	s_and_b64 s[2:3], s[2:3], s[4:5]
	s_andn2_b64 s[4:5], s[6:7], exec
	s_and_b64 s[2:3], s[2:3], exec
	s_or_b64 s[6:7], s[4:5], s[2:3]
.LBB247_28:                             ;   in Loop: Header=BB247_10 Depth=1
	s_or_b64 exec, exec, s[22:23]
	s_and_saveexec_b64 s[2:3], s[6:7]
	s_cbranch_execz .LBB247_30
; %bb.29:                               ;   in Loop: Header=BB247_10 Depth=1
	v_mov_b32_e32 v38, v40
	s_waitcnt lgkmcnt(1)
	v_mov_b32_e32 v16, v20
	s_waitcnt lgkmcnt(0)
	v_mov_b32_e32 v39, v19
	v_pk_mov_b32 v[18:19], v[20:21], v[20:21] op_sel:[0,1]
.LBB247_30:                             ;   in Loop: Header=BB247_10 Depth=1
	s_or_b64 exec, exec, s[2:3]
	s_waitcnt lgkmcnt(1)
	ds_bpermute_b32 v20, v30, v38
	ds_bpermute_b32 v40, v30, v39
	s_waitcnt lgkmcnt(2)
	ds_bpermute_b32 v19, v30, v16
	s_waitcnt lgkmcnt(2)
	v_cmp_eq_f32_e64 s[4:5], v38, v20
	s_waitcnt lgkmcnt(1)
	v_cmp_lt_i32_e64 s[6:7], v40, v39
	v_cmp_lt_f32_e64 s[2:3], v38, v20
	s_and_b64 s[4:5], s[4:5], s[6:7]
	s_or_b64 s[2:3], s[2:3], s[4:5]
	v_cndmask_b32_e64 v16, v39, v40, s[2:3]
	s_and_saveexec_b64 s[6:7], s[0:1]
	s_cbranch_execnz .LBB247_32
; %bb.31:                               ;   in Loop: Header=BB247_10 Depth=1
	s_or_b64 exec, exec, s[6:7]
	s_add_i32 s25, s25, 1
	s_cmp_ge_i32 s25, s8
	s_cbranch_scc1 .LBB247_9
	s_branch .LBB247_33
.LBB247_32:                             ;   in Loop: Header=BB247_10 Depth=1
	s_waitcnt lgkmcnt(0)
	v_cndmask_b32_e64 v20, v18, v19, s[2:3]
	v_add_u32_e32 v18, s25, v24
	v_ashrrev_i32_e32 v19, 31, v18
	v_cmp_le_i32_e64 s[2:3], s9, v16
	v_cmp_gt_i32_e64 s[4:5], s10, v16
	v_lshlrev_b64 v[38:39], 2, v[18:19]
	s_and_b64 s[4:5], s[2:3], s[4:5]
	v_mov_b32_e32 v41, s17
	v_add_co_u32_e64 v40, s[2:3], s16, v38
	v_addc_co_u32_e64 v41, s[2:3], v41, v39, s[2:3]
	global_store_dword v[40:41], v20, off
	v_subrev_u32_e32 v40, s9, v16
	v_ashrrev_i32_e32 v41, 31, v40
	s_and_b64 s[2:3], s[18:19], s[4:5]
	v_lshlrev_b64 v[18:19], 3, v[18:19]
	v_cndmask_b32_e64 v41, 0, v41, s[2:3]
	v_cndmask_b32_e64 v40, v35, v40, s[2:3]
	v_mov_b32_e32 v42, s13
	v_add_co_u32_e64 v18, s[2:3], s12, v18
	v_addc_co_u32_e64 v19, s[2:3], v42, v19, s[2:3]
	global_store_dwordx2 v[18:19], v[40:41], off
	v_mov_b32_e32 v19, s15
	v_add_co_u32_e64 v18, s[2:3], s14, v38
	v_addc_co_u32_e64 v19, s[2:3], v19, v39, s[2:3]
	global_store_dword v[18:19], v37, off
	v_add_f32_e32 v18, v23, v20
	v_cndmask_b32_e32 v23, v23, v18, vcc
	s_or_b64 exec, exec, s[6:7]
	s_add_i32 s25, s25, 1
	s_cmp_ge_i32 s25, s8
	s_cbranch_scc1 .LBB247_9
.LBB247_33:                             ;   in Loop: Header=BB247_10 Depth=1
	v_ashrrev_i32_e32 v18, 31, v16
	s_waitcnt lgkmcnt(0)
	v_lshrrev_b32_e32 v19, 30, v18
	v_add_u32_e32 v20, v16, v19
	v_ashrrev_i32_e32 v19, 2, v20
	v_ashrrev_i32_e32 v20, 31, v20
	v_lshrrev_b32_e32 v20, 26, v20
	v_add_u32_e32 v20, v19, v20
	v_and_b32_e32 v20, 0xffffffc0, v20
	v_sub_u32_e32 v20, v19, v20
	v_cmp_eq_u32_e64 s[2:3], v21, v20
	s_and_saveexec_b64 s[4:5], s[2:3]
	s_cbranch_execz .LBB247_8
; %bb.34:                               ;   in Loop: Header=BB247_10 Depth=1
	v_add_u32_sdwa v18, v16, v18 dst_sel:DWORD dst_unused:UNUSED_PAD src0_sel:DWORD src1_sel:BYTE_3
	v_lshlrev_b32_e32 v19, 2, v19
	v_ashrrev_i32_e32 v18, 8, v18
	v_sub_u32_e32 v16, v16, v19
	v_lshl_add_u32 v16, v18, 2, v16
	v_cmp_ne_u32_e64 s[2:3], 7, v16
	v_cndmask_b32_e64 v15, v36, v15, s[2:3]
	v_cmp_ne_u32_e64 s[2:3], 6, v16
	v_cndmask_b32_e64 v14, v36, v14, s[2:3]
	;; [unrolled: 2-line block ×8, first 2 shown]
	s_branch .LBB247_8
.LBB247_35:
                                        ; implicit-def: $vgpr8_vgpr9_vgpr10_vgpr11_vgpr12_vgpr13_vgpr14_vgpr15
	s_andn2_b64 vcc, exec, s[8:9]
	s_cbranch_vccz .LBB247_5
	s_branch .LBB247_6
.LBB247_36:
	v_mov_b32_e32 v23, 0
.LBB247_37:
	v_cmp_eq_u32_e64 s[0:1], 0, v21
	s_and_b64 s[0:1], s[0:1], vcc
	s_and_b64 exec, exec, s[0:1]
	s_cbranch_execz .LBB247_46
; %bb.38:
	s_andn2_b64 vcc, exec, s[20:21]
	s_cbranch_vccnz .LBB247_46
; %bb.39:
	v_cmp_lt_f32_e32 vcc, 0, v23
	s_mov_b32 s2, 0
	v_cndmask_b32_e32 v0, 1.0, v23, vcc
	v_mul_lo_u32 v4, v17, s8
	s_cmp_eq_u32 s8, 1
	s_mov_b64 s[0:1], -1
	s_cbranch_scc1 .LBB247_43
; %bb.40:
	s_and_b32 s2, s8, 0x7ffffffe
	v_mov_b32_e32 v1, v0
	v_mov_b32_e32 v5, s17
	s_mov_b32 s3, s2
	v_mov_b32_e32 v2, v4
.LBB247_41:                             ; =>This Inner Loop Header: Depth=1
	v_ashrrev_i32_e32 v3, 31, v2
	v_lshlrev_b64 v[6:7], 2, v[2:3]
	v_add_co_u32_e32 v6, vcc, s16, v6
	v_addc_co_u32_e32 v7, vcc, v5, v7, vcc
	global_load_dwordx2 v[8:9], v[6:7], off
	s_add_i32 s3, s3, -2
	s_cmp_lg_u32 s3, 0
	v_add_u32_e32 v2, 2, v2
	s_waitcnt vmcnt(0)
	v_div_scale_f32 v3, s[0:1], v1, v1, v9
	v_div_scale_f32 v11, s[0:1], v0, v0, v8
	v_rcp_f32_e32 v12, v3
	v_rcp_f32_e32 v13, v11
	v_div_scale_f32 v10, vcc, v9, v1, v9
	v_fma_f32 v15, -v3, v12, 1.0
	v_fma_f32 v16, -v11, v13, 1.0
	v_fmac_f32_e32 v12, v15, v12
	v_div_scale_f32 v14, s[0:1], v8, v0, v8
	v_fmac_f32_e32 v13, v16, v13
	v_mul_f32_e32 v15, v10, v12
	v_mul_f32_e32 v16, v14, v13
	v_fma_f32 v17, -v3, v15, v10
	v_fma_f32 v18, -v11, v16, v14
	v_fmac_f32_e32 v15, v17, v12
	v_fmac_f32_e32 v16, v18, v13
	v_fma_f32 v3, -v3, v15, v10
	v_fma_f32 v10, -v11, v16, v14
	v_div_fmas_f32 v3, v3, v12, v15
	s_mov_b64 vcc, s[0:1]
	v_div_fixup_f32 v9, v3, v1, v9
	v_div_fmas_f32 v3, v10, v13, v16
	v_div_fixup_f32 v8, v3, v0, v8
	global_store_dwordx2 v[6:7], v[8:9], off
	s_cbranch_scc1 .LBB247_41
; %bb.42:
	s_cmp_lg_u32 s2, s8
	s_cselect_b64 s[0:1], -1, 0
.LBB247_43:
	s_and_b64 vcc, exec, s[0:1]
	s_cbranch_vccz .LBB247_46
; %bb.44:
	v_ashrrev_i32_e32 v1, 31, v4
	v_add_co_u32_e32 v2, vcc, s2, v4
	v_addc_co_u32_e32 v3, vcc, 0, v1, vcc
	v_lshlrev_b64 v[2:3], 2, v[2:3]
	v_mov_b32_e32 v1, s17
	v_add_co_u32_e32 v2, vcc, s16, v2
	s_sub_i32 s0, s8, s2
	v_addc_co_u32_e32 v3, vcc, v1, v3, vcc
.LBB247_45:                             ; =>This Inner Loop Header: Depth=1
	global_load_dword v1, v[2:3], off
	s_add_i32 s0, s0, -1
	s_cmp_lg_u32 s0, 0
	s_waitcnt vmcnt(0)
	v_div_scale_f32 v4, s[2:3], v0, v0, v1
	v_rcp_f32_e32 v5, v4
	v_div_scale_f32 v6, vcc, v1, v0, v1
	v_fma_f32 v7, -v4, v5, 1.0
	v_fmac_f32_e32 v5, v7, v5
	v_mul_f32_e32 v7, v6, v5
	v_fma_f32 v8, -v4, v7, v6
	v_fmac_f32_e32 v7, v8, v5
	v_fma_f32 v4, -v4, v7, v6
	v_div_fmas_f32 v4, v4, v5, v7
	v_div_fixup_f32 v1, v4, v0, v1
	global_store_dword v[2:3], v1, off
	v_add_co_u32_e32 v2, vcc, 4, v2
	v_addc_co_u32_e32 v3, vcc, 0, v3, vcc
	s_cbranch_scc1 .LBB247_45
.LBB247_46:
	s_endpgm
	.section	.rodata,"a",@progbits
	.p2align	6, 0x0
	.amdhsa_kernel _ZN4vllm3moe10topkGatingILi8ELi512ELi4ELi16ELi64ElfLNS0_11ScoringFuncE1EEEvPKT5_PKbPfiPT4_PiiiibPKf
		.amdhsa_group_segment_fixed_size 0
		.amdhsa_private_segment_fixed_size 0
		.amdhsa_kernarg_size 72
		.amdhsa_user_sgpr_count 6
		.amdhsa_user_sgpr_private_segment_buffer 1
		.amdhsa_user_sgpr_dispatch_ptr 0
		.amdhsa_user_sgpr_queue_ptr 0
		.amdhsa_user_sgpr_kernarg_segment_ptr 1
		.amdhsa_user_sgpr_dispatch_id 0
		.amdhsa_user_sgpr_flat_scratch_init 0
		.amdhsa_user_sgpr_kernarg_preload_length 0
		.amdhsa_user_sgpr_kernarg_preload_offset 0
		.amdhsa_user_sgpr_private_segment_size 0
		.amdhsa_uses_dynamic_stack 0
		.amdhsa_system_sgpr_private_segment_wavefront_offset 0
		.amdhsa_system_sgpr_workgroup_id_x 1
		.amdhsa_system_sgpr_workgroup_id_y 0
		.amdhsa_system_sgpr_workgroup_id_z 0
		.amdhsa_system_sgpr_workgroup_info 0
		.amdhsa_system_vgpr_workitem_id 1
		.amdhsa_next_free_vgpr 43
		.amdhsa_next_free_sgpr 26
		.amdhsa_accum_offset 44
		.amdhsa_reserve_vcc 1
		.amdhsa_reserve_flat_scratch 0
		.amdhsa_float_round_mode_32 0
		.amdhsa_float_round_mode_16_64 0
		.amdhsa_float_denorm_mode_32 3
		.amdhsa_float_denorm_mode_16_64 3
		.amdhsa_dx10_clamp 1
		.amdhsa_ieee_mode 1
		.amdhsa_fp16_overflow 0
		.amdhsa_tg_split 0
		.amdhsa_exception_fp_ieee_invalid_op 0
		.amdhsa_exception_fp_denorm_src 0
		.amdhsa_exception_fp_ieee_div_zero 0
		.amdhsa_exception_fp_ieee_overflow 0
		.amdhsa_exception_fp_ieee_underflow 0
		.amdhsa_exception_fp_ieee_inexact 0
		.amdhsa_exception_int_div_zero 0
	.end_amdhsa_kernel
	.section	.text._ZN4vllm3moe10topkGatingILi8ELi512ELi4ELi16ELi64ElfLNS0_11ScoringFuncE1EEEvPKT5_PKbPfiPT4_PiiiibPKf,"axG",@progbits,_ZN4vllm3moe10topkGatingILi8ELi512ELi4ELi16ELi64ElfLNS0_11ScoringFuncE1EEEvPKT5_PKbPfiPT4_PiiiibPKf,comdat
.Lfunc_end247:
	.size	_ZN4vllm3moe10topkGatingILi8ELi512ELi4ELi16ELi64ElfLNS0_11ScoringFuncE1EEEvPKT5_PKbPfiPT4_PiiiibPKf, .Lfunc_end247-_ZN4vllm3moe10topkGatingILi8ELi512ELi4ELi16ELi64ElfLNS0_11ScoringFuncE1EEEvPKT5_PKbPfiPT4_PiiiibPKf
                                        ; -- End function
	.section	.AMDGPU.csdata,"",@progbits
; Kernel info:
; codeLenInByte = 3340
; NumSgprs: 30
; NumVgprs: 43
; NumAgprs: 0
; TotalNumVgprs: 43
; ScratchSize: 0
; MemoryBound: 0
; FloatMode: 240
; IeeeMode: 1
; LDSByteSize: 0 bytes/workgroup (compile time only)
; SGPRBlocks: 3
; VGPRBlocks: 5
; NumSGPRsForWavesPerEU: 30
; NumVGPRsForWavesPerEU: 43
; AccumOffset: 44
; Occupancy: 8
; WaveLimiterHint : 1
; COMPUTE_PGM_RSRC2:SCRATCH_EN: 0
; COMPUTE_PGM_RSRC2:USER_SGPR: 6
; COMPUTE_PGM_RSRC2:TRAP_HANDLER: 0
; COMPUTE_PGM_RSRC2:TGID_X_EN: 1
; COMPUTE_PGM_RSRC2:TGID_Y_EN: 0
; COMPUTE_PGM_RSRC2:TGID_Z_EN: 0
; COMPUTE_PGM_RSRC2:TIDIG_COMP_CNT: 1
; COMPUTE_PGM_RSRC3_GFX90A:ACCUM_OFFSET: 10
; COMPUTE_PGM_RSRC3_GFX90A:TG_SPLIT: 0
	.section	.text._ZN4vllm3moe10topkGatingILi16ELi512ELi4ELi16ELi32ElfLNS0_11ScoringFuncE1EEEvPKT5_PKbPfiPT4_PiiiibPKf,"axG",@progbits,_ZN4vllm3moe10topkGatingILi16ELi512ELi4ELi16ELi32ElfLNS0_11ScoringFuncE1EEEvPKT5_PKbPfiPT4_PiiiibPKf,comdat
	.protected	_ZN4vllm3moe10topkGatingILi16ELi512ELi4ELi16ELi32ElfLNS0_11ScoringFuncE1EEEvPKT5_PKbPfiPT4_PiiiibPKf ; -- Begin function _ZN4vllm3moe10topkGatingILi16ELi512ELi4ELi16ELi32ElfLNS0_11ScoringFuncE1EEEvPKT5_PKbPfiPT4_PiiiibPKf
	.globl	_ZN4vllm3moe10topkGatingILi16ELi512ELi4ELi16ELi32ElfLNS0_11ScoringFuncE1EEEvPKT5_PKbPfiPT4_PiiiibPKf
	.p2align	8
	.type	_ZN4vllm3moe10topkGatingILi16ELi512ELi4ELi16ELi32ElfLNS0_11ScoringFuncE1EEEvPKT5_PKbPfiPT4_PiiiibPKf,@function
_ZN4vllm3moe10topkGatingILi16ELi512ELi4ELi16ELi32ElfLNS0_11ScoringFuncE1EEEvPKT5_PKbPfiPT4_PiiiibPKf: ; @_ZN4vllm3moe10topkGatingILi16ELi512ELi4ELi16ELi32ElfLNS0_11ScoringFuncE1EEEvPKT5_PKbPfiPT4_PiiiibPKf
; %bb.0:
	s_load_dword s24, s[4:5], 0x18
	v_and_b32_e32 v1, 0x3ff, v0
	s_lshl_b32 s0, s6, 2
	v_lshrrev_b32_e32 v2, 5, v1
	v_bfe_u32 v0, v0, 10, 10
	v_add3_u32 v33, s0, v0, v2
	s_waitcnt lgkmcnt(0)
	v_cmp_gt_i32_e32 vcc, s24, v33
	s_and_saveexec_b64 s[0:1], vcc
	s_cbranch_execz .LBB248_42
; %bb.1:
	s_load_dwordx4 s[0:3], s[4:5], 0x0
	s_load_dwordx2 s[16:17], s[4:5], 0x10
	s_mov_b64 s[6:7], -1
	s_mov_b64 s[18:19], -1
	s_waitcnt lgkmcnt(0)
	s_cmp_eq_u64 s[2:3], 0
	s_cbranch_scc1 .LBB248_3
; %bb.2:
	v_ashrrev_i32_e32 v0, 31, v33
	v_mov_b32_e32 v3, s3
	v_add_co_u32_e32 v2, vcc, s2, v33
	v_addc_co_u32_e32 v3, vcc, v3, v0, vcc
	global_load_ubyte v0, v[2:3], off
	s_waitcnt vmcnt(0)
	v_and_b32_e32 v0, 1, v0
	v_cmp_eq_u32_e32 vcc, 1, v0
	s_xor_b64 s[2:3], vcc, -1
	s_orn2_b64 s[18:19], s[2:3], exec
.LBB248_3:
	v_lshlrev_b32_e32 v2, 9, v33
	v_ashrrev_i32_e32 v3, 31, v2
	v_lshlrev_b64 v[2:3], 2, v[2:3]
	v_mov_b32_e32 v0, s1
	v_add_co_u32_e32 v2, vcc, s0, v2
	v_and_b32_e32 v37, 31, v1
	v_addc_co_u32_e32 v0, vcc, v0, v3, vcc
	v_lshlrev_b32_e32 v1, 4, v37
	v_add_co_u32_e32 v16, vcc, v2, v1
	v_addc_co_u32_e32 v17, vcc, 0, v0, vcc
	global_load_dwordx4 v[0:3], v[16:17], off
	global_load_dwordx4 v[4:7], v[16:17], off offset:512
	global_load_dwordx4 v[8:11], v[16:17], off offset:1024
	;; [unrolled: 1-line block ×3, first 2 shown]
	v_mov_b32_e32 v16, 0x207
	s_load_dwordx2 s[8:9], s[4:5], 0x40
	v_lshlrev_b32_e32 v38, 2, v37
	s_waitcnt lgkmcnt(0)
	s_cmp_eq_u64 s[8:9], 0
	s_waitcnt vmcnt(3)
	v_mul_f32_e32 v0, 0xbfb8aa3b, v0
	v_mul_f32_e32 v1, 0xbfb8aa3b, v1
	v_exp_f32_e32 v0, v0
	v_exp_f32_e32 v1, v1
	v_mul_f32_e32 v2, 0xbfb8aa3b, v2
	v_mul_f32_e32 v3, 0xbfb8aa3b, v3
	v_exp_f32_e32 v2, v2
	v_exp_f32_e32 v3, v3
	s_waitcnt vmcnt(1)
	v_mul_f32_e32 v10, 0xbfb8aa3b, v10
	s_waitcnt vmcnt(0)
	v_mul_f32_e32 v12, 0xbfb8aa3b, v12
	v_mul_f32_e32 v17, 0xbfb8aa3b, v14
	v_pk_add_f32 v[0:1], v[0:1], 1.0 op_sel_hi:[1,0]
	v_exp_f32_e32 v14, v10
	v_exp_f32_e32 v10, v12
	;; [unrolled: 1-line block ×3, first 2 shown]
	v_div_scale_f32 v17, s[0:1], v1, v1, 1.0
	v_pk_add_f32 v[2:3], v[2:3], 1.0 op_sel_hi:[1,0]
	v_rcp_f32_e32 v24, v17
	v_div_scale_f32 v19, s[0:1], v0, v0, 1.0
	v_div_scale_f32 v23, s[10:11], v2, v2, 1.0
	v_rcp_f32_e32 v25, v19
	v_rcp_f32_e32 v27, v23
	v_div_scale_f32 v21, s[2:3], v3, v3, 1.0
	v_mul_f32_e32 v11, 0xbfb8aa3b, v11
	v_mul_f32_e32 v13, 0xbfb8aa3b, v13
	;; [unrolled: 1-line block ×3, first 2 shown]
	v_rcp_f32_e32 v26, v21
	v_fma_f32 v28, -v17, v24, 1.0
	v_exp_f32_e32 v15, v11
	v_exp_f32_e32 v11, v13
	;; [unrolled: 1-line block ×3, first 2 shown]
	v_div_scale_f32 v18, vcc, 1.0, v1, 1.0
	v_fmac_f32_e32 v24, v28, v24
	v_fma_f32 v29, -v19, v25, 1.0
	v_fma_f32 v31, -v23, v27, 1.0
	v_mul_f32_e32 v28, v18, v24
	v_div_scale_f32 v20, s[0:1], 1.0, v0, 1.0
	v_fmac_f32_e32 v25, v29, v25
	v_fmac_f32_e32 v27, v31, v27
	v_fma_f32 v31, -v17, v28, v18
	v_fma_f32 v30, -v21, v26, 1.0
	v_mul_f32_e32 v29, v20, v25
	v_fmac_f32_e32 v28, v31, v24
	v_div_scale_f32 v22, s[2:3], 1.0, v3, 1.0
	v_fmac_f32_e32 v26, v30, v26
	v_fma_f32 v32, -v19, v29, v20
	v_fma_f32 v17, -v17, v28, v18
	v_mul_f32_e32 v30, v22, v26
	v_fmac_f32_e32 v29, v32, v25
	v_div_fmas_f32 v17, v17, v24, v28
	v_fma_f32 v34, -v21, v30, v22
	v_fma_f32 v18, -v19, v29, v20
	v_div_fixup_f32 v1, v17, v1, 1.0
	s_mov_b64 vcc, s[0:1]
	v_fmac_f32_e32 v30, v34, v26
	v_div_fmas_f32 v17, v18, v25, v29
	v_cmp_class_f32_e32 vcc, v1, v16
	v_fma_f32 v19, -v21, v30, v22
	v_div_fixup_f32 v0, v17, v0, 1.0
	v_cndmask_b32_e64 v1, v1, 0, vcc
	s_mov_b64 vcc, s[2:3]
	v_div_fmas_f32 v17, v19, v26, v30
	v_cmp_class_f32_e32 vcc, v0, v16
	v_mul_f32_e32 v4, 0xbfb8aa3b, v4
	v_mul_f32_e32 v5, 0xbfb8aa3b, v5
	v_cndmask_b32_e64 v0, v0, 0, vcc
	v_div_fixup_f32 v3, v17, v3, 1.0
	v_div_scale_f32 v17, vcc, 1.0, v2, 1.0
	v_exp_f32_e32 v4, v4
	v_exp_f32_e32 v5, v5
	v_mul_f32_e32 v18, v17, v27
	v_fma_f32 v19, -v23, v18, v17
	v_fmac_f32_e32 v18, v19, v27
	v_fma_f32 v17, -v23, v18, v17
	v_div_fmas_f32 v17, v17, v27, v18
	v_pk_add_f32 v[4:5], v[4:5], 1.0 op_sel_hi:[1,0]
	v_div_fixup_f32 v2, v17, v2, 1.0
	v_div_scale_f32 v17, s[0:1], v5, v5, 1.0
	v_rcp_f32_e32 v18, v17
	v_cmp_class_f32_e32 vcc, v3, v16
	v_cndmask_b32_e64 v3, v3, 0, vcc
	v_cmp_class_f32_e32 vcc, v2, v16
	v_fma_f32 v19, -v17, v18, 1.0
	v_cndmask_b32_e64 v2, v2, 0, vcc
	v_fmac_f32_e32 v18, v19, v18
	v_div_scale_f32 v19, vcc, 1.0, v5, 1.0
	v_mul_f32_e32 v20, v19, v18
	v_fma_f32 v21, -v17, v20, v19
	v_fmac_f32_e32 v20, v21, v18
	v_fma_f32 v17, -v17, v20, v19
	v_div_scale_f32 v19, s[0:1], v4, v4, 1.0
	v_rcp_f32_e32 v21, v19
	v_div_fmas_f32 v17, v17, v18, v20
	v_div_fixup_f32 v5, v17, v5, 1.0
	v_mul_f32_e32 v6, 0xbfb8aa3b, v6
	v_fma_f32 v17, -v19, v21, 1.0
	v_mul_f32_e32 v7, 0xbfb8aa3b, v7
	v_fmac_f32_e32 v21, v17, v21
	v_div_scale_f32 v17, vcc, 1.0, v4, 1.0
	v_exp_f32_e32 v6, v6
	v_exp_f32_e32 v7, v7
	v_mul_f32_e32 v18, v17, v21
	v_fma_f32 v20, -v19, v18, v17
	v_fmac_f32_e32 v18, v20, v21
	v_fma_f32 v17, -v19, v18, v17
	v_div_fmas_f32 v17, v17, v21, v18
	v_pk_add_f32 v[6:7], v[6:7], 1.0 op_sel_hi:[1,0]
	v_div_fixup_f32 v4, v17, v4, 1.0
	v_div_scale_f32 v17, s[0:1], v7, v7, 1.0
	v_rcp_f32_e32 v18, v17
	v_cmp_class_f32_e32 vcc, v5, v16
	v_cndmask_b32_e64 v5, v5, 0, vcc
	v_cmp_class_f32_e32 vcc, v4, v16
	v_fma_f32 v19, -v17, v18, 1.0
	v_cndmask_b32_e64 v4, v4, 0, vcc
	v_fmac_f32_e32 v18, v19, v18
	v_div_scale_f32 v19, vcc, 1.0, v7, 1.0
	v_mul_f32_e32 v20, v19, v18
	v_fma_f32 v21, -v17, v20, v19
	v_fmac_f32_e32 v20, v21, v18
	v_fma_f32 v17, -v17, v20, v19
	v_div_scale_f32 v19, s[0:1], v6, v6, 1.0
	v_rcp_f32_e32 v21, v19
	v_div_fmas_f32 v17, v17, v18, v20
	v_div_fixup_f32 v7, v17, v7, 1.0
	v_mul_f32_e32 v8, 0xbfb8aa3b, v8
	v_fma_f32 v17, -v19, v21, 1.0
	v_mul_f32_e32 v9, 0xbfb8aa3b, v9
	v_fmac_f32_e32 v21, v17, v21
	v_div_scale_f32 v17, vcc, 1.0, v6, 1.0
	v_exp_f32_e32 v8, v8
	v_exp_f32_e32 v9, v9
	v_mul_f32_e32 v18, v17, v21
	v_fma_f32 v20, -v19, v18, v17
	v_fmac_f32_e32 v18, v20, v21
	v_fma_f32 v17, -v19, v18, v17
	v_div_fmas_f32 v17, v17, v21, v18
	v_pk_add_f32 v[8:9], v[8:9], 1.0 op_sel_hi:[1,0]
	v_div_fixup_f32 v6, v17, v6, 1.0
	v_div_scale_f32 v17, s[0:1], v9, v9, 1.0
	v_rcp_f32_e32 v18, v17
	v_cmp_class_f32_e32 vcc, v7, v16
	v_cndmask_b32_e64 v7, v7, 0, vcc
	v_cmp_class_f32_e32 vcc, v6, v16
	v_fma_f32 v19, -v17, v18, 1.0
	v_cndmask_b32_e64 v6, v6, 0, vcc
	v_fmac_f32_e32 v18, v19, v18
	v_div_scale_f32 v19, vcc, 1.0, v9, 1.0
	v_mul_f32_e32 v20, v19, v18
	v_fma_f32 v21, -v17, v20, v19
	v_fmac_f32_e32 v20, v21, v18
	v_fma_f32 v17, -v17, v20, v19
	v_div_scale_f32 v19, s[0:1], v8, v8, 1.0
	v_rcp_f32_e32 v21, v19
	v_div_fmas_f32 v17, v17, v18, v20
	v_div_fixup_f32 v9, v17, v9, 1.0
	v_pk_add_f32 v[14:15], v[14:15], 1.0 op_sel_hi:[1,0]
	v_fma_f32 v17, -v19, v21, 1.0
	v_fmac_f32_e32 v21, v17, v21
	v_div_scale_f32 v17, vcc, 1.0, v8, 1.0
	v_mul_f32_e32 v18, v17, v21
	v_fma_f32 v20, -v19, v18, v17
	v_fmac_f32_e32 v18, v20, v21
	v_fma_f32 v17, -v19, v18, v17
	v_div_fmas_f32 v17, v17, v21, v18
	v_div_fixup_f32 v8, v17, v8, 1.0
	v_div_scale_f32 v17, s[0:1], v15, v15, 1.0
	v_rcp_f32_e32 v18, v17
	v_cmp_class_f32_e32 vcc, v9, v16
	v_cndmask_b32_e64 v9, v9, 0, vcc
	v_cmp_class_f32_e32 vcc, v8, v16
	v_fma_f32 v19, -v17, v18, 1.0
	v_cndmask_b32_e64 v8, v8, 0, vcc
	v_fmac_f32_e32 v18, v19, v18
	v_div_scale_f32 v19, vcc, 1.0, v15, 1.0
	v_mul_f32_e32 v20, v19, v18
	v_fma_f32 v21, -v17, v20, v19
	v_fmac_f32_e32 v20, v21, v18
	v_fma_f32 v17, -v17, v20, v19
	v_div_scale_f32 v19, s[0:1], v14, v14, 1.0
	v_rcp_f32_e32 v21, v19
	v_div_fmas_f32 v17, v17, v18, v20
	v_div_fixup_f32 v17, v17, v15, 1.0
	v_fma_f32 v15, -v19, v21, 1.0
	v_fmac_f32_e32 v21, v15, v21
	v_div_scale_f32 v15, vcc, 1.0, v14, 1.0
	v_mul_f32_e32 v18, v15, v21
	v_fma_f32 v20, -v19, v18, v15
	v_fmac_f32_e32 v18, v20, v21
	v_fma_f32 v15, -v19, v18, v15
	v_div_fmas_f32 v15, v15, v21, v18
	v_div_fixup_f32 v18, v15, v14, 1.0
	v_pk_add_f32 v[14:15], v[10:11], 1.0 op_sel_hi:[1,0]
	v_div_scale_f32 v19, s[0:1], v15, v15, 1.0
	v_rcp_f32_e32 v20, v19
	v_cmp_class_f32_e32 vcc, v17, v16
	v_cndmask_b32_e64 v11, v17, 0, vcc
	v_cmp_class_f32_e32 vcc, v18, v16
	v_fma_f32 v17, -v19, v20, 1.0
	v_cndmask_b32_e64 v10, v18, 0, vcc
	v_fmac_f32_e32 v20, v17, v20
	v_div_scale_f32 v17, vcc, 1.0, v15, 1.0
	v_mul_f32_e32 v18, v17, v20
	v_fma_f32 v21, -v19, v18, v17
	v_fmac_f32_e32 v18, v21, v20
	v_fma_f32 v17, -v19, v18, v17
	v_div_scale_f32 v19, s[0:1], v14, v14, 1.0
	v_rcp_f32_e32 v21, v19
	v_div_fmas_f32 v17, v17, v20, v18
	v_div_fixup_f32 v17, v17, v15, 1.0
	v_fma_f32 v15, -v19, v21, 1.0
	v_fmac_f32_e32 v21, v15, v21
	v_div_scale_f32 v15, vcc, 1.0, v14, 1.0
	v_mul_f32_e32 v18, v15, v21
	v_fma_f32 v20, -v19, v18, v15
	v_fmac_f32_e32 v18, v20, v21
	v_fma_f32 v15, -v19, v18, v15
	v_div_fmas_f32 v15, v15, v21, v18
	v_div_fixup_f32 v18, v15, v14, 1.0
	v_pk_add_f32 v[14:15], v[12:13], 1.0 op_sel_hi:[1,0]
	v_div_scale_f32 v19, s[0:1], v15, v15, 1.0
	v_rcp_f32_e32 v20, v19
	v_cmp_class_f32_e32 vcc, v17, v16
	v_cndmask_b32_e64 v13, v17, 0, vcc
	v_cmp_class_f32_e32 vcc, v18, v16
	v_fma_f32 v17, -v19, v20, 1.0
	v_cndmask_b32_e64 v12, v18, 0, vcc
	v_fmac_f32_e32 v20, v17, v20
	v_div_scale_f32 v17, vcc, 1.0, v15, 1.0
	v_mul_f32_e32 v18, v17, v20
	v_fma_f32 v21, -v19, v18, v17
	v_fmac_f32_e32 v18, v21, v20
	v_fma_f32 v17, -v19, v18, v17
	v_div_scale_f32 v19, s[0:1], v14, v14, 1.0
	v_rcp_f32_e32 v21, v19
	v_div_fmas_f32 v17, v17, v20, v18
	v_div_fixup_f32 v15, v17, v15, 1.0
	v_fma_f32 v17, -v19, v21, 1.0
	v_fmac_f32_e32 v21, v17, v21
	v_div_scale_f32 v17, vcc, 1.0, v14, 1.0
	v_mul_f32_e32 v18, v17, v21
	v_fma_f32 v20, -v19, v18, v17
	v_fmac_f32_e32 v18, v20, v21
	v_fma_f32 v17, -v19, v18, v17
	v_div_fmas_f32 v17, v17, v21, v18
	v_div_fixup_f32 v14, v17, v14, 1.0
	v_cmp_class_f32_e32 vcc, v15, v16
	v_cndmask_b32_e64 v15, v15, 0, vcc
	v_cmp_class_f32_e32 vcc, v14, v16
	v_cndmask_b32_e64 v14, v14, 0, vcc
	s_cbranch_scc1 .LBB248_31
; %bb.4:
	v_lshlrev_b32_e32 v32, 2, v38
	global_load_dwordx4 v[16:19], v32, s[8:9]
	global_load_dwordx4 v[20:23], v32, s[8:9] offset:512
	global_load_dwordx4 v[24:27], v32, s[8:9] offset:1024
	;; [unrolled: 1-line block ×3, first 2 shown]
	s_waitcnt vmcnt(3)
	v_pk_add_f32 v[16:17], v[16:17], v[0:1]
	v_pk_add_f32 v[18:19], v[18:19], v[2:3]
	s_waitcnt vmcnt(2)
	v_pk_add_f32 v[20:21], v[20:21], v[4:5]
	v_pk_add_f32 v[22:23], v[22:23], v[6:7]
	;; [unrolled: 3-line block ×4, first 2 shown]
	s_cbranch_execnz .LBB248_6
.LBB248_5:
	v_pk_mov_b32 v[30:31], v[14:15], v[14:15] op_sel:[0,1]
	v_pk_mov_b32 v[28:29], v[12:13], v[12:13] op_sel:[0,1]
	;; [unrolled: 1-line block ×8, first 2 shown]
.LBB248_6:
	s_load_dwordx4 s[8:11], s[4:5], 0x30
	s_mov_b32 s25, 0
	v_cmp_eq_u32_e64 s[0:1], 0, v37
	s_waitcnt lgkmcnt(0)
	s_bitcmp1_b32 s11, 0
	s_cselect_b64 vcc, -1, 0
	s_cmp_gt_i32 s8, 0
	s_cselect_b64 s[20:21], -1, 0
	s_cmp_lt_i32 s8, 1
	s_cbranch_scc1 .LBB248_32
; %bb.7:
	v_mbcnt_lo_u32_b32 v32, -1, 0
	v_mbcnt_hi_u32_b32 v32, -1, v32
	v_and_b32_e32 v34, 0x60, v32
	v_add_u32_e32 v34, 32, v34
	v_xor_b32_e32 v35, 16, v32
	v_cmp_lt_i32_e64 s[2:3], v35, v34
	v_cndmask_b32_e64 v35, v32, v35, s[2:3]
	v_lshlrev_b32_e32 v41, 2, v35
	v_xor_b32_e32 v35, 8, v32
	v_cmp_lt_i32_e64 s[2:3], v35, v34
	v_cndmask_b32_e64 v35, v32, v35, s[2:3]
	v_lshlrev_b32_e32 v42, 2, v35
	;; [unrolled: 4-line block ×3, first 2 shown]
	v_xor_b32_e32 v35, 2, v32
	v_cmp_lt_i32_e64 s[2:3], v35, v34
	s_load_dwordx4 s[12:15], s[4:5], 0x20
	v_cndmask_b32_e64 v35, v32, v35, s[2:3]
	v_lshlrev_b32_e32 v44, 2, v35
	v_xor_b32_e32 v35, 1, v32
	v_cmp_lt_i32_e64 s[2:3], v35, v34
	v_cndmask_b32_e64 v32, v32, v35, s[2:3]
	v_mul_lo_u32 v40, v33, s8
	v_lshlrev_b32_e32 v45, 2, v32
	v_mov_b32_e32 v39, 0
	v_mov_b32_e32 v46, 0x83
	;; [unrolled: 1-line block ×4, first 2 shown]
	v_bfrev_b32_e32 v49, 4.0
	v_bfrev_b32_e32 v50, -4.0
	v_mov_b32_e32 v51, 0x180
	v_mov_b32_e32 v52, 0x181
	;; [unrolled: 1-line block ×7, first 2 shown]
	s_branch .LBB248_10
.LBB248_8:                              ;   in Loop: Header=BB248_10 Depth=1
	s_or_b64 exec, exec, s[4:5]
.LBB248_9:                              ;   in Loop: Header=BB248_10 Depth=1
	s_cmp_eq_u32 s8, s25
	v_add_u32_e32 v57, s24, v57
	s_cbranch_scc1 .LBB248_33
.LBB248_10:                             ; =>This Inner Loop Header: Depth=1
	v_cmp_gt_f32_e64 s[2:3], v17, v16
	s_waitcnt lgkmcnt(0)
	v_cndmask_b32_e64 v35, v16, v17, s[2:3]
	v_cndmask_b32_e64 v32, 0, 1, s[2:3]
	v_cndmask_b32_e64 v34, v0, v1, s[2:3]
	v_cmp_gt_f32_e64 s[2:3], v18, v35
	v_cndmask_b32_e64 v35, v35, v18, s[2:3]
	v_cndmask_b32_e64 v32, v32, 2, s[2:3]
	v_cndmask_b32_e64 v34, v34, v2, s[2:3]
	v_cmp_gt_f32_e64 s[2:3], v19, v35
	;; [unrolled: 4-line block ×3, first 2 shown]
	v_mov_b32_e32 v36, 0x80
	v_cndmask_b32_e64 v35, v35, v20, s[2:3]
	v_cndmask_b32_e64 v32, v32, v36, s[2:3]
	v_cndmask_b32_e64 v34, v34, v4, s[2:3]
	v_cmp_gt_f32_e64 s[2:3], v21, v35
	v_mov_b32_e32 v36, 0x81
	v_cndmask_b32_e64 v35, v35, v21, s[2:3]
	v_cndmask_b32_e64 v32, v32, v36, s[2:3]
	v_cndmask_b32_e64 v34, v34, v5, s[2:3]
	v_cmp_gt_f32_e64 s[2:3], v22, v35
	;; [unrolled: 5-line block ×3, first 2 shown]
	v_cndmask_b32_e64 v35, v35, v23, s[2:3]
	v_cndmask_b32_e64 v32, v32, v46, s[2:3]
	v_cndmask_b32_e64 v34, v34, v7, s[2:3]
	v_cmp_gt_f32_e64 s[2:3], v24, v35
	v_cndmask_b32_e64 v35, v35, v24, s[2:3]
	v_cndmask_b32_e64 v32, v32, v47, s[2:3]
	v_cndmask_b32_e64 v34, v34, v8, s[2:3]
	v_cmp_gt_f32_e64 s[2:3], v25, v35
	;; [unrolled: 4-line block ×8, first 2 shown]
	v_cndmask_b32_e64 v32, v32, v54, s[2:3]
	v_cndmask_b32_e64 v58, v35, v31, s[2:3]
	v_or_b32_e32 v59, v38, v32
	v_cndmask_b32_e64 v32, v34, v15, s[2:3]
	ds_bpermute_b32 v61, v41, v58
	ds_bpermute_b32 v36, v41, v32
	;; [unrolled: 1-line block ×3, first 2 shown]
                                        ; implicit-def: $vgpr34_vgpr35
	s_waitcnt lgkmcnt(0)
	v_cmp_lt_f32_e64 s[6:7], v58, v61
	v_cmp_nlt_f32_e64 s[2:3], v58, v61
	s_and_saveexec_b64 s[22:23], s[2:3]
; %bb.11:                               ;   in Loop: Header=BB248_10 Depth=1
	v_cmp_eq_f32_e64 s[2:3], v58, v61
	v_cmp_lt_i32_e64 s[4:5], v60, v59
	s_and_b64 s[2:3], s[2:3], s[4:5]
	s_andn2_b64 s[4:5], s[6:7], exec
	s_and_b64 s[2:3], s[2:3], exec
	s_or_b64 s[6:7], s[4:5], s[2:3]
	v_pk_mov_b32 v[34:35], v[32:33], v[32:33] op_sel:[0,1]
; %bb.12:                               ;   in Loop: Header=BB248_10 Depth=1
	s_or_b64 exec, exec, s[22:23]
	s_and_saveexec_b64 s[2:3], s[6:7]
; %bb.13:                               ;   in Loop: Header=BB248_10 Depth=1
	v_mov_b32_e32 v58, v61
	v_mov_b32_e32 v32, v36
	;; [unrolled: 1-line block ×3, first 2 shown]
	v_pk_mov_b32 v[34:35], v[36:37], v[36:37] op_sel:[0,1]
; %bb.14:                               ;   in Loop: Header=BB248_10 Depth=1
	s_or_b64 exec, exec, s[2:3]
	ds_bpermute_b32 v60, v42, v58
	ds_bpermute_b32 v36, v42, v32
	;; [unrolled: 1-line block ×3, first 2 shown]
	s_waitcnt lgkmcnt(2)
	v_cmp_lt_f32_e64 s[6:7], v58, v60
	v_cmp_nlt_f32_e64 s[2:3], v58, v60
	s_and_saveexec_b64 s[22:23], s[2:3]
	s_cbranch_execz .LBB248_16
; %bb.15:                               ;   in Loop: Header=BB248_10 Depth=1
	v_cmp_eq_f32_e64 s[2:3], v58, v60
	s_waitcnt lgkmcnt(0)
	v_cmp_lt_i32_e64 s[4:5], v35, v59
	s_and_b64 s[2:3], s[2:3], s[4:5]
	s_andn2_b64 s[4:5], s[6:7], exec
	s_and_b64 s[2:3], s[2:3], exec
	s_or_b64 s[6:7], s[4:5], s[2:3]
.LBB248_16:                             ;   in Loop: Header=BB248_10 Depth=1
	s_or_b64 exec, exec, s[22:23]
	s_and_saveexec_b64 s[2:3], s[6:7]
	s_cbranch_execz .LBB248_18
; %bb.17:                               ;   in Loop: Header=BB248_10 Depth=1
	v_mov_b32_e32 v58, v60
	s_waitcnt lgkmcnt(1)
	v_mov_b32_e32 v32, v36
	s_waitcnt lgkmcnt(0)
	v_mov_b32_e32 v59, v35
	v_pk_mov_b32 v[34:35], v[36:37], v[36:37] op_sel:[0,1]
.LBB248_18:                             ;   in Loop: Header=BB248_10 Depth=1
	s_or_b64 exec, exec, s[2:3]
	ds_bpermute_b32 v60, v43, v58
	s_waitcnt lgkmcnt(2)
	ds_bpermute_b32 v36, v43, v32
	s_waitcnt lgkmcnt(2)
	;; [unrolled: 2-line block ×3, first 2 shown]
	v_cmp_lt_f32_e64 s[6:7], v58, v60
	v_cmp_nlt_f32_e64 s[2:3], v58, v60
	s_and_saveexec_b64 s[22:23], s[2:3]
	s_cbranch_execz .LBB248_20
; %bb.19:                               ;   in Loop: Header=BB248_10 Depth=1
	v_cmp_eq_f32_e64 s[2:3], v58, v60
	s_waitcnt lgkmcnt(0)
	v_cmp_lt_i32_e64 s[4:5], v35, v59
	s_and_b64 s[2:3], s[2:3], s[4:5]
	s_andn2_b64 s[4:5], s[6:7], exec
	s_and_b64 s[2:3], s[2:3], exec
	s_or_b64 s[6:7], s[4:5], s[2:3]
.LBB248_20:                             ;   in Loop: Header=BB248_10 Depth=1
	s_or_b64 exec, exec, s[22:23]
	s_and_saveexec_b64 s[2:3], s[6:7]
	s_cbranch_execz .LBB248_22
; %bb.21:                               ;   in Loop: Header=BB248_10 Depth=1
	v_mov_b32_e32 v58, v60
	s_waitcnt lgkmcnt(1)
	v_mov_b32_e32 v32, v36
	s_waitcnt lgkmcnt(0)
	v_mov_b32_e32 v59, v35
	v_pk_mov_b32 v[34:35], v[36:37], v[36:37] op_sel:[0,1]
.LBB248_22:                             ;   in Loop: Header=BB248_10 Depth=1
	s_or_b64 exec, exec, s[2:3]
	ds_bpermute_b32 v60, v44, v58
	s_waitcnt lgkmcnt(2)
	ds_bpermute_b32 v36, v44, v32
	s_waitcnt lgkmcnt(2)
	;; [unrolled: 2-line block ×3, first 2 shown]
	v_cmp_lt_f32_e64 s[6:7], v58, v60
	v_cmp_nlt_f32_e64 s[2:3], v58, v60
	s_and_saveexec_b64 s[22:23], s[2:3]
	s_cbranch_execz .LBB248_24
; %bb.23:                               ;   in Loop: Header=BB248_10 Depth=1
	v_cmp_eq_f32_e64 s[2:3], v58, v60
	s_waitcnt lgkmcnt(0)
	v_cmp_lt_i32_e64 s[4:5], v35, v59
	s_and_b64 s[2:3], s[2:3], s[4:5]
	s_andn2_b64 s[4:5], s[6:7], exec
	s_and_b64 s[2:3], s[2:3], exec
	s_or_b64 s[6:7], s[4:5], s[2:3]
.LBB248_24:                             ;   in Loop: Header=BB248_10 Depth=1
	s_or_b64 exec, exec, s[22:23]
	s_and_saveexec_b64 s[2:3], s[6:7]
	s_cbranch_execz .LBB248_26
; %bb.25:                               ;   in Loop: Header=BB248_10 Depth=1
	v_mov_b32_e32 v58, v60
	s_waitcnt lgkmcnt(1)
	v_mov_b32_e32 v32, v36
	s_waitcnt lgkmcnt(0)
	v_mov_b32_e32 v59, v35
	v_pk_mov_b32 v[34:35], v[36:37], v[36:37] op_sel:[0,1]
.LBB248_26:                             ;   in Loop: Header=BB248_10 Depth=1
	s_or_b64 exec, exec, s[2:3]
	s_waitcnt lgkmcnt(1)
	ds_bpermute_b32 v36, v45, v58
	ds_bpermute_b32 v60, v45, v59
	s_waitcnt lgkmcnt(2)
	ds_bpermute_b32 v35, v45, v32
	s_waitcnt lgkmcnt(2)
	v_cmp_eq_f32_e64 s[4:5], v58, v36
	s_waitcnt lgkmcnt(1)
	v_cmp_lt_i32_e64 s[6:7], v60, v59
	v_cmp_lt_f32_e64 s[2:3], v58, v36
	s_and_b64 s[4:5], s[4:5], s[6:7]
	s_or_b64 s[2:3], s[2:3], s[4:5]
	v_cndmask_b32_e64 v32, v59, v60, s[2:3]
	s_and_saveexec_b64 s[6:7], s[0:1]
	s_cbranch_execnz .LBB248_28
; %bb.27:                               ;   in Loop: Header=BB248_10 Depth=1
	s_or_b64 exec, exec, s[6:7]
	s_add_i32 s25, s25, 1
	s_cmp_ge_i32 s25, s8
	s_cbranch_scc1 .LBB248_9
	s_branch .LBB248_29
.LBB248_28:                             ;   in Loop: Header=BB248_10 Depth=1
	s_waitcnt lgkmcnt(0)
	v_cndmask_b32_e64 v36, v34, v35, s[2:3]
	v_add_u32_e32 v34, s25, v40
	v_ashrrev_i32_e32 v35, 31, v34
	v_cmp_le_i32_e64 s[2:3], s9, v32
	v_cmp_gt_i32_e64 s[4:5], s10, v32
	v_lshlrev_b64 v[58:59], 2, v[34:35]
	s_and_b64 s[4:5], s[2:3], s[4:5]
	v_mov_b32_e32 v61, s17
	v_add_co_u32_e64 v60, s[2:3], s16, v58
	v_addc_co_u32_e64 v61, s[2:3], v61, v59, s[2:3]
	global_store_dword v[60:61], v36, off
	v_subrev_u32_e32 v60, s9, v32
	v_ashrrev_i32_e32 v61, 31, v60
	s_and_b64 s[2:3], s[18:19], s[4:5]
	v_lshlrev_b64 v[34:35], 3, v[34:35]
	v_cndmask_b32_e64 v61, 0, v61, s[2:3]
	v_cndmask_b32_e64 v60, v55, v60, s[2:3]
	v_mov_b32_e32 v62, s13
	v_add_co_u32_e64 v34, s[2:3], s12, v34
	v_addc_co_u32_e64 v35, s[2:3], v62, v35, s[2:3]
	global_store_dwordx2 v[34:35], v[60:61], off
	v_mov_b32_e32 v35, s15
	v_add_co_u32_e64 v34, s[2:3], s14, v58
	v_addc_co_u32_e64 v35, s[2:3], v35, v59, s[2:3]
	global_store_dword v[34:35], v57, off
	v_add_f32_e32 v34, v39, v36
	v_cndmask_b32_e32 v39, v39, v34, vcc
	s_or_b64 exec, exec, s[6:7]
	s_add_i32 s25, s25, 1
	s_cmp_ge_i32 s25, s8
	s_cbranch_scc1 .LBB248_9
.LBB248_29:                             ;   in Loop: Header=BB248_10 Depth=1
	s_waitcnt lgkmcnt(0)
	v_ashrrev_i32_e32 v35, 31, v32
	v_lshrrev_b32_e32 v34, 30, v35
	v_add_u32_e32 v36, v32, v34
	v_ashrrev_i32_e32 v34, 2, v36
	v_ashrrev_i32_e32 v36, 31, v36
	v_lshrrev_b32_e32 v36, 27, v36
	v_add_u32_e32 v36, v34, v36
	v_and_b32_e32 v36, 0xffffffe0, v36
	v_sub_u32_e32 v36, v34, v36
	v_cmp_eq_u32_e64 s[2:3], v37, v36
	s_and_saveexec_b64 s[4:5], s[2:3]
	s_cbranch_execz .LBB248_8
; %bb.30:                               ;   in Loop: Header=BB248_10 Depth=1
	v_lshrrev_b32_e32 v35, 25, v35
	v_add_u32_e32 v35, v32, v35
	v_lshlrev_b32_e32 v34, 2, v34
	v_ashrrev_i32_e32 v35, 7, v35
	v_sub_u32_e32 v32, v32, v34
	v_lshl_add_u32 v32, v35, 2, v32
	v_cmp_ne_u32_e64 s[2:3], 15, v32
	v_cndmask_b32_e64 v31, v56, v31, s[2:3]
	v_cmp_ne_u32_e64 s[2:3], 14, v32
	v_cndmask_b32_e64 v30, v56, v30, s[2:3]
	;; [unrolled: 2-line block ×16, first 2 shown]
	s_branch .LBB248_8
.LBB248_31:
                                        ; implicit-def: $vgpr16_vgpr17_vgpr18_vgpr19_vgpr20_vgpr21_vgpr22_vgpr23_vgpr24_vgpr25_vgpr26_vgpr27_vgpr28_vgpr29_vgpr30_vgpr31
	s_andn2_b64 vcc, exec, s[6:7]
	s_cbranch_vccz .LBB248_5
	s_branch .LBB248_6
.LBB248_32:
	v_mov_b32_e32 v39, 0
.LBB248_33:
	v_cmp_eq_u32_e64 s[0:1], 0, v37
	s_and_b64 s[0:1], s[0:1], vcc
	s_and_b64 exec, exec, s[0:1]
	s_cbranch_execz .LBB248_42
; %bb.34:
	s_andn2_b64 vcc, exec, s[20:21]
	s_cbranch_vccnz .LBB248_42
; %bb.35:
	v_cmp_lt_f32_e32 vcc, 0, v39
	s_mov_b32 s2, 0
	v_cndmask_b32_e32 v0, 1.0, v39, vcc
	v_mul_lo_u32 v4, v33, s8
	s_cmp_eq_u32 s8, 1
	s_mov_b64 s[0:1], -1
	s_cbranch_scc1 .LBB248_39
; %bb.36:
	s_and_b32 s2, s8, 0x7ffffffe
	v_mov_b32_e32 v1, v0
	v_mov_b32_e32 v5, s17
	s_mov_b32 s3, s2
	v_mov_b32_e32 v2, v4
.LBB248_37:                             ; =>This Inner Loop Header: Depth=1
	v_ashrrev_i32_e32 v3, 31, v2
	v_lshlrev_b64 v[6:7], 2, v[2:3]
	v_add_co_u32_e32 v6, vcc, s16, v6
	v_addc_co_u32_e32 v7, vcc, v5, v7, vcc
	global_load_dwordx2 v[8:9], v[6:7], off
	s_add_i32 s3, s3, -2
	s_cmp_lg_u32 s3, 0
	v_add_u32_e32 v2, 2, v2
	s_waitcnt vmcnt(0)
	v_div_scale_f32 v3, s[0:1], v1, v1, v9
	v_div_scale_f32 v11, s[0:1], v0, v0, v8
	v_rcp_f32_e32 v12, v3
	v_rcp_f32_e32 v13, v11
	v_div_scale_f32 v10, vcc, v9, v1, v9
	v_fma_f32 v15, -v3, v12, 1.0
	v_fma_f32 v16, -v11, v13, 1.0
	v_fmac_f32_e32 v12, v15, v12
	v_div_scale_f32 v14, s[0:1], v8, v0, v8
	v_fmac_f32_e32 v13, v16, v13
	v_mul_f32_e32 v15, v10, v12
	v_mul_f32_e32 v16, v14, v13
	v_fma_f32 v17, -v3, v15, v10
	v_fma_f32 v18, -v11, v16, v14
	v_fmac_f32_e32 v15, v17, v12
	v_fmac_f32_e32 v16, v18, v13
	v_fma_f32 v3, -v3, v15, v10
	v_fma_f32 v10, -v11, v16, v14
	v_div_fmas_f32 v3, v3, v12, v15
	s_mov_b64 vcc, s[0:1]
	v_div_fixup_f32 v9, v3, v1, v9
	v_div_fmas_f32 v3, v10, v13, v16
	v_div_fixup_f32 v8, v3, v0, v8
	global_store_dwordx2 v[6:7], v[8:9], off
	s_cbranch_scc1 .LBB248_37
; %bb.38:
	s_cmp_lg_u32 s2, s8
	s_cselect_b64 s[0:1], -1, 0
.LBB248_39:
	s_and_b64 vcc, exec, s[0:1]
	s_cbranch_vccz .LBB248_42
; %bb.40:
	v_ashrrev_i32_e32 v1, 31, v4
	v_add_co_u32_e32 v2, vcc, s2, v4
	v_addc_co_u32_e32 v3, vcc, 0, v1, vcc
	v_lshlrev_b64 v[2:3], 2, v[2:3]
	v_mov_b32_e32 v1, s17
	v_add_co_u32_e32 v2, vcc, s16, v2
	s_sub_i32 s0, s8, s2
	v_addc_co_u32_e32 v3, vcc, v1, v3, vcc
.LBB248_41:                             ; =>This Inner Loop Header: Depth=1
	global_load_dword v1, v[2:3], off
	s_add_i32 s0, s0, -1
	s_cmp_lg_u32 s0, 0
	s_waitcnt vmcnt(0)
	v_div_scale_f32 v4, s[2:3], v0, v0, v1
	v_rcp_f32_e32 v5, v4
	v_div_scale_f32 v6, vcc, v1, v0, v1
	v_fma_f32 v7, -v4, v5, 1.0
	v_fmac_f32_e32 v5, v7, v5
	v_mul_f32_e32 v7, v6, v5
	v_fma_f32 v8, -v4, v7, v6
	v_fmac_f32_e32 v7, v8, v5
	v_fma_f32 v4, -v4, v7, v6
	v_div_fmas_f32 v4, v4, v5, v7
	v_div_fixup_f32 v1, v4, v0, v1
	global_store_dword v[2:3], v1, off
	v_add_co_u32_e32 v2, vcc, 4, v2
	v_addc_co_u32_e32 v3, vcc, 0, v3, vcc
	s_cbranch_scc1 .LBB248_41
.LBB248_42:
	s_endpgm
	.section	.rodata,"a",@progbits
	.p2align	6, 0x0
	.amdhsa_kernel _ZN4vllm3moe10topkGatingILi16ELi512ELi4ELi16ELi32ElfLNS0_11ScoringFuncE1EEEvPKT5_PKbPfiPT4_PiiiibPKf
		.amdhsa_group_segment_fixed_size 0
		.amdhsa_private_segment_fixed_size 0
		.amdhsa_kernarg_size 72
		.amdhsa_user_sgpr_count 6
		.amdhsa_user_sgpr_private_segment_buffer 1
		.amdhsa_user_sgpr_dispatch_ptr 0
		.amdhsa_user_sgpr_queue_ptr 0
		.amdhsa_user_sgpr_kernarg_segment_ptr 1
		.amdhsa_user_sgpr_dispatch_id 0
		.amdhsa_user_sgpr_flat_scratch_init 0
		.amdhsa_user_sgpr_kernarg_preload_length 0
		.amdhsa_user_sgpr_kernarg_preload_offset 0
		.amdhsa_user_sgpr_private_segment_size 0
		.amdhsa_uses_dynamic_stack 0
		.amdhsa_system_sgpr_private_segment_wavefront_offset 0
		.amdhsa_system_sgpr_workgroup_id_x 1
		.amdhsa_system_sgpr_workgroup_id_y 0
		.amdhsa_system_sgpr_workgroup_id_z 0
		.amdhsa_system_sgpr_workgroup_info 0
		.amdhsa_system_vgpr_workitem_id 1
		.amdhsa_next_free_vgpr 63
		.amdhsa_next_free_sgpr 26
		.amdhsa_accum_offset 64
		.amdhsa_reserve_vcc 1
		.amdhsa_reserve_flat_scratch 0
		.amdhsa_float_round_mode_32 0
		.amdhsa_float_round_mode_16_64 0
		.amdhsa_float_denorm_mode_32 3
		.amdhsa_float_denorm_mode_16_64 3
		.amdhsa_dx10_clamp 1
		.amdhsa_ieee_mode 1
		.amdhsa_fp16_overflow 0
		.amdhsa_tg_split 0
		.amdhsa_exception_fp_ieee_invalid_op 0
		.amdhsa_exception_fp_denorm_src 0
		.amdhsa_exception_fp_ieee_div_zero 0
		.amdhsa_exception_fp_ieee_overflow 0
		.amdhsa_exception_fp_ieee_underflow 0
		.amdhsa_exception_fp_ieee_inexact 0
		.amdhsa_exception_int_div_zero 0
	.end_amdhsa_kernel
	.section	.text._ZN4vllm3moe10topkGatingILi16ELi512ELi4ELi16ELi32ElfLNS0_11ScoringFuncE1EEEvPKT5_PKbPfiPT4_PiiiibPKf,"axG",@progbits,_ZN4vllm3moe10topkGatingILi16ELi512ELi4ELi16ELi32ElfLNS0_11ScoringFuncE1EEEvPKT5_PKbPfiPT4_PiiiibPKf,comdat
.Lfunc_end248:
	.size	_ZN4vllm3moe10topkGatingILi16ELi512ELi4ELi16ELi32ElfLNS0_11ScoringFuncE1EEEvPKT5_PKbPfiPT4_PiiiibPKf, .Lfunc_end248-_ZN4vllm3moe10topkGatingILi16ELi512ELi4ELi16ELi32ElfLNS0_11ScoringFuncE1EEEvPKT5_PKbPfiPT4_PiiiibPKf
                                        ; -- End function
	.section	.AMDGPU.csdata,"",@progbits
; Kernel info:
; codeLenInByte = 4532
; NumSgprs: 30
; NumVgprs: 63
; NumAgprs: 0
; TotalNumVgprs: 63
; ScratchSize: 0
; MemoryBound: 0
; FloatMode: 240
; IeeeMode: 1
; LDSByteSize: 0 bytes/workgroup (compile time only)
; SGPRBlocks: 3
; VGPRBlocks: 7
; NumSGPRsForWavesPerEU: 30
; NumVGPRsForWavesPerEU: 63
; AccumOffset: 64
; Occupancy: 8
; WaveLimiterHint : 1
; COMPUTE_PGM_RSRC2:SCRATCH_EN: 0
; COMPUTE_PGM_RSRC2:USER_SGPR: 6
; COMPUTE_PGM_RSRC2:TRAP_HANDLER: 0
; COMPUTE_PGM_RSRC2:TGID_X_EN: 1
; COMPUTE_PGM_RSRC2:TGID_Y_EN: 0
; COMPUTE_PGM_RSRC2:TGID_Z_EN: 0
; COMPUTE_PGM_RSRC2:TIDIG_COMP_CNT: 1
; COMPUTE_PGM_RSRC3_GFX90A:ACCUM_OFFSET: 15
; COMPUTE_PGM_RSRC3_GFX90A:TG_SPLIT: 0
	.section	.text._ZN4vllm3moe10topkGatingILi1ELi1ELi4ELi2ELi64Ei6__halfLNS0_11ScoringFuncE1EEEvPKT5_PKbPfiPT4_PiiiibPKf,"axG",@progbits,_ZN4vllm3moe10topkGatingILi1ELi1ELi4ELi2ELi64Ei6__halfLNS0_11ScoringFuncE1EEEvPKT5_PKbPfiPT4_PiiiibPKf,comdat
	.protected	_ZN4vllm3moe10topkGatingILi1ELi1ELi4ELi2ELi64Ei6__halfLNS0_11ScoringFuncE1EEEvPKT5_PKbPfiPT4_PiiiibPKf ; -- Begin function _ZN4vllm3moe10topkGatingILi1ELi1ELi4ELi2ELi64Ei6__halfLNS0_11ScoringFuncE1EEEvPKT5_PKbPfiPT4_PiiiibPKf
	.globl	_ZN4vllm3moe10topkGatingILi1ELi1ELi4ELi2ELi64Ei6__halfLNS0_11ScoringFuncE1EEEvPKT5_PKbPfiPT4_PiiiibPKf
	.p2align	8
	.type	_ZN4vllm3moe10topkGatingILi1ELi1ELi4ELi2ELi64Ei6__halfLNS0_11ScoringFuncE1EEEvPKT5_PKbPfiPT4_PiiiibPKf,@function
_ZN4vllm3moe10topkGatingILi1ELi1ELi4ELi2ELi64Ei6__halfLNS0_11ScoringFuncE1EEEvPKT5_PKbPfiPT4_PiiiibPKf: ; @_ZN4vllm3moe10topkGatingILi1ELi1ELi4ELi2ELi64Ei6__halfLNS0_11ScoringFuncE1EEEvPKT5_PKbPfiPT4_PiiiibPKf
; %bb.0:
	s_load_dword s18, s[4:5], 0x18
	v_bfe_u32 v1, v0, 10, 10
	s_lshl_b32 s0, s6, 8
	v_lshlrev_b32_e32 v1, 6, v1
	v_and_b32_e32 v0, 0x3ff, v0
	v_add3_u32 v0, v1, v0, s0
	s_waitcnt lgkmcnt(0)
	v_cmp_gt_i32_e32 vcc, s18, v0
	s_and_saveexec_b64 s[0:1], vcc
	s_cbranch_execz .LBB249_17
; %bb.1:
	s_load_dwordx4 s[12:15], s[4:5], 0x0
	s_load_dwordx2 s[2:3], s[4:5], 0x10
	v_ashrrev_i32_e32 v1, 31, v0
	s_waitcnt lgkmcnt(0)
	s_cmp_eq_u64 s[14:15], 0
	s_cbranch_scc1 .LBB249_3
; %bb.2:
	v_mov_b32_e32 v3, s15
	v_add_co_u32_e32 v2, vcc, s14, v0
	v_addc_co_u32_e32 v3, vcc, v3, v1, vcc
	global_load_ubyte v2, v[2:3], off
	s_waitcnt vmcnt(0)
	v_and_b32_e32 v2, 1, v2
	v_cmp_eq_u32_e32 vcc, 1, v2
	s_xor_b64 s[0:1], vcc, -1
	s_orn2_b64 s[16:17], s[0:1], exec
	s_branch .LBB249_4
.LBB249_3:
	s_mov_b64 s[16:17], -1
.LBB249_4:
	s_load_dwordx4 s[8:11], s[4:5], 0x30
	s_waitcnt lgkmcnt(0)
	s_bitcmp1_b32 s11, 0
	s_cselect_b64 s[0:1], -1, 0
	s_cmp_gt_i32 s8, 0
	s_cselect_b64 s[14:15], -1, 0
	s_cmp_lt_i32 s8, 1
	s_cbranch_scc1 .LBB249_8
; %bb.5:
	v_lshlrev_b64 v[2:3], 1, v[0:1]
	v_mov_b32_e32 v1, s13
	v_add_co_u32_e32 v2, vcc, s12, v2
	v_addc_co_u32_e32 v3, vcc, v1, v3, vcc
	global_load_ushort v4, v[2:3], off
	v_mul_lo_u32 v2, v0, s8
	s_load_dwordx4 s[4:7], s[4:5], 0x20
	s_cmp_lt_i32 s9, 1
	v_ashrrev_i32_e32 v3, 31, v2
	s_cselect_b64 s[12:13], -1, 0
	s_cmp_gt_i32 s10, 0
	v_lshlrev_b64 v[6:7], 2, v[2:3]
	v_mov_b32_e32 v5, s3
	s_cselect_b64 s[10:11], -1, 0
	v_add_co_u32_e32 v2, vcc, s2, v6
	s_sub_i32 s9, 0, s9
	s_and_b64 s[10:11], s[12:13], s[10:11]
	v_addc_co_u32_e32 v3, vcc, v5, v7, vcc
	v_mov_b32_e32 v9, s9
	s_and_b64 vcc, s[16:17], s[10:11]
	v_cndmask_b32_e32 v9, 1, v9, vcc
	s_waitcnt lgkmcnt(0)
	v_mov_b32_e32 v5, s5
	v_mov_b32_e32 v10, s7
	s_movk_i32 s19, 0x1f8
	v_mov_b32_e32 v1, 0
	v_mov_b32_e32 v8, v0
	s_waitcnt vmcnt(0)
	v_cvt_f32_f16_e32 v4, v4
	v_mul_f32_e32 v4, 0xbfb8aa3b, v4
	v_exp_f32_e32 v11, v4
	v_add_co_u32_e32 v4, vcc, s4, v6
	v_addc_co_u32_e32 v5, vcc, v5, v7, vcc
	v_add_f32_e32 v11, 1.0, v11
	v_div_scale_f32 v12, s[4:5], v11, v11, 1.0
	v_rcp_f32_e32 v13, v12
	v_add_co_u32_e32 v6, vcc, s6, v6
	v_addc_co_u32_e32 v7, vcc, v10, v7, vcc
	v_fma_f32 v14, -v12, v13, 1.0
	v_div_scale_f32 v10, vcc, 1.0, v11, 1.0
	v_fmac_f32_e32 v13, v14, v13
	v_mul_f32_e32 v14, v10, v13
	v_fma_f32 v15, -v12, v14, v10
	v_fmac_f32_e32 v14, v15, v13
	v_fma_f32 v10, -v12, v14, v10
	v_div_fmas_f32 v10, v10, v13, v14
	v_div_fixup_f32 v10, v10, v11, 1.0
	v_cmp_class_f32_e64 vcc, v10, s19
	v_cndmask_b32_e32 v10, 0, v10, vcc
	s_mov_b32 s4, s8
.LBB249_6:                              ; =>This Inner Loop Header: Depth=1
	global_store_dword v[2:3], v10, off
	global_store_dword v[4:5], v9, off
	;; [unrolled: 1-line block ×3, first 2 shown]
	v_add_co_u32_e32 v2, vcc, 4, v2
	v_addc_co_u32_e32 v3, vcc, 0, v3, vcc
	v_add_co_u32_e32 v4, vcc, 4, v4
	v_addc_co_u32_e32 v5, vcc, 0, v5, vcc
	v_add_f32_e32 v11, v1, v10
	s_add_i32 s4, s4, -1
	v_add_co_u32_e32 v6, vcc, 4, v6
	v_cndmask_b32_e64 v1, v1, v11, s[0:1]
	v_add_u32_e32 v8, s18, v8
	s_cmp_lg_u32 s4, 0
	v_addc_co_u32_e32 v7, vcc, 0, v7, vcc
	s_cbranch_scc1 .LBB249_6
; %bb.7:
	s_andn2_b64 vcc, exec, s[0:1]
	s_cbranch_vccz .LBB249_9
	s_branch .LBB249_17
.LBB249_8:
	v_mov_b32_e32 v1, 0
	s_andn2_b64 vcc, exec, s[0:1]
	s_cbranch_vccnz .LBB249_17
.LBB249_9:
	s_andn2_b64 vcc, exec, s[14:15]
	s_cbranch_vccnz .LBB249_17
; %bb.10:
	v_cmp_lt_f32_e32 vcc, 0, v1
	s_mov_b32 s4, 0
	v_cndmask_b32_e32 v2, 1.0, v1, vcc
	v_mul_lo_u32 v0, v0, s8
	s_cmp_eq_u32 s8, 1
	s_mov_b64 s[0:1], -1
	s_cbranch_scc1 .LBB249_14
; %bb.11:
	s_and_b32 s4, s8, 0x7ffffffe
	v_mov_b32_e32 v1, v2
	v_mov_b32_e32 v3, s3
	s_mov_b32 s5, s4
	v_mov_b32_e32 v4, v0
.LBB249_12:                             ; =>This Inner Loop Header: Depth=1
	v_ashrrev_i32_e32 v5, 31, v4
	v_lshlrev_b64 v[6:7], 2, v[4:5]
	v_add_co_u32_e32 v6, vcc, s2, v6
	v_addc_co_u32_e32 v7, vcc, v3, v7, vcc
	global_load_dwordx2 v[8:9], v[6:7], off
	s_add_i32 s5, s5, -2
	s_cmp_lg_u32 s5, 0
	v_add_u32_e32 v4, 2, v4
	s_waitcnt vmcnt(0)
	v_div_scale_f32 v5, s[0:1], v1, v1, v9
	v_div_scale_f32 v11, s[0:1], v2, v2, v8
	v_rcp_f32_e32 v12, v5
	v_rcp_f32_e32 v13, v11
	v_div_scale_f32 v10, vcc, v9, v1, v9
	v_fma_f32 v15, -v5, v12, 1.0
	v_fma_f32 v16, -v11, v13, 1.0
	v_fmac_f32_e32 v12, v15, v12
	v_div_scale_f32 v14, s[0:1], v8, v2, v8
	v_fmac_f32_e32 v13, v16, v13
	v_mul_f32_e32 v15, v10, v12
	v_mul_f32_e32 v16, v14, v13
	v_fma_f32 v17, -v5, v15, v10
	v_fma_f32 v18, -v11, v16, v14
	v_fmac_f32_e32 v15, v17, v12
	v_fmac_f32_e32 v16, v18, v13
	v_fma_f32 v5, -v5, v15, v10
	v_fma_f32 v10, -v11, v16, v14
	v_div_fmas_f32 v5, v5, v12, v15
	s_mov_b64 vcc, s[0:1]
	v_div_fixup_f32 v9, v5, v1, v9
	v_div_fmas_f32 v5, v10, v13, v16
	v_div_fixup_f32 v8, v5, v2, v8
	global_store_dwordx2 v[6:7], v[8:9], off
	s_cbranch_scc1 .LBB249_12
; %bb.13:
	s_cmp_lg_u32 s4, s8
	s_cselect_b64 s[0:1], -1, 0
.LBB249_14:
	s_and_b64 vcc, exec, s[0:1]
	s_cbranch_vccz .LBB249_17
; %bb.15:
	v_ashrrev_i32_e32 v1, 31, v0
	v_add_co_u32_e32 v0, vcc, s4, v0
	v_addc_co_u32_e32 v1, vcc, 0, v1, vcc
	v_lshlrev_b64 v[0:1], 2, v[0:1]
	v_mov_b32_e32 v3, s3
	v_add_co_u32_e32 v0, vcc, s2, v0
	s_sub_i32 s0, s8, s4
	v_addc_co_u32_e32 v1, vcc, v3, v1, vcc
.LBB249_16:                             ; =>This Inner Loop Header: Depth=1
	global_load_dword v3, v[0:1], off
	s_add_i32 s0, s0, -1
	s_cmp_lg_u32 s0, 0
	s_waitcnt vmcnt(0)
	v_div_scale_f32 v4, s[2:3], v2, v2, v3
	v_rcp_f32_e32 v5, v4
	v_div_scale_f32 v6, vcc, v3, v2, v3
	v_fma_f32 v7, -v4, v5, 1.0
	v_fmac_f32_e32 v5, v7, v5
	v_mul_f32_e32 v7, v6, v5
	v_fma_f32 v8, -v4, v7, v6
	v_fmac_f32_e32 v7, v8, v5
	v_fma_f32 v4, -v4, v7, v6
	v_div_fmas_f32 v4, v4, v5, v7
	v_div_fixup_f32 v3, v4, v2, v3
	global_store_dword v[0:1], v3, off
	v_add_co_u32_e32 v0, vcc, 4, v0
	v_addc_co_u32_e32 v1, vcc, 0, v1, vcc
	s_cbranch_scc1 .LBB249_16
.LBB249_17:
	s_endpgm
	.section	.rodata,"a",@progbits
	.p2align	6, 0x0
	.amdhsa_kernel _ZN4vllm3moe10topkGatingILi1ELi1ELi4ELi2ELi64Ei6__halfLNS0_11ScoringFuncE1EEEvPKT5_PKbPfiPT4_PiiiibPKf
		.amdhsa_group_segment_fixed_size 0
		.amdhsa_private_segment_fixed_size 0
		.amdhsa_kernarg_size 72
		.amdhsa_user_sgpr_count 6
		.amdhsa_user_sgpr_private_segment_buffer 1
		.amdhsa_user_sgpr_dispatch_ptr 0
		.amdhsa_user_sgpr_queue_ptr 0
		.amdhsa_user_sgpr_kernarg_segment_ptr 1
		.amdhsa_user_sgpr_dispatch_id 0
		.amdhsa_user_sgpr_flat_scratch_init 0
		.amdhsa_user_sgpr_kernarg_preload_length 0
		.amdhsa_user_sgpr_kernarg_preload_offset 0
		.amdhsa_user_sgpr_private_segment_size 0
		.amdhsa_uses_dynamic_stack 0
		.amdhsa_system_sgpr_private_segment_wavefront_offset 0
		.amdhsa_system_sgpr_workgroup_id_x 1
		.amdhsa_system_sgpr_workgroup_id_y 0
		.amdhsa_system_sgpr_workgroup_id_z 0
		.amdhsa_system_sgpr_workgroup_info 0
		.amdhsa_system_vgpr_workitem_id 1
		.amdhsa_next_free_vgpr 19
		.amdhsa_next_free_sgpr 20
		.amdhsa_accum_offset 20
		.amdhsa_reserve_vcc 1
		.amdhsa_reserve_flat_scratch 0
		.amdhsa_float_round_mode_32 0
		.amdhsa_float_round_mode_16_64 0
		.amdhsa_float_denorm_mode_32 3
		.amdhsa_float_denorm_mode_16_64 3
		.amdhsa_dx10_clamp 1
		.amdhsa_ieee_mode 1
		.amdhsa_fp16_overflow 0
		.amdhsa_tg_split 0
		.amdhsa_exception_fp_ieee_invalid_op 0
		.amdhsa_exception_fp_denorm_src 0
		.amdhsa_exception_fp_ieee_div_zero 0
		.amdhsa_exception_fp_ieee_overflow 0
		.amdhsa_exception_fp_ieee_underflow 0
		.amdhsa_exception_fp_ieee_inexact 0
		.amdhsa_exception_int_div_zero 0
	.end_amdhsa_kernel
	.section	.text._ZN4vllm3moe10topkGatingILi1ELi1ELi4ELi2ELi64Ei6__halfLNS0_11ScoringFuncE1EEEvPKT5_PKbPfiPT4_PiiiibPKf,"axG",@progbits,_ZN4vllm3moe10topkGatingILi1ELi1ELi4ELi2ELi64Ei6__halfLNS0_11ScoringFuncE1EEEvPKT5_PKbPfiPT4_PiiiibPKf,comdat
.Lfunc_end249:
	.size	_ZN4vllm3moe10topkGatingILi1ELi1ELi4ELi2ELi64Ei6__halfLNS0_11ScoringFuncE1EEEvPKT5_PKbPfiPT4_PiiiibPKf, .Lfunc_end249-_ZN4vllm3moe10topkGatingILi1ELi1ELi4ELi2ELi64Ei6__halfLNS0_11ScoringFuncE1EEEvPKT5_PKbPfiPT4_PiiiibPKf
                                        ; -- End function
	.section	.AMDGPU.csdata,"",@progbits
; Kernel info:
; codeLenInByte = 964
; NumSgprs: 24
; NumVgprs: 19
; NumAgprs: 0
; TotalNumVgprs: 19
; ScratchSize: 0
; MemoryBound: 0
; FloatMode: 240
; IeeeMode: 1
; LDSByteSize: 0 bytes/workgroup (compile time only)
; SGPRBlocks: 2
; VGPRBlocks: 2
; NumSGPRsForWavesPerEU: 24
; NumVGPRsForWavesPerEU: 19
; AccumOffset: 20
; Occupancy: 8
; WaveLimiterHint : 0
; COMPUTE_PGM_RSRC2:SCRATCH_EN: 0
; COMPUTE_PGM_RSRC2:USER_SGPR: 6
; COMPUTE_PGM_RSRC2:TRAP_HANDLER: 0
; COMPUTE_PGM_RSRC2:TGID_X_EN: 1
; COMPUTE_PGM_RSRC2:TGID_Y_EN: 0
; COMPUTE_PGM_RSRC2:TGID_Z_EN: 0
; COMPUTE_PGM_RSRC2:TIDIG_COMP_CNT: 1
; COMPUTE_PGM_RSRC3_GFX90A:ACCUM_OFFSET: 4
; COMPUTE_PGM_RSRC3_GFX90A:TG_SPLIT: 0
	.section	.text._ZN4vllm3moe10topkGatingILi1ELi1ELi4ELi2ELi32Ei6__halfLNS0_11ScoringFuncE1EEEvPKT5_PKbPfiPT4_PiiiibPKf,"axG",@progbits,_ZN4vllm3moe10topkGatingILi1ELi1ELi4ELi2ELi32Ei6__halfLNS0_11ScoringFuncE1EEEvPKT5_PKbPfiPT4_PiiiibPKf,comdat
	.protected	_ZN4vllm3moe10topkGatingILi1ELi1ELi4ELi2ELi32Ei6__halfLNS0_11ScoringFuncE1EEEvPKT5_PKbPfiPT4_PiiiibPKf ; -- Begin function _ZN4vllm3moe10topkGatingILi1ELi1ELi4ELi2ELi32Ei6__halfLNS0_11ScoringFuncE1EEEvPKT5_PKbPfiPT4_PiiiibPKf
	.globl	_ZN4vllm3moe10topkGatingILi1ELi1ELi4ELi2ELi32Ei6__halfLNS0_11ScoringFuncE1EEEvPKT5_PKbPfiPT4_PiiiibPKf
	.p2align	8
	.type	_ZN4vllm3moe10topkGatingILi1ELi1ELi4ELi2ELi32Ei6__halfLNS0_11ScoringFuncE1EEEvPKT5_PKbPfiPT4_PiiiibPKf,@function
_ZN4vllm3moe10topkGatingILi1ELi1ELi4ELi2ELi32Ei6__halfLNS0_11ScoringFuncE1EEEvPKT5_PKbPfiPT4_PiiiibPKf: ; @_ZN4vllm3moe10topkGatingILi1ELi1ELi4ELi2ELi32Ei6__halfLNS0_11ScoringFuncE1EEEvPKT5_PKbPfiPT4_PiiiibPKf
; %bb.0:
	s_load_dword s18, s[4:5], 0x18
	v_bfe_u32 v1, v0, 10, 10
	s_lshl_b32 s0, s6, 7
	v_lshlrev_b32_e32 v1, 5, v1
	v_and_b32_e32 v0, 0x3ff, v0
	v_add3_u32 v0, v1, v0, s0
	s_waitcnt lgkmcnt(0)
	v_cmp_gt_i32_e32 vcc, s18, v0
	s_and_saveexec_b64 s[0:1], vcc
	s_cbranch_execz .LBB250_17
; %bb.1:
	s_load_dwordx4 s[12:15], s[4:5], 0x0
	s_load_dwordx2 s[2:3], s[4:5], 0x10
	v_ashrrev_i32_e32 v1, 31, v0
	s_waitcnt lgkmcnt(0)
	s_cmp_eq_u64 s[14:15], 0
	s_cbranch_scc1 .LBB250_3
; %bb.2:
	v_mov_b32_e32 v3, s15
	v_add_co_u32_e32 v2, vcc, s14, v0
	v_addc_co_u32_e32 v3, vcc, v3, v1, vcc
	global_load_ubyte v2, v[2:3], off
	s_waitcnt vmcnt(0)
	v_and_b32_e32 v2, 1, v2
	v_cmp_eq_u32_e32 vcc, 1, v2
	s_xor_b64 s[0:1], vcc, -1
	s_orn2_b64 s[16:17], s[0:1], exec
	s_branch .LBB250_4
.LBB250_3:
	s_mov_b64 s[16:17], -1
.LBB250_4:
	s_load_dwordx4 s[8:11], s[4:5], 0x30
	s_waitcnt lgkmcnt(0)
	s_bitcmp1_b32 s11, 0
	s_cselect_b64 s[0:1], -1, 0
	s_cmp_gt_i32 s8, 0
	s_cselect_b64 s[14:15], -1, 0
	s_cmp_lt_i32 s8, 1
	s_cbranch_scc1 .LBB250_8
; %bb.5:
	v_lshlrev_b64 v[2:3], 1, v[0:1]
	v_mov_b32_e32 v1, s13
	v_add_co_u32_e32 v2, vcc, s12, v2
	v_addc_co_u32_e32 v3, vcc, v1, v3, vcc
	global_load_ushort v4, v[2:3], off
	v_mul_lo_u32 v2, v0, s8
	s_load_dwordx4 s[4:7], s[4:5], 0x20
	s_cmp_lt_i32 s9, 1
	v_ashrrev_i32_e32 v3, 31, v2
	s_cselect_b64 s[12:13], -1, 0
	s_cmp_gt_i32 s10, 0
	v_lshlrev_b64 v[6:7], 2, v[2:3]
	v_mov_b32_e32 v5, s3
	s_cselect_b64 s[10:11], -1, 0
	v_add_co_u32_e32 v2, vcc, s2, v6
	s_sub_i32 s9, 0, s9
	s_and_b64 s[10:11], s[12:13], s[10:11]
	v_addc_co_u32_e32 v3, vcc, v5, v7, vcc
	v_mov_b32_e32 v9, s9
	s_and_b64 vcc, s[16:17], s[10:11]
	v_cndmask_b32_e32 v9, 1, v9, vcc
	s_waitcnt lgkmcnt(0)
	v_mov_b32_e32 v5, s5
	v_mov_b32_e32 v10, s7
	s_movk_i32 s19, 0x1f8
	v_mov_b32_e32 v1, 0
	v_mov_b32_e32 v8, v0
	s_waitcnt vmcnt(0)
	v_cvt_f32_f16_e32 v4, v4
	v_mul_f32_e32 v4, 0xbfb8aa3b, v4
	v_exp_f32_e32 v11, v4
	v_add_co_u32_e32 v4, vcc, s4, v6
	v_addc_co_u32_e32 v5, vcc, v5, v7, vcc
	v_add_f32_e32 v11, 1.0, v11
	v_div_scale_f32 v12, s[4:5], v11, v11, 1.0
	v_rcp_f32_e32 v13, v12
	v_add_co_u32_e32 v6, vcc, s6, v6
	v_addc_co_u32_e32 v7, vcc, v10, v7, vcc
	v_fma_f32 v14, -v12, v13, 1.0
	v_div_scale_f32 v10, vcc, 1.0, v11, 1.0
	v_fmac_f32_e32 v13, v14, v13
	v_mul_f32_e32 v14, v10, v13
	v_fma_f32 v15, -v12, v14, v10
	v_fmac_f32_e32 v14, v15, v13
	v_fma_f32 v10, -v12, v14, v10
	v_div_fmas_f32 v10, v10, v13, v14
	v_div_fixup_f32 v10, v10, v11, 1.0
	v_cmp_class_f32_e64 vcc, v10, s19
	v_cndmask_b32_e32 v10, 0, v10, vcc
	s_mov_b32 s4, s8
.LBB250_6:                              ; =>This Inner Loop Header: Depth=1
	global_store_dword v[2:3], v10, off
	global_store_dword v[4:5], v9, off
	;; [unrolled: 1-line block ×3, first 2 shown]
	v_add_co_u32_e32 v2, vcc, 4, v2
	v_addc_co_u32_e32 v3, vcc, 0, v3, vcc
	v_add_co_u32_e32 v4, vcc, 4, v4
	v_addc_co_u32_e32 v5, vcc, 0, v5, vcc
	v_add_f32_e32 v11, v1, v10
	s_add_i32 s4, s4, -1
	v_add_co_u32_e32 v6, vcc, 4, v6
	v_cndmask_b32_e64 v1, v1, v11, s[0:1]
	v_add_u32_e32 v8, s18, v8
	s_cmp_lg_u32 s4, 0
	v_addc_co_u32_e32 v7, vcc, 0, v7, vcc
	s_cbranch_scc1 .LBB250_6
; %bb.7:
	s_andn2_b64 vcc, exec, s[0:1]
	s_cbranch_vccz .LBB250_9
	s_branch .LBB250_17
.LBB250_8:
	v_mov_b32_e32 v1, 0
	s_andn2_b64 vcc, exec, s[0:1]
	s_cbranch_vccnz .LBB250_17
.LBB250_9:
	s_andn2_b64 vcc, exec, s[14:15]
	s_cbranch_vccnz .LBB250_17
; %bb.10:
	v_cmp_lt_f32_e32 vcc, 0, v1
	s_mov_b32 s4, 0
	v_cndmask_b32_e32 v2, 1.0, v1, vcc
	v_mul_lo_u32 v0, v0, s8
	s_cmp_eq_u32 s8, 1
	s_mov_b64 s[0:1], -1
	s_cbranch_scc1 .LBB250_14
; %bb.11:
	s_and_b32 s4, s8, 0x7ffffffe
	v_mov_b32_e32 v1, v2
	v_mov_b32_e32 v3, s3
	s_mov_b32 s5, s4
	v_mov_b32_e32 v4, v0
.LBB250_12:                             ; =>This Inner Loop Header: Depth=1
	v_ashrrev_i32_e32 v5, 31, v4
	v_lshlrev_b64 v[6:7], 2, v[4:5]
	v_add_co_u32_e32 v6, vcc, s2, v6
	v_addc_co_u32_e32 v7, vcc, v3, v7, vcc
	global_load_dwordx2 v[8:9], v[6:7], off
	s_add_i32 s5, s5, -2
	s_cmp_lg_u32 s5, 0
	v_add_u32_e32 v4, 2, v4
	s_waitcnt vmcnt(0)
	v_div_scale_f32 v5, s[0:1], v1, v1, v9
	v_div_scale_f32 v11, s[0:1], v2, v2, v8
	v_rcp_f32_e32 v12, v5
	v_rcp_f32_e32 v13, v11
	v_div_scale_f32 v10, vcc, v9, v1, v9
	v_fma_f32 v15, -v5, v12, 1.0
	v_fma_f32 v16, -v11, v13, 1.0
	v_fmac_f32_e32 v12, v15, v12
	v_div_scale_f32 v14, s[0:1], v8, v2, v8
	v_fmac_f32_e32 v13, v16, v13
	v_mul_f32_e32 v15, v10, v12
	v_mul_f32_e32 v16, v14, v13
	v_fma_f32 v17, -v5, v15, v10
	v_fma_f32 v18, -v11, v16, v14
	v_fmac_f32_e32 v15, v17, v12
	v_fmac_f32_e32 v16, v18, v13
	v_fma_f32 v5, -v5, v15, v10
	v_fma_f32 v10, -v11, v16, v14
	v_div_fmas_f32 v5, v5, v12, v15
	s_mov_b64 vcc, s[0:1]
	v_div_fixup_f32 v9, v5, v1, v9
	v_div_fmas_f32 v5, v10, v13, v16
	v_div_fixup_f32 v8, v5, v2, v8
	global_store_dwordx2 v[6:7], v[8:9], off
	s_cbranch_scc1 .LBB250_12
; %bb.13:
	s_cmp_lg_u32 s4, s8
	s_cselect_b64 s[0:1], -1, 0
.LBB250_14:
	s_and_b64 vcc, exec, s[0:1]
	s_cbranch_vccz .LBB250_17
; %bb.15:
	v_ashrrev_i32_e32 v1, 31, v0
	v_add_co_u32_e32 v0, vcc, s4, v0
	v_addc_co_u32_e32 v1, vcc, 0, v1, vcc
	v_lshlrev_b64 v[0:1], 2, v[0:1]
	v_mov_b32_e32 v3, s3
	v_add_co_u32_e32 v0, vcc, s2, v0
	s_sub_i32 s0, s8, s4
	v_addc_co_u32_e32 v1, vcc, v3, v1, vcc
.LBB250_16:                             ; =>This Inner Loop Header: Depth=1
	global_load_dword v3, v[0:1], off
	s_add_i32 s0, s0, -1
	s_cmp_lg_u32 s0, 0
	s_waitcnt vmcnt(0)
	v_div_scale_f32 v4, s[2:3], v2, v2, v3
	v_rcp_f32_e32 v5, v4
	v_div_scale_f32 v6, vcc, v3, v2, v3
	v_fma_f32 v7, -v4, v5, 1.0
	v_fmac_f32_e32 v5, v7, v5
	v_mul_f32_e32 v7, v6, v5
	v_fma_f32 v8, -v4, v7, v6
	v_fmac_f32_e32 v7, v8, v5
	v_fma_f32 v4, -v4, v7, v6
	v_div_fmas_f32 v4, v4, v5, v7
	v_div_fixup_f32 v3, v4, v2, v3
	global_store_dword v[0:1], v3, off
	v_add_co_u32_e32 v0, vcc, 4, v0
	v_addc_co_u32_e32 v1, vcc, 0, v1, vcc
	s_cbranch_scc1 .LBB250_16
.LBB250_17:
	s_endpgm
	.section	.rodata,"a",@progbits
	.p2align	6, 0x0
	.amdhsa_kernel _ZN4vllm3moe10topkGatingILi1ELi1ELi4ELi2ELi32Ei6__halfLNS0_11ScoringFuncE1EEEvPKT5_PKbPfiPT4_PiiiibPKf
		.amdhsa_group_segment_fixed_size 0
		.amdhsa_private_segment_fixed_size 0
		.amdhsa_kernarg_size 72
		.amdhsa_user_sgpr_count 6
		.amdhsa_user_sgpr_private_segment_buffer 1
		.amdhsa_user_sgpr_dispatch_ptr 0
		.amdhsa_user_sgpr_queue_ptr 0
		.amdhsa_user_sgpr_kernarg_segment_ptr 1
		.amdhsa_user_sgpr_dispatch_id 0
		.amdhsa_user_sgpr_flat_scratch_init 0
		.amdhsa_user_sgpr_kernarg_preload_length 0
		.amdhsa_user_sgpr_kernarg_preload_offset 0
		.amdhsa_user_sgpr_private_segment_size 0
		.amdhsa_uses_dynamic_stack 0
		.amdhsa_system_sgpr_private_segment_wavefront_offset 0
		.amdhsa_system_sgpr_workgroup_id_x 1
		.amdhsa_system_sgpr_workgroup_id_y 0
		.amdhsa_system_sgpr_workgroup_id_z 0
		.amdhsa_system_sgpr_workgroup_info 0
		.amdhsa_system_vgpr_workitem_id 1
		.amdhsa_next_free_vgpr 19
		.amdhsa_next_free_sgpr 20
		.amdhsa_accum_offset 20
		.amdhsa_reserve_vcc 1
		.amdhsa_reserve_flat_scratch 0
		.amdhsa_float_round_mode_32 0
		.amdhsa_float_round_mode_16_64 0
		.amdhsa_float_denorm_mode_32 3
		.amdhsa_float_denorm_mode_16_64 3
		.amdhsa_dx10_clamp 1
		.amdhsa_ieee_mode 1
		.amdhsa_fp16_overflow 0
		.amdhsa_tg_split 0
		.amdhsa_exception_fp_ieee_invalid_op 0
		.amdhsa_exception_fp_denorm_src 0
		.amdhsa_exception_fp_ieee_div_zero 0
		.amdhsa_exception_fp_ieee_overflow 0
		.amdhsa_exception_fp_ieee_underflow 0
		.amdhsa_exception_fp_ieee_inexact 0
		.amdhsa_exception_int_div_zero 0
	.end_amdhsa_kernel
	.section	.text._ZN4vllm3moe10topkGatingILi1ELi1ELi4ELi2ELi32Ei6__halfLNS0_11ScoringFuncE1EEEvPKT5_PKbPfiPT4_PiiiibPKf,"axG",@progbits,_ZN4vllm3moe10topkGatingILi1ELi1ELi4ELi2ELi32Ei6__halfLNS0_11ScoringFuncE1EEEvPKT5_PKbPfiPT4_PiiiibPKf,comdat
.Lfunc_end250:
	.size	_ZN4vllm3moe10topkGatingILi1ELi1ELi4ELi2ELi32Ei6__halfLNS0_11ScoringFuncE1EEEvPKT5_PKbPfiPT4_PiiiibPKf, .Lfunc_end250-_ZN4vllm3moe10topkGatingILi1ELi1ELi4ELi2ELi32Ei6__halfLNS0_11ScoringFuncE1EEEvPKT5_PKbPfiPT4_PiiiibPKf
                                        ; -- End function
	.section	.AMDGPU.csdata,"",@progbits
; Kernel info:
; codeLenInByte = 964
; NumSgprs: 24
; NumVgprs: 19
; NumAgprs: 0
; TotalNumVgprs: 19
; ScratchSize: 0
; MemoryBound: 0
; FloatMode: 240
; IeeeMode: 1
; LDSByteSize: 0 bytes/workgroup (compile time only)
; SGPRBlocks: 2
; VGPRBlocks: 2
; NumSGPRsForWavesPerEU: 24
; NumVGPRsForWavesPerEU: 19
; AccumOffset: 20
; Occupancy: 8
; WaveLimiterHint : 0
; COMPUTE_PGM_RSRC2:SCRATCH_EN: 0
; COMPUTE_PGM_RSRC2:USER_SGPR: 6
; COMPUTE_PGM_RSRC2:TRAP_HANDLER: 0
; COMPUTE_PGM_RSRC2:TGID_X_EN: 1
; COMPUTE_PGM_RSRC2:TGID_Y_EN: 0
; COMPUTE_PGM_RSRC2:TGID_Z_EN: 0
; COMPUTE_PGM_RSRC2:TIDIG_COMP_CNT: 1
; COMPUTE_PGM_RSRC3_GFX90A:ACCUM_OFFSET: 4
; COMPUTE_PGM_RSRC3_GFX90A:TG_SPLIT: 0
	.section	.text._ZN4vllm3moe10topkGatingILi2ELi2ELi4ELi4ELi64Ei6__halfLNS0_11ScoringFuncE1EEEvPKT5_PKbPfiPT4_PiiiibPKf,"axG",@progbits,_ZN4vllm3moe10topkGatingILi2ELi2ELi4ELi4ELi64Ei6__halfLNS0_11ScoringFuncE1EEEvPKT5_PKbPfiPT4_PiiiibPKf,comdat
	.protected	_ZN4vllm3moe10topkGatingILi2ELi2ELi4ELi4ELi64Ei6__halfLNS0_11ScoringFuncE1EEEvPKT5_PKbPfiPT4_PiiiibPKf ; -- Begin function _ZN4vllm3moe10topkGatingILi2ELi2ELi4ELi4ELi64Ei6__halfLNS0_11ScoringFuncE1EEEvPKT5_PKbPfiPT4_PiiiibPKf
	.globl	_ZN4vllm3moe10topkGatingILi2ELi2ELi4ELi4ELi64Ei6__halfLNS0_11ScoringFuncE1EEEvPKT5_PKbPfiPT4_PiiiibPKf
	.p2align	8
	.type	_ZN4vllm3moe10topkGatingILi2ELi2ELi4ELi4ELi64Ei6__halfLNS0_11ScoringFuncE1EEEvPKT5_PKbPfiPT4_PiiiibPKf,@function
_ZN4vllm3moe10topkGatingILi2ELi2ELi4ELi4ELi64Ei6__halfLNS0_11ScoringFuncE1EEEvPKT5_PKbPfiPT4_PiiiibPKf: ; @_ZN4vllm3moe10topkGatingILi2ELi2ELi4ELi4ELi64Ei6__halfLNS0_11ScoringFuncE1EEEvPKT5_PKbPfiPT4_PiiiibPKf
; %bb.0:
	s_load_dword s16, s[4:5], 0x18
	v_bfe_u32 v1, v0, 10, 10
	s_lshl_b32 s0, s6, 8
	v_lshlrev_b32_e32 v1, 6, v1
	v_and_b32_e32 v0, 0x3ff, v0
	v_add3_u32 v10, v1, v0, s0
	s_waitcnt lgkmcnt(0)
	v_cmp_gt_i32_e32 vcc, s16, v10
	s_and_saveexec_b64 s[0:1], vcc
	s_cbranch_execz .LBB251_19
; %bb.1:
	s_load_dwordx4 s[0:3], s[4:5], 0x0
	s_load_dwordx2 s[6:7], s[4:5], 0x10
	s_waitcnt lgkmcnt(0)
	s_cmp_eq_u64 s[2:3], 0
	s_cbranch_scc1 .LBB251_3
; %bb.2:
	v_ashrrev_i32_e32 v1, 31, v10
	v_mov_b32_e32 v2, s3
	v_add_co_u32_e32 v0, vcc, s2, v10
	v_addc_co_u32_e32 v1, vcc, v2, v1, vcc
	global_load_ubyte v0, v[0:1], off
	s_waitcnt vmcnt(0)
	v_and_b32_e32 v0, 1, v0
	v_cmp_eq_u32_e32 vcc, 1, v0
	s_xor_b64 s[2:3], vcc, -1
	s_orn2_b64 s[12:13], s[2:3], exec
	s_branch .LBB251_4
.LBB251_3:
	s_mov_b64 s[12:13], -1
.LBB251_4:
	v_lshlrev_b32_e32 v0, 1, v10
	v_ashrrev_i32_e32 v1, 31, v0
	v_lshlrev_b64 v[0:1], 1, v[0:1]
	v_mov_b32_e32 v2, s1
	v_add_co_u32_e32 v0, vcc, s0, v0
	v_addc_co_u32_e32 v1, vcc, v2, v1, vcc
	global_load_dword v0, v[0:1], off
	s_load_dwordx2 s[2:3], s[4:5], 0x40
	s_movk_i32 s8, 0x1f8
	s_waitcnt lgkmcnt(0)
	s_cmp_eq_u64 s[2:3], 0
	s_waitcnt vmcnt(0)
	v_cvt_f32_f16_e32 v1, v0
	v_cvt_f32_f16_sdwa v0, v0 dst_sel:DWORD dst_unused:UNUSED_PAD src0_sel:WORD_1
	v_mul_f32_e32 v1, 0xbfb8aa3b, v1
	v_mul_f32_e32 v2, 0xbfb8aa3b, v0
	v_exp_f32_e32 v0, v1
	v_exp_f32_e32 v1, v2
	v_pk_add_f32 v[0:1], v[0:1], 1.0 op_sel_hi:[1,0]
	v_div_scale_f32 v2, s[0:1], v1, v1, 1.0
	v_div_scale_f32 v4, s[0:1], v0, v0, 1.0
	v_rcp_f32_e32 v5, v2
	v_rcp_f32_e32 v6, v4
	v_div_scale_f32 v3, vcc, 1.0, v1, 1.0
	v_fma_f32 v8, -v2, v5, 1.0
	v_fma_f32 v9, -v4, v6, 1.0
	v_fmac_f32_e32 v5, v8, v5
	v_div_scale_f32 v7, s[0:1], 1.0, v0, 1.0
	v_fmac_f32_e32 v6, v9, v6
	v_mul_f32_e32 v8, v3, v5
	v_mul_f32_e32 v9, v7, v6
	v_fma_f32 v11, -v2, v8, v3
	v_fma_f32 v12, -v4, v9, v7
	v_fmac_f32_e32 v8, v11, v5
	v_fmac_f32_e32 v9, v12, v6
	v_fma_f32 v2, -v2, v8, v3
	v_fma_f32 v3, -v4, v9, v7
	v_div_fmas_f32 v2, v2, v5, v8
	s_mov_b64 vcc, s[0:1]
	v_div_fixup_f32 v1, v2, v1, 1.0
	v_div_fmas_f32 v2, v3, v6, v9
	v_div_fixup_f32 v0, v2, v0, 1.0
	v_cmp_class_f32_e64 vcc, v1, s8
	v_cndmask_b32_e32 v1, 0, v1, vcc
	v_cmp_class_f32_e64 vcc, v0, s8
	v_cndmask_b32_e32 v0, 0, v0, vcc
	v_pk_mov_b32 v[2:3], v[0:1], v[0:1] op_sel:[0,1]
	s_cbranch_scc1 .LBB251_6
; %bb.5:
	s_load_dwordx2 s[0:1], s[2:3], 0x0
	s_waitcnt lgkmcnt(0)
	v_pk_add_f32 v[2:3], v[0:1], s[0:1]
.LBB251_6:
	s_load_dwordx4 s[8:11], s[4:5], 0x30
	s_waitcnt lgkmcnt(0)
	s_bitcmp1_b32 s11, 0
	s_cselect_b64 vcc, -1, 0
	s_cmp_gt_i32 s8, 0
	s_cselect_b64 s[14:15], -1, 0
	s_cmp_lt_i32 s8, 1
	s_cbranch_scc1 .LBB251_10
; %bb.7:
	s_load_dwordx4 s[20:23], s[4:5], 0x20
	v_mul_lo_u32 v4, v10, s8
	v_ashrrev_i32_e32 v5, 31, v4
	v_lshlrev_b64 v[8:9], 2, v[4:5]
	v_mov_b32_e32 v5, s7
	v_add_co_u32_e64 v4, s[0:1], s6, v8
	v_addc_co_u32_e64 v5, s[0:1], v5, v9, s[0:1]
	s_waitcnt lgkmcnt(0)
	v_mov_b32_e32 v7, s21
	v_add_co_u32_e64 v6, s[0:1], s20, v8
	v_addc_co_u32_e64 v7, s[0:1], v7, v9, s[0:1]
	v_mov_b32_e32 v11, s23
	v_add_co_u32_e64 v8, s[0:1], s22, v8
	v_addc_co_u32_e64 v9, s[0:1], v11, v9, s[0:1]
	s_mov_b32 s11, 0
	v_mov_b32_e32 v11, 0
	v_mov_b32_e32 v12, 0xc61c4000
	;; [unrolled: 1-line block ×3, first 2 shown]
.LBB251_8:                              ; =>This Inner Loop Header: Depth=1
	v_cmp_gt_f32_e64 s[0:1], v3, v2
	v_cndmask_b32_e64 v14, 0, 1, s[0:1]
	v_cmp_le_i32_e64 s[2:3], s9, v14
	v_cmp_gt_i32_e64 s[4:5], s10, v14
	s_and_b64 s[2:3], s[2:3], s[4:5]
	v_subrev_u32_e32 v14, s9, v14
	s_and_b64 s[2:3], s[12:13], s[2:3]
	v_cndmask_b32_e64 v15, v0, v1, s[0:1]
	v_cndmask_b32_e64 v14, 2, v14, s[2:3]
	s_add_i32 s11, s11, 1
	global_store_dword v[4:5], v15, off
	global_store_dword v[6:7], v14, off
	;; [unrolled: 1-line block ×3, first 2 shown]
	v_add_f32_e32 v14, v11, v15
	s_cmp_lt_i32 s11, s8
	v_cndmask_b32_e32 v11, v11, v14, vcc
	v_cndmask_b32_e64 v14, v12, v2, s[0:1]
	v_cndmask_b32_e64 v15, v3, v12, s[0:1]
	s_cselect_b64 s[0:1], -1, 0
	v_cndmask_b32_e64 v3, v3, v15, s[0:1]
	v_cndmask_b32_e64 v2, v2, v14, s[0:1]
	v_add_co_u32_e64 v4, s[0:1], 4, v4
	v_addc_co_u32_e64 v5, s[0:1], 0, v5, s[0:1]
	v_add_co_u32_e64 v6, s[0:1], 4, v6
	v_addc_co_u32_e64 v7, s[0:1], 0, v7, s[0:1]
	v_add_co_u32_e64 v8, s[0:1], 4, v8
	v_add_u32_e32 v13, s16, v13
	s_cmp_eq_u32 s8, s11
	v_addc_co_u32_e64 v9, s[0:1], 0, v9, s[0:1]
	s_cbranch_scc0 .LBB251_8
; %bb.9:
	s_and_b64 vcc, exec, vcc
	s_cbranch_vccnz .LBB251_11
	s_branch .LBB251_19
.LBB251_10:
	v_mov_b32_e32 v11, 0
	s_and_b64 vcc, exec, vcc
	s_cbranch_vccz .LBB251_19
.LBB251_11:
	s_andn2_b64 vcc, exec, s[14:15]
	s_cbranch_vccnz .LBB251_19
; %bb.12:
	v_cmp_lt_f32_e32 vcc, 0, v11
	s_mov_b32 s2, 0
	v_cndmask_b32_e32 v0, 1.0, v11, vcc
	v_mul_lo_u32 v4, v10, s8
	s_cmp_eq_u32 s8, 1
	s_mov_b64 s[0:1], -1
	s_cbranch_scc1 .LBB251_16
; %bb.13:
	s_and_b32 s2, s8, 0x7ffffffe
	v_mov_b32_e32 v1, v0
	v_mov_b32_e32 v5, s7
	s_mov_b32 s3, s2
	v_mov_b32_e32 v2, v4
.LBB251_14:                             ; =>This Inner Loop Header: Depth=1
	v_ashrrev_i32_e32 v3, 31, v2
	v_lshlrev_b64 v[6:7], 2, v[2:3]
	v_add_co_u32_e32 v6, vcc, s6, v6
	v_addc_co_u32_e32 v7, vcc, v5, v7, vcc
	global_load_dwordx2 v[8:9], v[6:7], off
	s_add_i32 s3, s3, -2
	s_cmp_lg_u32 s3, 0
	v_add_u32_e32 v2, 2, v2
	s_waitcnt vmcnt(0)
	v_div_scale_f32 v3, s[0:1], v1, v1, v9
	v_div_scale_f32 v11, s[0:1], v0, v0, v8
	v_rcp_f32_e32 v12, v3
	v_rcp_f32_e32 v13, v11
	v_div_scale_f32 v10, vcc, v9, v1, v9
	v_fma_f32 v15, -v3, v12, 1.0
	v_fma_f32 v16, -v11, v13, 1.0
	v_fmac_f32_e32 v12, v15, v12
	v_div_scale_f32 v14, s[0:1], v8, v0, v8
	v_fmac_f32_e32 v13, v16, v13
	v_mul_f32_e32 v15, v10, v12
	v_mul_f32_e32 v16, v14, v13
	v_fma_f32 v17, -v3, v15, v10
	v_fma_f32 v18, -v11, v16, v14
	v_fmac_f32_e32 v15, v17, v12
	v_fmac_f32_e32 v16, v18, v13
	v_fma_f32 v3, -v3, v15, v10
	v_fma_f32 v10, -v11, v16, v14
	v_div_fmas_f32 v3, v3, v12, v15
	s_mov_b64 vcc, s[0:1]
	v_div_fixup_f32 v9, v3, v1, v9
	v_div_fmas_f32 v3, v10, v13, v16
	v_div_fixup_f32 v8, v3, v0, v8
	global_store_dwordx2 v[6:7], v[8:9], off
	s_cbranch_scc1 .LBB251_14
; %bb.15:
	s_cmp_lg_u32 s2, s8
	s_cselect_b64 s[0:1], -1, 0
.LBB251_16:
	s_and_b64 vcc, exec, s[0:1]
	s_cbranch_vccz .LBB251_19
; %bb.17:
	v_ashrrev_i32_e32 v1, 31, v4
	v_add_co_u32_e32 v2, vcc, s2, v4
	v_addc_co_u32_e32 v3, vcc, 0, v1, vcc
	v_lshlrev_b64 v[2:3], 2, v[2:3]
	v_mov_b32_e32 v1, s7
	v_add_co_u32_e32 v2, vcc, s6, v2
	s_sub_i32 s0, s8, s2
	v_addc_co_u32_e32 v3, vcc, v1, v3, vcc
.LBB251_18:                             ; =>This Inner Loop Header: Depth=1
	global_load_dword v1, v[2:3], off
	s_add_i32 s0, s0, -1
	s_cmp_lg_u32 s0, 0
	s_waitcnt vmcnt(0)
	v_div_scale_f32 v4, s[2:3], v0, v0, v1
	v_rcp_f32_e32 v5, v4
	v_div_scale_f32 v6, vcc, v1, v0, v1
	v_fma_f32 v7, -v4, v5, 1.0
	v_fmac_f32_e32 v5, v7, v5
	v_mul_f32_e32 v7, v6, v5
	v_fma_f32 v8, -v4, v7, v6
	v_fmac_f32_e32 v7, v8, v5
	v_fma_f32 v4, -v4, v7, v6
	v_div_fmas_f32 v4, v4, v5, v7
	v_div_fixup_f32 v1, v4, v0, v1
	global_store_dword v[2:3], v1, off
	v_add_co_u32_e32 v2, vcc, 4, v2
	v_addc_co_u32_e32 v3, vcc, 0, v3, vcc
	s_cbranch_scc1 .LBB251_18
.LBB251_19:
	s_endpgm
	.section	.rodata,"a",@progbits
	.p2align	6, 0x0
	.amdhsa_kernel _ZN4vllm3moe10topkGatingILi2ELi2ELi4ELi4ELi64Ei6__halfLNS0_11ScoringFuncE1EEEvPKT5_PKbPfiPT4_PiiiibPKf
		.amdhsa_group_segment_fixed_size 0
		.amdhsa_private_segment_fixed_size 0
		.amdhsa_kernarg_size 72
		.amdhsa_user_sgpr_count 6
		.amdhsa_user_sgpr_private_segment_buffer 1
		.amdhsa_user_sgpr_dispatch_ptr 0
		.amdhsa_user_sgpr_queue_ptr 0
		.amdhsa_user_sgpr_kernarg_segment_ptr 1
		.amdhsa_user_sgpr_dispatch_id 0
		.amdhsa_user_sgpr_flat_scratch_init 0
		.amdhsa_user_sgpr_kernarg_preload_length 0
		.amdhsa_user_sgpr_kernarg_preload_offset 0
		.amdhsa_user_sgpr_private_segment_size 0
		.amdhsa_uses_dynamic_stack 0
		.amdhsa_system_sgpr_private_segment_wavefront_offset 0
		.amdhsa_system_sgpr_workgroup_id_x 1
		.amdhsa_system_sgpr_workgroup_id_y 0
		.amdhsa_system_sgpr_workgroup_id_z 0
		.amdhsa_system_sgpr_workgroup_info 0
		.amdhsa_system_vgpr_workitem_id 1
		.amdhsa_next_free_vgpr 19
		.amdhsa_next_free_sgpr 24
		.amdhsa_accum_offset 20
		.amdhsa_reserve_vcc 1
		.amdhsa_reserve_flat_scratch 0
		.amdhsa_float_round_mode_32 0
		.amdhsa_float_round_mode_16_64 0
		.amdhsa_float_denorm_mode_32 3
		.amdhsa_float_denorm_mode_16_64 3
		.amdhsa_dx10_clamp 1
		.amdhsa_ieee_mode 1
		.amdhsa_fp16_overflow 0
		.amdhsa_tg_split 0
		.amdhsa_exception_fp_ieee_invalid_op 0
		.amdhsa_exception_fp_denorm_src 0
		.amdhsa_exception_fp_ieee_div_zero 0
		.amdhsa_exception_fp_ieee_overflow 0
		.amdhsa_exception_fp_ieee_underflow 0
		.amdhsa_exception_fp_ieee_inexact 0
		.amdhsa_exception_int_div_zero 0
	.end_amdhsa_kernel
	.section	.text._ZN4vllm3moe10topkGatingILi2ELi2ELi4ELi4ELi64Ei6__halfLNS0_11ScoringFuncE1EEEvPKT5_PKbPfiPT4_PiiiibPKf,"axG",@progbits,_ZN4vllm3moe10topkGatingILi2ELi2ELi4ELi4ELi64Ei6__halfLNS0_11ScoringFuncE1EEEvPKT5_PKbPfiPT4_PiiiibPKf,comdat
.Lfunc_end251:
	.size	_ZN4vllm3moe10topkGatingILi2ELi2ELi4ELi4ELi64Ei6__halfLNS0_11ScoringFuncE1EEEvPKT5_PKbPfiPT4_PiiiibPKf, .Lfunc_end251-_ZN4vllm3moe10topkGatingILi2ELi2ELi4ELi4ELi64Ei6__halfLNS0_11ScoringFuncE1EEEvPKT5_PKbPfiPT4_PiiiibPKf
                                        ; -- End function
	.section	.AMDGPU.csdata,"",@progbits
; Kernel info:
; codeLenInByte = 1248
; NumSgprs: 28
; NumVgprs: 19
; NumAgprs: 0
; TotalNumVgprs: 19
; ScratchSize: 0
; MemoryBound: 1
; FloatMode: 240
; IeeeMode: 1
; LDSByteSize: 0 bytes/workgroup (compile time only)
; SGPRBlocks: 3
; VGPRBlocks: 2
; NumSGPRsForWavesPerEU: 28
; NumVGPRsForWavesPerEU: 19
; AccumOffset: 20
; Occupancy: 8
; WaveLimiterHint : 0
; COMPUTE_PGM_RSRC2:SCRATCH_EN: 0
; COMPUTE_PGM_RSRC2:USER_SGPR: 6
; COMPUTE_PGM_RSRC2:TRAP_HANDLER: 0
; COMPUTE_PGM_RSRC2:TGID_X_EN: 1
; COMPUTE_PGM_RSRC2:TGID_Y_EN: 0
; COMPUTE_PGM_RSRC2:TGID_Z_EN: 0
; COMPUTE_PGM_RSRC2:TIDIG_COMP_CNT: 1
; COMPUTE_PGM_RSRC3_GFX90A:ACCUM_OFFSET: 4
; COMPUTE_PGM_RSRC3_GFX90A:TG_SPLIT: 0
	.section	.text._ZN4vllm3moe10topkGatingILi2ELi2ELi4ELi4ELi32Ei6__halfLNS0_11ScoringFuncE1EEEvPKT5_PKbPfiPT4_PiiiibPKf,"axG",@progbits,_ZN4vllm3moe10topkGatingILi2ELi2ELi4ELi4ELi32Ei6__halfLNS0_11ScoringFuncE1EEEvPKT5_PKbPfiPT4_PiiiibPKf,comdat
	.protected	_ZN4vllm3moe10topkGatingILi2ELi2ELi4ELi4ELi32Ei6__halfLNS0_11ScoringFuncE1EEEvPKT5_PKbPfiPT4_PiiiibPKf ; -- Begin function _ZN4vllm3moe10topkGatingILi2ELi2ELi4ELi4ELi32Ei6__halfLNS0_11ScoringFuncE1EEEvPKT5_PKbPfiPT4_PiiiibPKf
	.globl	_ZN4vllm3moe10topkGatingILi2ELi2ELi4ELi4ELi32Ei6__halfLNS0_11ScoringFuncE1EEEvPKT5_PKbPfiPT4_PiiiibPKf
	.p2align	8
	.type	_ZN4vllm3moe10topkGatingILi2ELi2ELi4ELi4ELi32Ei6__halfLNS0_11ScoringFuncE1EEEvPKT5_PKbPfiPT4_PiiiibPKf,@function
_ZN4vllm3moe10topkGatingILi2ELi2ELi4ELi4ELi32Ei6__halfLNS0_11ScoringFuncE1EEEvPKT5_PKbPfiPT4_PiiiibPKf: ; @_ZN4vllm3moe10topkGatingILi2ELi2ELi4ELi4ELi32Ei6__halfLNS0_11ScoringFuncE1EEEvPKT5_PKbPfiPT4_PiiiibPKf
; %bb.0:
	s_load_dword s16, s[4:5], 0x18
	v_bfe_u32 v1, v0, 10, 10
	s_lshl_b32 s0, s6, 7
	v_lshlrev_b32_e32 v1, 5, v1
	v_and_b32_e32 v0, 0x3ff, v0
	v_add3_u32 v10, v1, v0, s0
	s_waitcnt lgkmcnt(0)
	v_cmp_gt_i32_e32 vcc, s16, v10
	s_and_saveexec_b64 s[0:1], vcc
	s_cbranch_execz .LBB252_19
; %bb.1:
	s_load_dwordx4 s[0:3], s[4:5], 0x0
	s_load_dwordx2 s[6:7], s[4:5], 0x10
	s_waitcnt lgkmcnt(0)
	s_cmp_eq_u64 s[2:3], 0
	s_cbranch_scc1 .LBB252_3
; %bb.2:
	v_ashrrev_i32_e32 v1, 31, v10
	v_mov_b32_e32 v2, s3
	v_add_co_u32_e32 v0, vcc, s2, v10
	v_addc_co_u32_e32 v1, vcc, v2, v1, vcc
	global_load_ubyte v0, v[0:1], off
	s_waitcnt vmcnt(0)
	v_and_b32_e32 v0, 1, v0
	v_cmp_eq_u32_e32 vcc, 1, v0
	s_xor_b64 s[2:3], vcc, -1
	s_orn2_b64 s[12:13], s[2:3], exec
	s_branch .LBB252_4
.LBB252_3:
	s_mov_b64 s[12:13], -1
.LBB252_4:
	v_lshlrev_b32_e32 v0, 1, v10
	v_ashrrev_i32_e32 v1, 31, v0
	v_lshlrev_b64 v[0:1], 1, v[0:1]
	v_mov_b32_e32 v2, s1
	v_add_co_u32_e32 v0, vcc, s0, v0
	v_addc_co_u32_e32 v1, vcc, v2, v1, vcc
	global_load_dword v0, v[0:1], off
	s_load_dwordx2 s[2:3], s[4:5], 0x40
	s_movk_i32 s8, 0x1f8
	s_waitcnt lgkmcnt(0)
	s_cmp_eq_u64 s[2:3], 0
	s_waitcnt vmcnt(0)
	v_cvt_f32_f16_e32 v1, v0
	v_cvt_f32_f16_sdwa v0, v0 dst_sel:DWORD dst_unused:UNUSED_PAD src0_sel:WORD_1
	v_mul_f32_e32 v1, 0xbfb8aa3b, v1
	v_mul_f32_e32 v2, 0xbfb8aa3b, v0
	v_exp_f32_e32 v0, v1
	v_exp_f32_e32 v1, v2
	v_pk_add_f32 v[0:1], v[0:1], 1.0 op_sel_hi:[1,0]
	v_div_scale_f32 v2, s[0:1], v1, v1, 1.0
	v_div_scale_f32 v4, s[0:1], v0, v0, 1.0
	v_rcp_f32_e32 v5, v2
	v_rcp_f32_e32 v6, v4
	v_div_scale_f32 v3, vcc, 1.0, v1, 1.0
	v_fma_f32 v8, -v2, v5, 1.0
	v_fma_f32 v9, -v4, v6, 1.0
	v_fmac_f32_e32 v5, v8, v5
	v_div_scale_f32 v7, s[0:1], 1.0, v0, 1.0
	v_fmac_f32_e32 v6, v9, v6
	v_mul_f32_e32 v8, v3, v5
	v_mul_f32_e32 v9, v7, v6
	v_fma_f32 v11, -v2, v8, v3
	v_fma_f32 v12, -v4, v9, v7
	v_fmac_f32_e32 v8, v11, v5
	v_fmac_f32_e32 v9, v12, v6
	v_fma_f32 v2, -v2, v8, v3
	v_fma_f32 v3, -v4, v9, v7
	v_div_fmas_f32 v2, v2, v5, v8
	s_mov_b64 vcc, s[0:1]
	v_div_fixup_f32 v1, v2, v1, 1.0
	v_div_fmas_f32 v2, v3, v6, v9
	v_div_fixup_f32 v0, v2, v0, 1.0
	v_cmp_class_f32_e64 vcc, v1, s8
	v_cndmask_b32_e32 v1, 0, v1, vcc
	v_cmp_class_f32_e64 vcc, v0, s8
	v_cndmask_b32_e32 v0, 0, v0, vcc
	v_pk_mov_b32 v[2:3], v[0:1], v[0:1] op_sel:[0,1]
	s_cbranch_scc1 .LBB252_6
; %bb.5:
	s_load_dwordx2 s[0:1], s[2:3], 0x0
	s_waitcnt lgkmcnt(0)
	v_pk_add_f32 v[2:3], v[0:1], s[0:1]
.LBB252_6:
	s_load_dwordx4 s[8:11], s[4:5], 0x30
	s_waitcnt lgkmcnt(0)
	s_bitcmp1_b32 s11, 0
	s_cselect_b64 vcc, -1, 0
	s_cmp_gt_i32 s8, 0
	s_cselect_b64 s[14:15], -1, 0
	s_cmp_lt_i32 s8, 1
	s_cbranch_scc1 .LBB252_10
; %bb.7:
	s_load_dwordx4 s[20:23], s[4:5], 0x20
	v_mul_lo_u32 v4, v10, s8
	v_ashrrev_i32_e32 v5, 31, v4
	v_lshlrev_b64 v[8:9], 2, v[4:5]
	v_mov_b32_e32 v5, s7
	v_add_co_u32_e64 v4, s[0:1], s6, v8
	v_addc_co_u32_e64 v5, s[0:1], v5, v9, s[0:1]
	s_waitcnt lgkmcnt(0)
	v_mov_b32_e32 v7, s21
	v_add_co_u32_e64 v6, s[0:1], s20, v8
	v_addc_co_u32_e64 v7, s[0:1], v7, v9, s[0:1]
	v_mov_b32_e32 v11, s23
	v_add_co_u32_e64 v8, s[0:1], s22, v8
	v_addc_co_u32_e64 v9, s[0:1], v11, v9, s[0:1]
	s_mov_b32 s11, 0
	v_mov_b32_e32 v11, 0
	v_mov_b32_e32 v12, 0xc61c4000
	;; [unrolled: 1-line block ×3, first 2 shown]
.LBB252_8:                              ; =>This Inner Loop Header: Depth=1
	v_cmp_gt_f32_e64 s[0:1], v3, v2
	v_cndmask_b32_e64 v14, 0, 1, s[0:1]
	v_cmp_le_i32_e64 s[2:3], s9, v14
	v_cmp_gt_i32_e64 s[4:5], s10, v14
	s_and_b64 s[2:3], s[2:3], s[4:5]
	v_subrev_u32_e32 v14, s9, v14
	s_and_b64 s[2:3], s[12:13], s[2:3]
	v_cndmask_b32_e64 v15, v0, v1, s[0:1]
	v_cndmask_b32_e64 v14, 2, v14, s[2:3]
	s_add_i32 s11, s11, 1
	global_store_dword v[4:5], v15, off
	global_store_dword v[6:7], v14, off
	;; [unrolled: 1-line block ×3, first 2 shown]
	v_add_f32_e32 v14, v11, v15
	s_cmp_lt_i32 s11, s8
	v_cndmask_b32_e32 v11, v11, v14, vcc
	v_cndmask_b32_e64 v14, v12, v2, s[0:1]
	v_cndmask_b32_e64 v15, v3, v12, s[0:1]
	s_cselect_b64 s[0:1], -1, 0
	v_cndmask_b32_e64 v3, v3, v15, s[0:1]
	v_cndmask_b32_e64 v2, v2, v14, s[0:1]
	v_add_co_u32_e64 v4, s[0:1], 4, v4
	v_addc_co_u32_e64 v5, s[0:1], 0, v5, s[0:1]
	v_add_co_u32_e64 v6, s[0:1], 4, v6
	v_addc_co_u32_e64 v7, s[0:1], 0, v7, s[0:1]
	v_add_co_u32_e64 v8, s[0:1], 4, v8
	v_add_u32_e32 v13, s16, v13
	s_cmp_eq_u32 s8, s11
	v_addc_co_u32_e64 v9, s[0:1], 0, v9, s[0:1]
	s_cbranch_scc0 .LBB252_8
; %bb.9:
	s_and_b64 vcc, exec, vcc
	s_cbranch_vccnz .LBB252_11
	s_branch .LBB252_19
.LBB252_10:
	v_mov_b32_e32 v11, 0
	s_and_b64 vcc, exec, vcc
	s_cbranch_vccz .LBB252_19
.LBB252_11:
	s_andn2_b64 vcc, exec, s[14:15]
	s_cbranch_vccnz .LBB252_19
; %bb.12:
	v_cmp_lt_f32_e32 vcc, 0, v11
	s_mov_b32 s2, 0
	v_cndmask_b32_e32 v0, 1.0, v11, vcc
	v_mul_lo_u32 v4, v10, s8
	s_cmp_eq_u32 s8, 1
	s_mov_b64 s[0:1], -1
	s_cbranch_scc1 .LBB252_16
; %bb.13:
	s_and_b32 s2, s8, 0x7ffffffe
	v_mov_b32_e32 v1, v0
	v_mov_b32_e32 v5, s7
	s_mov_b32 s3, s2
	v_mov_b32_e32 v2, v4
.LBB252_14:                             ; =>This Inner Loop Header: Depth=1
	v_ashrrev_i32_e32 v3, 31, v2
	v_lshlrev_b64 v[6:7], 2, v[2:3]
	v_add_co_u32_e32 v6, vcc, s6, v6
	v_addc_co_u32_e32 v7, vcc, v5, v7, vcc
	global_load_dwordx2 v[8:9], v[6:7], off
	s_add_i32 s3, s3, -2
	s_cmp_lg_u32 s3, 0
	v_add_u32_e32 v2, 2, v2
	s_waitcnt vmcnt(0)
	v_div_scale_f32 v3, s[0:1], v1, v1, v9
	v_div_scale_f32 v11, s[0:1], v0, v0, v8
	v_rcp_f32_e32 v12, v3
	v_rcp_f32_e32 v13, v11
	v_div_scale_f32 v10, vcc, v9, v1, v9
	v_fma_f32 v15, -v3, v12, 1.0
	v_fma_f32 v16, -v11, v13, 1.0
	v_fmac_f32_e32 v12, v15, v12
	v_div_scale_f32 v14, s[0:1], v8, v0, v8
	v_fmac_f32_e32 v13, v16, v13
	v_mul_f32_e32 v15, v10, v12
	v_mul_f32_e32 v16, v14, v13
	v_fma_f32 v17, -v3, v15, v10
	v_fma_f32 v18, -v11, v16, v14
	v_fmac_f32_e32 v15, v17, v12
	v_fmac_f32_e32 v16, v18, v13
	v_fma_f32 v3, -v3, v15, v10
	v_fma_f32 v10, -v11, v16, v14
	v_div_fmas_f32 v3, v3, v12, v15
	s_mov_b64 vcc, s[0:1]
	v_div_fixup_f32 v9, v3, v1, v9
	v_div_fmas_f32 v3, v10, v13, v16
	v_div_fixup_f32 v8, v3, v0, v8
	global_store_dwordx2 v[6:7], v[8:9], off
	s_cbranch_scc1 .LBB252_14
; %bb.15:
	s_cmp_lg_u32 s2, s8
	s_cselect_b64 s[0:1], -1, 0
.LBB252_16:
	s_and_b64 vcc, exec, s[0:1]
	s_cbranch_vccz .LBB252_19
; %bb.17:
	v_ashrrev_i32_e32 v1, 31, v4
	v_add_co_u32_e32 v2, vcc, s2, v4
	v_addc_co_u32_e32 v3, vcc, 0, v1, vcc
	v_lshlrev_b64 v[2:3], 2, v[2:3]
	v_mov_b32_e32 v1, s7
	v_add_co_u32_e32 v2, vcc, s6, v2
	s_sub_i32 s0, s8, s2
	v_addc_co_u32_e32 v3, vcc, v1, v3, vcc
.LBB252_18:                             ; =>This Inner Loop Header: Depth=1
	global_load_dword v1, v[2:3], off
	s_add_i32 s0, s0, -1
	s_cmp_lg_u32 s0, 0
	s_waitcnt vmcnt(0)
	v_div_scale_f32 v4, s[2:3], v0, v0, v1
	v_rcp_f32_e32 v5, v4
	v_div_scale_f32 v6, vcc, v1, v0, v1
	v_fma_f32 v7, -v4, v5, 1.0
	v_fmac_f32_e32 v5, v7, v5
	v_mul_f32_e32 v7, v6, v5
	v_fma_f32 v8, -v4, v7, v6
	v_fmac_f32_e32 v7, v8, v5
	v_fma_f32 v4, -v4, v7, v6
	v_div_fmas_f32 v4, v4, v5, v7
	v_div_fixup_f32 v1, v4, v0, v1
	global_store_dword v[2:3], v1, off
	v_add_co_u32_e32 v2, vcc, 4, v2
	v_addc_co_u32_e32 v3, vcc, 0, v3, vcc
	s_cbranch_scc1 .LBB252_18
.LBB252_19:
	s_endpgm
	.section	.rodata,"a",@progbits
	.p2align	6, 0x0
	.amdhsa_kernel _ZN4vllm3moe10topkGatingILi2ELi2ELi4ELi4ELi32Ei6__halfLNS0_11ScoringFuncE1EEEvPKT5_PKbPfiPT4_PiiiibPKf
		.amdhsa_group_segment_fixed_size 0
		.amdhsa_private_segment_fixed_size 0
		.amdhsa_kernarg_size 72
		.amdhsa_user_sgpr_count 6
		.amdhsa_user_sgpr_private_segment_buffer 1
		.amdhsa_user_sgpr_dispatch_ptr 0
		.amdhsa_user_sgpr_queue_ptr 0
		.amdhsa_user_sgpr_kernarg_segment_ptr 1
		.amdhsa_user_sgpr_dispatch_id 0
		.amdhsa_user_sgpr_flat_scratch_init 0
		.amdhsa_user_sgpr_kernarg_preload_length 0
		.amdhsa_user_sgpr_kernarg_preload_offset 0
		.amdhsa_user_sgpr_private_segment_size 0
		.amdhsa_uses_dynamic_stack 0
		.amdhsa_system_sgpr_private_segment_wavefront_offset 0
		.amdhsa_system_sgpr_workgroup_id_x 1
		.amdhsa_system_sgpr_workgroup_id_y 0
		.amdhsa_system_sgpr_workgroup_id_z 0
		.amdhsa_system_sgpr_workgroup_info 0
		.amdhsa_system_vgpr_workitem_id 1
		.amdhsa_next_free_vgpr 19
		.amdhsa_next_free_sgpr 24
		.amdhsa_accum_offset 20
		.amdhsa_reserve_vcc 1
		.amdhsa_reserve_flat_scratch 0
		.amdhsa_float_round_mode_32 0
		.amdhsa_float_round_mode_16_64 0
		.amdhsa_float_denorm_mode_32 3
		.amdhsa_float_denorm_mode_16_64 3
		.amdhsa_dx10_clamp 1
		.amdhsa_ieee_mode 1
		.amdhsa_fp16_overflow 0
		.amdhsa_tg_split 0
		.amdhsa_exception_fp_ieee_invalid_op 0
		.amdhsa_exception_fp_denorm_src 0
		.amdhsa_exception_fp_ieee_div_zero 0
		.amdhsa_exception_fp_ieee_overflow 0
		.amdhsa_exception_fp_ieee_underflow 0
		.amdhsa_exception_fp_ieee_inexact 0
		.amdhsa_exception_int_div_zero 0
	.end_amdhsa_kernel
	.section	.text._ZN4vllm3moe10topkGatingILi2ELi2ELi4ELi4ELi32Ei6__halfLNS0_11ScoringFuncE1EEEvPKT5_PKbPfiPT4_PiiiibPKf,"axG",@progbits,_ZN4vllm3moe10topkGatingILi2ELi2ELi4ELi4ELi32Ei6__halfLNS0_11ScoringFuncE1EEEvPKT5_PKbPfiPT4_PiiiibPKf,comdat
.Lfunc_end252:
	.size	_ZN4vllm3moe10topkGatingILi2ELi2ELi4ELi4ELi32Ei6__halfLNS0_11ScoringFuncE1EEEvPKT5_PKbPfiPT4_PiiiibPKf, .Lfunc_end252-_ZN4vllm3moe10topkGatingILi2ELi2ELi4ELi4ELi32Ei6__halfLNS0_11ScoringFuncE1EEEvPKT5_PKbPfiPT4_PiiiibPKf
                                        ; -- End function
	.section	.AMDGPU.csdata,"",@progbits
; Kernel info:
; codeLenInByte = 1248
; NumSgprs: 28
; NumVgprs: 19
; NumAgprs: 0
; TotalNumVgprs: 19
; ScratchSize: 0
; MemoryBound: 1
; FloatMode: 240
; IeeeMode: 1
; LDSByteSize: 0 bytes/workgroup (compile time only)
; SGPRBlocks: 3
; VGPRBlocks: 2
; NumSGPRsForWavesPerEU: 28
; NumVGPRsForWavesPerEU: 19
; AccumOffset: 20
; Occupancy: 8
; WaveLimiterHint : 0
; COMPUTE_PGM_RSRC2:SCRATCH_EN: 0
; COMPUTE_PGM_RSRC2:USER_SGPR: 6
; COMPUTE_PGM_RSRC2:TRAP_HANDLER: 0
; COMPUTE_PGM_RSRC2:TGID_X_EN: 1
; COMPUTE_PGM_RSRC2:TGID_Y_EN: 0
; COMPUTE_PGM_RSRC2:TGID_Z_EN: 0
; COMPUTE_PGM_RSRC2:TIDIG_COMP_CNT: 1
; COMPUTE_PGM_RSRC3_GFX90A:ACCUM_OFFSET: 4
; COMPUTE_PGM_RSRC3_GFX90A:TG_SPLIT: 0
	.section	.text._ZN4vllm3moe10topkGatingILi4ELi4ELi4ELi8ELi64Ei6__halfLNS0_11ScoringFuncE1EEEvPKT5_PKbPfiPT4_PiiiibPKf,"axG",@progbits,_ZN4vllm3moe10topkGatingILi4ELi4ELi4ELi8ELi64Ei6__halfLNS0_11ScoringFuncE1EEEvPKT5_PKbPfiPT4_PiiiibPKf,comdat
	.protected	_ZN4vllm3moe10topkGatingILi4ELi4ELi4ELi8ELi64Ei6__halfLNS0_11ScoringFuncE1EEEvPKT5_PKbPfiPT4_PiiiibPKf ; -- Begin function _ZN4vllm3moe10topkGatingILi4ELi4ELi4ELi8ELi64Ei6__halfLNS0_11ScoringFuncE1EEEvPKT5_PKbPfiPT4_PiiiibPKf
	.globl	_ZN4vllm3moe10topkGatingILi4ELi4ELi4ELi8ELi64Ei6__halfLNS0_11ScoringFuncE1EEEvPKT5_PKbPfiPT4_PiiiibPKf
	.p2align	8
	.type	_ZN4vllm3moe10topkGatingILi4ELi4ELi4ELi8ELi64Ei6__halfLNS0_11ScoringFuncE1EEEvPKT5_PKbPfiPT4_PiiiibPKf,@function
_ZN4vllm3moe10topkGatingILi4ELi4ELi4ELi8ELi64Ei6__halfLNS0_11ScoringFuncE1EEEvPKT5_PKbPfiPT4_PiiiibPKf: ; @_ZN4vllm3moe10topkGatingILi4ELi4ELi4ELi8ELi64Ei6__halfLNS0_11ScoringFuncE1EEEvPKT5_PKbPfiPT4_PiiiibPKf
; %bb.0:
	s_load_dword s16, s[4:5], 0x18
	v_bfe_u32 v1, v0, 10, 10
	s_lshl_b32 s0, s6, 8
	v_lshlrev_b32_e32 v1, 6, v1
	v_and_b32_e32 v0, 0x3ff, v0
	v_add3_u32 v14, v1, v0, s0
	s_waitcnt lgkmcnt(0)
	v_cmp_gt_i32_e32 vcc, s16, v14
	s_and_saveexec_b64 s[0:1], vcc
	s_cbranch_execz .LBB253_20
; %bb.1:
	s_load_dwordx4 s[0:3], s[4:5], 0x0
	s_load_dwordx2 s[12:13], s[4:5], 0x10
	s_mov_b64 s[8:9], -1
	s_mov_b64 s[14:15], -1
	s_waitcnt lgkmcnt(0)
	s_cmp_eq_u64 s[2:3], 0
	s_cbranch_scc1 .LBB253_3
; %bb.2:
	v_ashrrev_i32_e32 v1, 31, v14
	v_mov_b32_e32 v2, s3
	v_add_co_u32_e32 v0, vcc, s2, v14
	v_addc_co_u32_e32 v1, vcc, v2, v1, vcc
	global_load_ubyte v0, v[0:1], off
	s_waitcnt vmcnt(0)
	v_and_b32_e32 v0, 1, v0
	v_cmp_eq_u32_e32 vcc, 1, v0
	s_xor_b64 s[2:3], vcc, -1
	s_orn2_b64 s[14:15], s[2:3], exec
.LBB253_3:
	v_lshlrev_b32_e32 v0, 2, v14
	v_ashrrev_i32_e32 v1, 31, v0
	v_lshlrev_b64 v[0:1], 1, v[0:1]
	v_mov_b32_e32 v2, s1
	v_add_co_u32_e32 v0, vcc, s0, v0
	v_addc_co_u32_e32 v1, vcc, v2, v1, vcc
	global_load_dwordx2 v[0:1], v[0:1], off
	s_load_dwordx2 s[10:11], s[4:5], 0x40
	s_waitcnt lgkmcnt(0)
	s_cmp_eq_u64 s[10:11], 0
	s_waitcnt vmcnt(0)
	v_cvt_f32_f16_e32 v2, v0
	v_cvt_f32_f16_sdwa v0, v0 dst_sel:DWORD dst_unused:UNUSED_PAD src0_sel:WORD_1
	v_cvt_f32_f16_e32 v3, v1
	v_cvt_f32_f16_sdwa v1, v1 dst_sel:DWORD dst_unused:UNUSED_PAD src0_sel:WORD_1
	v_mul_f32_e32 v2, 0xbfb8aa3b, v2
	v_mul_f32_e32 v4, 0xbfb8aa3b, v0
	v_exp_f32_e32 v0, v2
	v_mul_f32_e32 v5, 0xbfb8aa3b, v1
	v_exp_f32_e32 v1, v4
	;; [unrolled: 2-line block ×3, first 2 shown]
	v_exp_f32_e32 v3, v5
	v_pk_add_f32 v[0:1], v[0:1], 1.0 op_sel_hi:[1,0]
	v_div_scale_f32 v5, s[0:1], v1, v1, 1.0
	v_rcp_f32_e32 v13, v5
	v_div_scale_f32 v7, s[0:1], v0, v0, 1.0
	v_pk_add_f32 v[2:3], v[2:3], 1.0 op_sel_hi:[1,0]
	v_rcp_f32_e32 v15, v7
	v_div_scale_f32 v9, s[2:3], v3, v3, 1.0
	v_rcp_f32_e32 v16, v9
	v_fma_f32 v18, -v5, v13, 1.0
	v_div_scale_f32 v6, vcc, 1.0, v1, 1.0
	v_div_scale_f32 v11, s[6:7], v2, v2, 1.0
	v_fmac_f32_e32 v13, v18, v13
	v_rcp_f32_e32 v17, v11
	v_fma_f32 v19, -v7, v15, 1.0
	v_mul_f32_e32 v18, v6, v13
	v_div_scale_f32 v8, s[0:1], 1.0, v0, 1.0
	v_fmac_f32_e32 v15, v19, v15
	v_fma_f32 v22, -v5, v18, v6
	v_fma_f32 v20, -v9, v16, 1.0
	v_mul_f32_e32 v19, v8, v15
	v_fmac_f32_e32 v18, v22, v13
	v_div_scale_f32 v10, s[2:3], 1.0, v3, 1.0
	v_fmac_f32_e32 v16, v20, v16
	v_fma_f32 v23, -v7, v19, v8
	v_fma_f32 v5, -v5, v18, v6
	v_fma_f32 v21, -v11, v17, 1.0
	v_mul_f32_e32 v20, v10, v16
	v_fmac_f32_e32 v19, v23, v15
	v_div_fmas_f32 v5, v5, v13, v18
	v_mov_b32_e32 v4, 0x207
	v_div_scale_f32 v12, s[6:7], 1.0, v2, 1.0
	v_fmac_f32_e32 v17, v21, v17
	v_fma_f32 v24, -v9, v20, v10
	v_fma_f32 v6, -v7, v19, v8
	v_div_fixup_f32 v1, v5, v1, 1.0
	s_mov_b64 vcc, s[0:1]
	v_mul_f32_e32 v21, v12, v17
	v_fmac_f32_e32 v20, v24, v16
	v_div_fmas_f32 v5, v6, v15, v19
	v_cmp_class_f32_e32 vcc, v1, v4
	v_fma_f32 v25, -v11, v21, v12
	v_fma_f32 v7, -v9, v20, v10
	v_div_fixup_f32 v0, v5, v0, 1.0
	v_cndmask_b32_e64 v1, v1, 0, vcc
	s_mov_b64 vcc, s[2:3]
	v_fmac_f32_e32 v21, v25, v17
	v_div_fmas_f32 v5, v7, v16, v20
	v_cmp_class_f32_e32 vcc, v0, v4
	v_fma_f32 v8, -v11, v21, v12
	v_cndmask_b32_e64 v0, v0, 0, vcc
	s_mov_b64 vcc, s[6:7]
	v_div_fixup_f32 v3, v5, v3, 1.0
	v_div_fmas_f32 v5, v8, v17, v21
	v_div_fixup_f32 v2, v5, v2, 1.0
	v_cmp_class_f32_e32 vcc, v3, v4
	v_cndmask_b32_e64 v3, v3, 0, vcc
	v_cmp_class_f32_e32 vcc, v2, v4
	v_cndmask_b32_e64 v2, v2, 0, vcc
	s_cbranch_scc1 .LBB253_10
; %bb.4:
	s_load_dwordx4 s[0:3], s[10:11], 0x0
	s_waitcnt lgkmcnt(0)
	v_pk_add_f32 v[4:5], s[0:1], v[0:1]
	v_pk_add_f32 v[6:7], s[2:3], v[2:3]
	s_cbranch_execnz .LBB253_6
.LBB253_5:
	v_pk_mov_b32 v[6:7], v[2:3], v[2:3] op_sel:[0,1]
	v_pk_mov_b32 v[4:5], v[0:1], v[0:1] op_sel:[0,1]
.LBB253_6:
	s_load_dwordx4 s[8:11], s[4:5], 0x30
	s_waitcnt lgkmcnt(0)
	s_bitcmp1_b32 s11, 0
	s_cselect_b64 vcc, -1, 0
	s_cmp_gt_i32 s8, 0
	s_cselect_b64 s[6:7], -1, 0
	s_cmp_lt_i32 s8, 1
	s_mov_b32 s11, 0
	s_cbranch_scc1 .LBB253_11
; %bb.7:
	s_load_dwordx4 s[20:23], s[4:5], 0x20
	v_mul_lo_u32 v8, v14, s8
	v_ashrrev_i32_e32 v9, 31, v8
	v_lshlrev_b64 v[12:13], 2, v[8:9]
	v_mov_b32_e32 v9, s13
	v_add_co_u32_e64 v8, s[0:1], s12, v12
	v_addc_co_u32_e64 v9, s[0:1], v9, v13, s[0:1]
	s_waitcnt lgkmcnt(0)
	v_mov_b32_e32 v11, s21
	v_add_co_u32_e64 v10, s[0:1], s20, v12
	v_addc_co_u32_e64 v11, s[0:1], v11, v13, s[0:1]
	v_mov_b32_e32 v15, s23
	v_add_co_u32_e64 v12, s[0:1], s22, v12
	v_addc_co_u32_e64 v13, s[0:1], v15, v13, s[0:1]
	v_mov_b32_e32 v15, 0
	v_mov_b32_e32 v16, 0xc61c4000
	;; [unrolled: 1-line block ×3, first 2 shown]
.LBB253_8:                              ; =>This Inner Loop Header: Depth=1
	v_cmp_gt_f32_e64 s[0:1], v5, v4
	v_cndmask_b32_e64 v20, v4, v5, s[0:1]
	v_cndmask_b32_e64 v18, 0, 1, s[0:1]
	v_cndmask_b32_e64 v19, v0, v1, s[0:1]
	v_cmp_gt_f32_e64 s[0:1], v6, v20
	v_cndmask_b32_e64 v20, v20, v6, s[0:1]
	v_cndmask_b32_e64 v18, v18, 2, s[0:1]
	;; [unrolled: 1-line block ×3, first 2 shown]
	v_cmp_gt_f32_e64 s[0:1], v7, v20
	v_cndmask_b32_e64 v18, v18, 3, s[0:1]
	v_cndmask_b32_e64 v19, v19, v3, s[0:1]
	v_cmp_le_i32_e64 s[0:1], s9, v18
	v_cmp_gt_i32_e64 s[2:3], s10, v18
	s_and_b64 s[0:1], s[0:1], s[2:3]
	v_subrev_u32_e32 v20, s9, v18
	s_and_b64 s[0:1], s[14:15], s[0:1]
	global_store_dword v[8:9], v19, off
	v_cndmask_b32_e64 v20, 4, v20, s[0:1]
	v_add_f32_e32 v19, v15, v19
	v_cmp_ne_u32_e64 s[0:1], 0, v18
	v_cndmask_b32_e32 v15, v15, v19, vcc
	v_cndmask_b32_e64 v19, v16, v4, s[0:1]
	v_cmp_ne_u32_e64 s[0:1], 1, v18
	global_store_dword v[10:11], v20, off
	global_store_dword v[12:13], v17, off
	s_add_i32 s11, s11, 1
	v_cndmask_b32_e64 v20, v16, v5, s[0:1]
	v_cmp_ne_u32_e64 s[0:1], 2, v18
	s_cmp_lt_i32 s11, s8
	v_cndmask_b32_e64 v21, v16, v6, s[0:1]
	v_cmp_ne_u32_e64 s[0:1], 3, v18
	v_cndmask_b32_e64 v18, v16, v7, s[0:1]
	s_cselect_b64 s[0:1], -1, 0
	v_cndmask_b32_e64 v7, v7, v18, s[0:1]
	v_cndmask_b32_e64 v6, v6, v21, s[0:1]
	;; [unrolled: 1-line block ×4, first 2 shown]
	v_add_co_u32_e64 v8, s[0:1], 4, v8
	v_addc_co_u32_e64 v9, s[0:1], 0, v9, s[0:1]
	v_add_co_u32_e64 v10, s[0:1], 4, v10
	v_addc_co_u32_e64 v11, s[0:1], 0, v11, s[0:1]
	v_add_co_u32_e64 v12, s[0:1], 4, v12
	v_add_u32_e32 v17, s16, v17
	s_cmp_eq_u32 s8, s11
	v_addc_co_u32_e64 v13, s[0:1], 0, v13, s[0:1]
	s_cbranch_scc0 .LBB253_8
; %bb.9:
	s_and_b64 vcc, exec, vcc
	s_cbranch_vccnz .LBB253_12
	s_branch .LBB253_20
.LBB253_10:
                                        ; implicit-def: $vgpr4_vgpr5_vgpr6_vgpr7
	s_andn2_b64 vcc, exec, s[8:9]
	s_cbranch_vccz .LBB253_5
	s_branch .LBB253_6
.LBB253_11:
	v_mov_b32_e32 v15, 0
	s_and_b64 vcc, exec, vcc
	s_cbranch_vccz .LBB253_20
.LBB253_12:
	s_andn2_b64 vcc, exec, s[6:7]
	s_cbranch_vccnz .LBB253_20
; %bb.13:
	v_cmp_lt_f32_e32 vcc, 0, v15
	s_mov_b32 s2, 0
	v_cndmask_b32_e32 v0, 1.0, v15, vcc
	v_mul_lo_u32 v4, v14, s8
	s_cmp_eq_u32 s8, 1
	s_mov_b64 s[0:1], -1
	s_cbranch_scc1 .LBB253_17
; %bb.14:
	s_and_b32 s2, s8, 0x7ffffffe
	v_mov_b32_e32 v1, v0
	v_mov_b32_e32 v5, s13
	s_mov_b32 s3, s2
	v_mov_b32_e32 v2, v4
.LBB253_15:                             ; =>This Inner Loop Header: Depth=1
	v_ashrrev_i32_e32 v3, 31, v2
	v_lshlrev_b64 v[6:7], 2, v[2:3]
	v_add_co_u32_e32 v6, vcc, s12, v6
	v_addc_co_u32_e32 v7, vcc, v5, v7, vcc
	global_load_dwordx2 v[8:9], v[6:7], off
	s_add_i32 s3, s3, -2
	s_cmp_lg_u32 s3, 0
	v_add_u32_e32 v2, 2, v2
	s_waitcnt vmcnt(0)
	v_div_scale_f32 v3, s[0:1], v1, v1, v9
	v_div_scale_f32 v11, s[0:1], v0, v0, v8
	v_rcp_f32_e32 v12, v3
	v_rcp_f32_e32 v13, v11
	v_div_scale_f32 v10, vcc, v9, v1, v9
	v_fma_f32 v15, -v3, v12, 1.0
	v_fma_f32 v16, -v11, v13, 1.0
	v_fmac_f32_e32 v12, v15, v12
	v_div_scale_f32 v14, s[0:1], v8, v0, v8
	v_fmac_f32_e32 v13, v16, v13
	v_mul_f32_e32 v15, v10, v12
	v_mul_f32_e32 v16, v14, v13
	v_fma_f32 v17, -v3, v15, v10
	v_fma_f32 v18, -v11, v16, v14
	v_fmac_f32_e32 v15, v17, v12
	v_fmac_f32_e32 v16, v18, v13
	v_fma_f32 v3, -v3, v15, v10
	v_fma_f32 v10, -v11, v16, v14
	v_div_fmas_f32 v3, v3, v12, v15
	s_mov_b64 vcc, s[0:1]
	v_div_fixup_f32 v9, v3, v1, v9
	v_div_fmas_f32 v3, v10, v13, v16
	v_div_fixup_f32 v8, v3, v0, v8
	global_store_dwordx2 v[6:7], v[8:9], off
	s_cbranch_scc1 .LBB253_15
; %bb.16:
	s_cmp_lg_u32 s2, s8
	s_cselect_b64 s[0:1], -1, 0
.LBB253_17:
	s_and_b64 vcc, exec, s[0:1]
	s_cbranch_vccz .LBB253_20
; %bb.18:
	v_ashrrev_i32_e32 v1, 31, v4
	v_add_co_u32_e32 v2, vcc, s2, v4
	v_addc_co_u32_e32 v3, vcc, 0, v1, vcc
	v_lshlrev_b64 v[2:3], 2, v[2:3]
	v_mov_b32_e32 v1, s13
	v_add_co_u32_e32 v2, vcc, s12, v2
	s_sub_i32 s0, s8, s2
	v_addc_co_u32_e32 v3, vcc, v1, v3, vcc
.LBB253_19:                             ; =>This Inner Loop Header: Depth=1
	global_load_dword v1, v[2:3], off
	s_add_i32 s0, s0, -1
	s_cmp_lg_u32 s0, 0
	s_waitcnt vmcnt(0)
	v_div_scale_f32 v4, s[2:3], v0, v0, v1
	v_rcp_f32_e32 v5, v4
	v_div_scale_f32 v6, vcc, v1, v0, v1
	v_fma_f32 v7, -v4, v5, 1.0
	v_fmac_f32_e32 v5, v7, v5
	v_mul_f32_e32 v7, v6, v5
	v_fma_f32 v8, -v4, v7, v6
	v_fmac_f32_e32 v7, v8, v5
	v_fma_f32 v4, -v4, v7, v6
	v_div_fmas_f32 v4, v4, v5, v7
	v_div_fixup_f32 v1, v4, v0, v1
	global_store_dword v[2:3], v1, off
	v_add_co_u32_e32 v2, vcc, 4, v2
	v_addc_co_u32_e32 v3, vcc, 0, v3, vcc
	s_cbranch_scc1 .LBB253_19
.LBB253_20:
	s_endpgm
	.section	.rodata,"a",@progbits
	.p2align	6, 0x0
	.amdhsa_kernel _ZN4vllm3moe10topkGatingILi4ELi4ELi4ELi8ELi64Ei6__halfLNS0_11ScoringFuncE1EEEvPKT5_PKbPfiPT4_PiiiibPKf
		.amdhsa_group_segment_fixed_size 0
		.amdhsa_private_segment_fixed_size 0
		.amdhsa_kernarg_size 72
		.amdhsa_user_sgpr_count 6
		.amdhsa_user_sgpr_private_segment_buffer 1
		.amdhsa_user_sgpr_dispatch_ptr 0
		.amdhsa_user_sgpr_queue_ptr 0
		.amdhsa_user_sgpr_kernarg_segment_ptr 1
		.amdhsa_user_sgpr_dispatch_id 0
		.amdhsa_user_sgpr_flat_scratch_init 0
		.amdhsa_user_sgpr_kernarg_preload_length 0
		.amdhsa_user_sgpr_kernarg_preload_offset 0
		.amdhsa_user_sgpr_private_segment_size 0
		.amdhsa_uses_dynamic_stack 0
		.amdhsa_system_sgpr_private_segment_wavefront_offset 0
		.amdhsa_system_sgpr_workgroup_id_x 1
		.amdhsa_system_sgpr_workgroup_id_y 0
		.amdhsa_system_sgpr_workgroup_id_z 0
		.amdhsa_system_sgpr_workgroup_info 0
		.amdhsa_system_vgpr_workitem_id 1
		.amdhsa_next_free_vgpr 26
		.amdhsa_next_free_sgpr 24
		.amdhsa_accum_offset 28
		.amdhsa_reserve_vcc 1
		.amdhsa_reserve_flat_scratch 0
		.amdhsa_float_round_mode_32 0
		.amdhsa_float_round_mode_16_64 0
		.amdhsa_float_denorm_mode_32 3
		.amdhsa_float_denorm_mode_16_64 3
		.amdhsa_dx10_clamp 1
		.amdhsa_ieee_mode 1
		.amdhsa_fp16_overflow 0
		.amdhsa_tg_split 0
		.amdhsa_exception_fp_ieee_invalid_op 0
		.amdhsa_exception_fp_denorm_src 0
		.amdhsa_exception_fp_ieee_div_zero 0
		.amdhsa_exception_fp_ieee_overflow 0
		.amdhsa_exception_fp_ieee_underflow 0
		.amdhsa_exception_fp_ieee_inexact 0
		.amdhsa_exception_int_div_zero 0
	.end_amdhsa_kernel
	.section	.text._ZN4vllm3moe10topkGatingILi4ELi4ELi4ELi8ELi64Ei6__halfLNS0_11ScoringFuncE1EEEvPKT5_PKbPfiPT4_PiiiibPKf,"axG",@progbits,_ZN4vllm3moe10topkGatingILi4ELi4ELi4ELi8ELi64Ei6__halfLNS0_11ScoringFuncE1EEEvPKT5_PKbPfiPT4_PiiiibPKf,comdat
.Lfunc_end253:
	.size	_ZN4vllm3moe10topkGatingILi4ELi4ELi4ELi8ELi64Ei6__halfLNS0_11ScoringFuncE1EEEvPKT5_PKbPfiPT4_PiiiibPKf, .Lfunc_end253-_ZN4vllm3moe10topkGatingILi4ELi4ELi4ELi8ELi64Ei6__halfLNS0_11ScoringFuncE1EEEvPKT5_PKbPfiPT4_PiiiibPKf
                                        ; -- End function
	.section	.AMDGPU.csdata,"",@progbits
; Kernel info:
; codeLenInByte = 1632
; NumSgprs: 28
; NumVgprs: 26
; NumAgprs: 0
; TotalNumVgprs: 26
; ScratchSize: 0
; MemoryBound: 1
; FloatMode: 240
; IeeeMode: 1
; LDSByteSize: 0 bytes/workgroup (compile time only)
; SGPRBlocks: 3
; VGPRBlocks: 3
; NumSGPRsForWavesPerEU: 28
; NumVGPRsForWavesPerEU: 26
; AccumOffset: 28
; Occupancy: 8
; WaveLimiterHint : 0
; COMPUTE_PGM_RSRC2:SCRATCH_EN: 0
; COMPUTE_PGM_RSRC2:USER_SGPR: 6
; COMPUTE_PGM_RSRC2:TRAP_HANDLER: 0
; COMPUTE_PGM_RSRC2:TGID_X_EN: 1
; COMPUTE_PGM_RSRC2:TGID_Y_EN: 0
; COMPUTE_PGM_RSRC2:TGID_Z_EN: 0
; COMPUTE_PGM_RSRC2:TIDIG_COMP_CNT: 1
; COMPUTE_PGM_RSRC3_GFX90A:ACCUM_OFFSET: 6
; COMPUTE_PGM_RSRC3_GFX90A:TG_SPLIT: 0
	.section	.text._ZN4vllm3moe10topkGatingILi4ELi4ELi4ELi8ELi32Ei6__halfLNS0_11ScoringFuncE1EEEvPKT5_PKbPfiPT4_PiiiibPKf,"axG",@progbits,_ZN4vllm3moe10topkGatingILi4ELi4ELi4ELi8ELi32Ei6__halfLNS0_11ScoringFuncE1EEEvPKT5_PKbPfiPT4_PiiiibPKf,comdat
	.protected	_ZN4vllm3moe10topkGatingILi4ELi4ELi4ELi8ELi32Ei6__halfLNS0_11ScoringFuncE1EEEvPKT5_PKbPfiPT4_PiiiibPKf ; -- Begin function _ZN4vllm3moe10topkGatingILi4ELi4ELi4ELi8ELi32Ei6__halfLNS0_11ScoringFuncE1EEEvPKT5_PKbPfiPT4_PiiiibPKf
	.globl	_ZN4vllm3moe10topkGatingILi4ELi4ELi4ELi8ELi32Ei6__halfLNS0_11ScoringFuncE1EEEvPKT5_PKbPfiPT4_PiiiibPKf
	.p2align	8
	.type	_ZN4vllm3moe10topkGatingILi4ELi4ELi4ELi8ELi32Ei6__halfLNS0_11ScoringFuncE1EEEvPKT5_PKbPfiPT4_PiiiibPKf,@function
_ZN4vllm3moe10topkGatingILi4ELi4ELi4ELi8ELi32Ei6__halfLNS0_11ScoringFuncE1EEEvPKT5_PKbPfiPT4_PiiiibPKf: ; @_ZN4vllm3moe10topkGatingILi4ELi4ELi4ELi8ELi32Ei6__halfLNS0_11ScoringFuncE1EEEvPKT5_PKbPfiPT4_PiiiibPKf
; %bb.0:
	s_load_dword s16, s[4:5], 0x18
	v_bfe_u32 v1, v0, 10, 10
	s_lshl_b32 s0, s6, 7
	v_lshlrev_b32_e32 v1, 5, v1
	v_and_b32_e32 v0, 0x3ff, v0
	v_add3_u32 v14, v1, v0, s0
	s_waitcnt lgkmcnt(0)
	v_cmp_gt_i32_e32 vcc, s16, v14
	s_and_saveexec_b64 s[0:1], vcc
	s_cbranch_execz .LBB254_20
; %bb.1:
	s_load_dwordx4 s[0:3], s[4:5], 0x0
	s_load_dwordx2 s[12:13], s[4:5], 0x10
	s_mov_b64 s[8:9], -1
	s_mov_b64 s[14:15], -1
	s_waitcnt lgkmcnt(0)
	s_cmp_eq_u64 s[2:3], 0
	s_cbranch_scc1 .LBB254_3
; %bb.2:
	v_ashrrev_i32_e32 v1, 31, v14
	v_mov_b32_e32 v2, s3
	v_add_co_u32_e32 v0, vcc, s2, v14
	v_addc_co_u32_e32 v1, vcc, v2, v1, vcc
	global_load_ubyte v0, v[0:1], off
	s_waitcnt vmcnt(0)
	v_and_b32_e32 v0, 1, v0
	v_cmp_eq_u32_e32 vcc, 1, v0
	s_xor_b64 s[2:3], vcc, -1
	s_orn2_b64 s[14:15], s[2:3], exec
.LBB254_3:
	v_lshlrev_b32_e32 v0, 2, v14
	v_ashrrev_i32_e32 v1, 31, v0
	v_lshlrev_b64 v[0:1], 1, v[0:1]
	v_mov_b32_e32 v2, s1
	v_add_co_u32_e32 v0, vcc, s0, v0
	v_addc_co_u32_e32 v1, vcc, v2, v1, vcc
	global_load_dwordx2 v[0:1], v[0:1], off
	s_load_dwordx2 s[10:11], s[4:5], 0x40
	s_waitcnt lgkmcnt(0)
	s_cmp_eq_u64 s[10:11], 0
	s_waitcnt vmcnt(0)
	v_cvt_f32_f16_e32 v2, v0
	v_cvt_f32_f16_sdwa v0, v0 dst_sel:DWORD dst_unused:UNUSED_PAD src0_sel:WORD_1
	v_cvt_f32_f16_e32 v3, v1
	v_cvt_f32_f16_sdwa v1, v1 dst_sel:DWORD dst_unused:UNUSED_PAD src0_sel:WORD_1
	v_mul_f32_e32 v2, 0xbfb8aa3b, v2
	v_mul_f32_e32 v4, 0xbfb8aa3b, v0
	v_exp_f32_e32 v0, v2
	v_mul_f32_e32 v5, 0xbfb8aa3b, v1
	v_exp_f32_e32 v1, v4
	;; [unrolled: 2-line block ×3, first 2 shown]
	v_exp_f32_e32 v3, v5
	v_pk_add_f32 v[0:1], v[0:1], 1.0 op_sel_hi:[1,0]
	v_div_scale_f32 v5, s[0:1], v1, v1, 1.0
	v_rcp_f32_e32 v13, v5
	v_div_scale_f32 v7, s[0:1], v0, v0, 1.0
	v_pk_add_f32 v[2:3], v[2:3], 1.0 op_sel_hi:[1,0]
	v_rcp_f32_e32 v15, v7
	v_div_scale_f32 v9, s[2:3], v3, v3, 1.0
	v_rcp_f32_e32 v16, v9
	v_fma_f32 v18, -v5, v13, 1.0
	v_div_scale_f32 v6, vcc, 1.0, v1, 1.0
	v_div_scale_f32 v11, s[6:7], v2, v2, 1.0
	v_fmac_f32_e32 v13, v18, v13
	v_rcp_f32_e32 v17, v11
	v_fma_f32 v19, -v7, v15, 1.0
	v_mul_f32_e32 v18, v6, v13
	v_div_scale_f32 v8, s[0:1], 1.0, v0, 1.0
	v_fmac_f32_e32 v15, v19, v15
	v_fma_f32 v22, -v5, v18, v6
	v_fma_f32 v20, -v9, v16, 1.0
	v_mul_f32_e32 v19, v8, v15
	v_fmac_f32_e32 v18, v22, v13
	v_div_scale_f32 v10, s[2:3], 1.0, v3, 1.0
	v_fmac_f32_e32 v16, v20, v16
	v_fma_f32 v23, -v7, v19, v8
	v_fma_f32 v5, -v5, v18, v6
	v_fma_f32 v21, -v11, v17, 1.0
	v_mul_f32_e32 v20, v10, v16
	v_fmac_f32_e32 v19, v23, v15
	v_div_fmas_f32 v5, v5, v13, v18
	v_mov_b32_e32 v4, 0x207
	v_div_scale_f32 v12, s[6:7], 1.0, v2, 1.0
	v_fmac_f32_e32 v17, v21, v17
	v_fma_f32 v24, -v9, v20, v10
	v_fma_f32 v6, -v7, v19, v8
	v_div_fixup_f32 v1, v5, v1, 1.0
	s_mov_b64 vcc, s[0:1]
	v_mul_f32_e32 v21, v12, v17
	v_fmac_f32_e32 v20, v24, v16
	v_div_fmas_f32 v5, v6, v15, v19
	v_cmp_class_f32_e32 vcc, v1, v4
	v_fma_f32 v25, -v11, v21, v12
	v_fma_f32 v7, -v9, v20, v10
	v_div_fixup_f32 v0, v5, v0, 1.0
	v_cndmask_b32_e64 v1, v1, 0, vcc
	s_mov_b64 vcc, s[2:3]
	v_fmac_f32_e32 v21, v25, v17
	v_div_fmas_f32 v5, v7, v16, v20
	v_cmp_class_f32_e32 vcc, v0, v4
	v_fma_f32 v8, -v11, v21, v12
	v_cndmask_b32_e64 v0, v0, 0, vcc
	s_mov_b64 vcc, s[6:7]
	v_div_fixup_f32 v3, v5, v3, 1.0
	v_div_fmas_f32 v5, v8, v17, v21
	v_div_fixup_f32 v2, v5, v2, 1.0
	v_cmp_class_f32_e32 vcc, v3, v4
	v_cndmask_b32_e64 v3, v3, 0, vcc
	v_cmp_class_f32_e32 vcc, v2, v4
	v_cndmask_b32_e64 v2, v2, 0, vcc
	s_cbranch_scc1 .LBB254_10
; %bb.4:
	s_load_dwordx4 s[0:3], s[10:11], 0x0
	s_waitcnt lgkmcnt(0)
	v_pk_add_f32 v[4:5], s[0:1], v[0:1]
	v_pk_add_f32 v[6:7], s[2:3], v[2:3]
	s_cbranch_execnz .LBB254_6
.LBB254_5:
	v_pk_mov_b32 v[6:7], v[2:3], v[2:3] op_sel:[0,1]
	v_pk_mov_b32 v[4:5], v[0:1], v[0:1] op_sel:[0,1]
.LBB254_6:
	s_load_dwordx4 s[8:11], s[4:5], 0x30
	s_waitcnt lgkmcnt(0)
	s_bitcmp1_b32 s11, 0
	s_cselect_b64 vcc, -1, 0
	s_cmp_gt_i32 s8, 0
	s_cselect_b64 s[6:7], -1, 0
	s_cmp_lt_i32 s8, 1
	s_mov_b32 s11, 0
	s_cbranch_scc1 .LBB254_11
; %bb.7:
	s_load_dwordx4 s[20:23], s[4:5], 0x20
	v_mul_lo_u32 v8, v14, s8
	v_ashrrev_i32_e32 v9, 31, v8
	v_lshlrev_b64 v[12:13], 2, v[8:9]
	v_mov_b32_e32 v9, s13
	v_add_co_u32_e64 v8, s[0:1], s12, v12
	v_addc_co_u32_e64 v9, s[0:1], v9, v13, s[0:1]
	s_waitcnt lgkmcnt(0)
	v_mov_b32_e32 v11, s21
	v_add_co_u32_e64 v10, s[0:1], s20, v12
	v_addc_co_u32_e64 v11, s[0:1], v11, v13, s[0:1]
	v_mov_b32_e32 v15, s23
	v_add_co_u32_e64 v12, s[0:1], s22, v12
	v_addc_co_u32_e64 v13, s[0:1], v15, v13, s[0:1]
	v_mov_b32_e32 v15, 0
	v_mov_b32_e32 v16, 0xc61c4000
	v_mov_b32_e32 v17, v14
.LBB254_8:                              ; =>This Inner Loop Header: Depth=1
	v_cmp_gt_f32_e64 s[0:1], v5, v4
	v_cndmask_b32_e64 v20, v4, v5, s[0:1]
	v_cndmask_b32_e64 v18, 0, 1, s[0:1]
	;; [unrolled: 1-line block ×3, first 2 shown]
	v_cmp_gt_f32_e64 s[0:1], v6, v20
	v_cndmask_b32_e64 v20, v20, v6, s[0:1]
	v_cndmask_b32_e64 v18, v18, 2, s[0:1]
	;; [unrolled: 1-line block ×3, first 2 shown]
	v_cmp_gt_f32_e64 s[0:1], v7, v20
	v_cndmask_b32_e64 v18, v18, 3, s[0:1]
	v_cndmask_b32_e64 v19, v19, v3, s[0:1]
	v_cmp_le_i32_e64 s[0:1], s9, v18
	v_cmp_gt_i32_e64 s[2:3], s10, v18
	s_and_b64 s[0:1], s[0:1], s[2:3]
	v_subrev_u32_e32 v20, s9, v18
	s_and_b64 s[0:1], s[14:15], s[0:1]
	global_store_dword v[8:9], v19, off
	v_cndmask_b32_e64 v20, 4, v20, s[0:1]
	v_add_f32_e32 v19, v15, v19
	v_cmp_ne_u32_e64 s[0:1], 0, v18
	v_cndmask_b32_e32 v15, v15, v19, vcc
	v_cndmask_b32_e64 v19, v16, v4, s[0:1]
	v_cmp_ne_u32_e64 s[0:1], 1, v18
	global_store_dword v[10:11], v20, off
	global_store_dword v[12:13], v17, off
	s_add_i32 s11, s11, 1
	v_cndmask_b32_e64 v20, v16, v5, s[0:1]
	v_cmp_ne_u32_e64 s[0:1], 2, v18
	s_cmp_lt_i32 s11, s8
	v_cndmask_b32_e64 v21, v16, v6, s[0:1]
	v_cmp_ne_u32_e64 s[0:1], 3, v18
	v_cndmask_b32_e64 v18, v16, v7, s[0:1]
	s_cselect_b64 s[0:1], -1, 0
	v_cndmask_b32_e64 v7, v7, v18, s[0:1]
	v_cndmask_b32_e64 v6, v6, v21, s[0:1]
	;; [unrolled: 1-line block ×4, first 2 shown]
	v_add_co_u32_e64 v8, s[0:1], 4, v8
	v_addc_co_u32_e64 v9, s[0:1], 0, v9, s[0:1]
	v_add_co_u32_e64 v10, s[0:1], 4, v10
	v_addc_co_u32_e64 v11, s[0:1], 0, v11, s[0:1]
	v_add_co_u32_e64 v12, s[0:1], 4, v12
	v_add_u32_e32 v17, s16, v17
	s_cmp_eq_u32 s8, s11
	v_addc_co_u32_e64 v13, s[0:1], 0, v13, s[0:1]
	s_cbranch_scc0 .LBB254_8
; %bb.9:
	s_and_b64 vcc, exec, vcc
	s_cbranch_vccnz .LBB254_12
	s_branch .LBB254_20
.LBB254_10:
                                        ; implicit-def: $vgpr4_vgpr5_vgpr6_vgpr7
	s_andn2_b64 vcc, exec, s[8:9]
	s_cbranch_vccz .LBB254_5
	s_branch .LBB254_6
.LBB254_11:
	v_mov_b32_e32 v15, 0
	s_and_b64 vcc, exec, vcc
	s_cbranch_vccz .LBB254_20
.LBB254_12:
	s_andn2_b64 vcc, exec, s[6:7]
	s_cbranch_vccnz .LBB254_20
; %bb.13:
	v_cmp_lt_f32_e32 vcc, 0, v15
	s_mov_b32 s2, 0
	v_cndmask_b32_e32 v0, 1.0, v15, vcc
	v_mul_lo_u32 v4, v14, s8
	s_cmp_eq_u32 s8, 1
	s_mov_b64 s[0:1], -1
	s_cbranch_scc1 .LBB254_17
; %bb.14:
	s_and_b32 s2, s8, 0x7ffffffe
	v_mov_b32_e32 v1, v0
	v_mov_b32_e32 v5, s13
	s_mov_b32 s3, s2
	v_mov_b32_e32 v2, v4
.LBB254_15:                             ; =>This Inner Loop Header: Depth=1
	v_ashrrev_i32_e32 v3, 31, v2
	v_lshlrev_b64 v[6:7], 2, v[2:3]
	v_add_co_u32_e32 v6, vcc, s12, v6
	v_addc_co_u32_e32 v7, vcc, v5, v7, vcc
	global_load_dwordx2 v[8:9], v[6:7], off
	s_add_i32 s3, s3, -2
	s_cmp_lg_u32 s3, 0
	v_add_u32_e32 v2, 2, v2
	s_waitcnt vmcnt(0)
	v_div_scale_f32 v3, s[0:1], v1, v1, v9
	v_div_scale_f32 v11, s[0:1], v0, v0, v8
	v_rcp_f32_e32 v12, v3
	v_rcp_f32_e32 v13, v11
	v_div_scale_f32 v10, vcc, v9, v1, v9
	v_fma_f32 v15, -v3, v12, 1.0
	v_fma_f32 v16, -v11, v13, 1.0
	v_fmac_f32_e32 v12, v15, v12
	v_div_scale_f32 v14, s[0:1], v8, v0, v8
	v_fmac_f32_e32 v13, v16, v13
	v_mul_f32_e32 v15, v10, v12
	v_mul_f32_e32 v16, v14, v13
	v_fma_f32 v17, -v3, v15, v10
	v_fma_f32 v18, -v11, v16, v14
	v_fmac_f32_e32 v15, v17, v12
	v_fmac_f32_e32 v16, v18, v13
	v_fma_f32 v3, -v3, v15, v10
	v_fma_f32 v10, -v11, v16, v14
	v_div_fmas_f32 v3, v3, v12, v15
	s_mov_b64 vcc, s[0:1]
	v_div_fixup_f32 v9, v3, v1, v9
	v_div_fmas_f32 v3, v10, v13, v16
	v_div_fixup_f32 v8, v3, v0, v8
	global_store_dwordx2 v[6:7], v[8:9], off
	s_cbranch_scc1 .LBB254_15
; %bb.16:
	s_cmp_lg_u32 s2, s8
	s_cselect_b64 s[0:1], -1, 0
.LBB254_17:
	s_and_b64 vcc, exec, s[0:1]
	s_cbranch_vccz .LBB254_20
; %bb.18:
	v_ashrrev_i32_e32 v1, 31, v4
	v_add_co_u32_e32 v2, vcc, s2, v4
	v_addc_co_u32_e32 v3, vcc, 0, v1, vcc
	v_lshlrev_b64 v[2:3], 2, v[2:3]
	v_mov_b32_e32 v1, s13
	v_add_co_u32_e32 v2, vcc, s12, v2
	s_sub_i32 s0, s8, s2
	v_addc_co_u32_e32 v3, vcc, v1, v3, vcc
.LBB254_19:                             ; =>This Inner Loop Header: Depth=1
	global_load_dword v1, v[2:3], off
	s_add_i32 s0, s0, -1
	s_cmp_lg_u32 s0, 0
	s_waitcnt vmcnt(0)
	v_div_scale_f32 v4, s[2:3], v0, v0, v1
	v_rcp_f32_e32 v5, v4
	v_div_scale_f32 v6, vcc, v1, v0, v1
	v_fma_f32 v7, -v4, v5, 1.0
	v_fmac_f32_e32 v5, v7, v5
	v_mul_f32_e32 v7, v6, v5
	v_fma_f32 v8, -v4, v7, v6
	v_fmac_f32_e32 v7, v8, v5
	v_fma_f32 v4, -v4, v7, v6
	v_div_fmas_f32 v4, v4, v5, v7
	v_div_fixup_f32 v1, v4, v0, v1
	global_store_dword v[2:3], v1, off
	v_add_co_u32_e32 v2, vcc, 4, v2
	v_addc_co_u32_e32 v3, vcc, 0, v3, vcc
	s_cbranch_scc1 .LBB254_19
.LBB254_20:
	s_endpgm
	.section	.rodata,"a",@progbits
	.p2align	6, 0x0
	.amdhsa_kernel _ZN4vllm3moe10topkGatingILi4ELi4ELi4ELi8ELi32Ei6__halfLNS0_11ScoringFuncE1EEEvPKT5_PKbPfiPT4_PiiiibPKf
		.amdhsa_group_segment_fixed_size 0
		.amdhsa_private_segment_fixed_size 0
		.amdhsa_kernarg_size 72
		.amdhsa_user_sgpr_count 6
		.amdhsa_user_sgpr_private_segment_buffer 1
		.amdhsa_user_sgpr_dispatch_ptr 0
		.amdhsa_user_sgpr_queue_ptr 0
		.amdhsa_user_sgpr_kernarg_segment_ptr 1
		.amdhsa_user_sgpr_dispatch_id 0
		.amdhsa_user_sgpr_flat_scratch_init 0
		.amdhsa_user_sgpr_kernarg_preload_length 0
		.amdhsa_user_sgpr_kernarg_preload_offset 0
		.amdhsa_user_sgpr_private_segment_size 0
		.amdhsa_uses_dynamic_stack 0
		.amdhsa_system_sgpr_private_segment_wavefront_offset 0
		.amdhsa_system_sgpr_workgroup_id_x 1
		.amdhsa_system_sgpr_workgroup_id_y 0
		.amdhsa_system_sgpr_workgroup_id_z 0
		.amdhsa_system_sgpr_workgroup_info 0
		.amdhsa_system_vgpr_workitem_id 1
		.amdhsa_next_free_vgpr 26
		.amdhsa_next_free_sgpr 24
		.amdhsa_accum_offset 28
		.amdhsa_reserve_vcc 1
		.amdhsa_reserve_flat_scratch 0
		.amdhsa_float_round_mode_32 0
		.amdhsa_float_round_mode_16_64 0
		.amdhsa_float_denorm_mode_32 3
		.amdhsa_float_denorm_mode_16_64 3
		.amdhsa_dx10_clamp 1
		.amdhsa_ieee_mode 1
		.amdhsa_fp16_overflow 0
		.amdhsa_tg_split 0
		.amdhsa_exception_fp_ieee_invalid_op 0
		.amdhsa_exception_fp_denorm_src 0
		.amdhsa_exception_fp_ieee_div_zero 0
		.amdhsa_exception_fp_ieee_overflow 0
		.amdhsa_exception_fp_ieee_underflow 0
		.amdhsa_exception_fp_ieee_inexact 0
		.amdhsa_exception_int_div_zero 0
	.end_amdhsa_kernel
	.section	.text._ZN4vllm3moe10topkGatingILi4ELi4ELi4ELi8ELi32Ei6__halfLNS0_11ScoringFuncE1EEEvPKT5_PKbPfiPT4_PiiiibPKf,"axG",@progbits,_ZN4vllm3moe10topkGatingILi4ELi4ELi4ELi8ELi32Ei6__halfLNS0_11ScoringFuncE1EEEvPKT5_PKbPfiPT4_PiiiibPKf,comdat
.Lfunc_end254:
	.size	_ZN4vllm3moe10topkGatingILi4ELi4ELi4ELi8ELi32Ei6__halfLNS0_11ScoringFuncE1EEEvPKT5_PKbPfiPT4_PiiiibPKf, .Lfunc_end254-_ZN4vllm3moe10topkGatingILi4ELi4ELi4ELi8ELi32Ei6__halfLNS0_11ScoringFuncE1EEEvPKT5_PKbPfiPT4_PiiiibPKf
                                        ; -- End function
	.section	.AMDGPU.csdata,"",@progbits
; Kernel info:
; codeLenInByte = 1632
; NumSgprs: 28
; NumVgprs: 26
; NumAgprs: 0
; TotalNumVgprs: 26
; ScratchSize: 0
; MemoryBound: 1
; FloatMode: 240
; IeeeMode: 1
; LDSByteSize: 0 bytes/workgroup (compile time only)
; SGPRBlocks: 3
; VGPRBlocks: 3
; NumSGPRsForWavesPerEU: 28
; NumVGPRsForWavesPerEU: 26
; AccumOffset: 28
; Occupancy: 8
; WaveLimiterHint : 0
; COMPUTE_PGM_RSRC2:SCRATCH_EN: 0
; COMPUTE_PGM_RSRC2:USER_SGPR: 6
; COMPUTE_PGM_RSRC2:TRAP_HANDLER: 0
; COMPUTE_PGM_RSRC2:TGID_X_EN: 1
; COMPUTE_PGM_RSRC2:TGID_Y_EN: 0
; COMPUTE_PGM_RSRC2:TGID_Z_EN: 0
; COMPUTE_PGM_RSRC2:TIDIG_COMP_CNT: 1
; COMPUTE_PGM_RSRC3_GFX90A:ACCUM_OFFSET: 6
; COMPUTE_PGM_RSRC3_GFX90A:TG_SPLIT: 0
	.section	.text._ZN4vllm3moe10topkGatingILi8ELi8ELi4ELi16ELi64Ei6__halfLNS0_11ScoringFuncE1EEEvPKT5_PKbPfiPT4_PiiiibPKf,"axG",@progbits,_ZN4vllm3moe10topkGatingILi8ELi8ELi4ELi16ELi64Ei6__halfLNS0_11ScoringFuncE1EEEvPKT5_PKbPfiPT4_PiiiibPKf,comdat
	.protected	_ZN4vllm3moe10topkGatingILi8ELi8ELi4ELi16ELi64Ei6__halfLNS0_11ScoringFuncE1EEEvPKT5_PKbPfiPT4_PiiiibPKf ; -- Begin function _ZN4vllm3moe10topkGatingILi8ELi8ELi4ELi16ELi64Ei6__halfLNS0_11ScoringFuncE1EEEvPKT5_PKbPfiPT4_PiiiibPKf
	.globl	_ZN4vllm3moe10topkGatingILi8ELi8ELi4ELi16ELi64Ei6__halfLNS0_11ScoringFuncE1EEEvPKT5_PKbPfiPT4_PiiiibPKf
	.p2align	8
	.type	_ZN4vllm3moe10topkGatingILi8ELi8ELi4ELi16ELi64Ei6__halfLNS0_11ScoringFuncE1EEEvPKT5_PKbPfiPT4_PiiiibPKf,@function
_ZN4vllm3moe10topkGatingILi8ELi8ELi4ELi16ELi64Ei6__halfLNS0_11ScoringFuncE1EEEvPKT5_PKbPfiPT4_PiiiibPKf: ; @_ZN4vllm3moe10topkGatingILi8ELi8ELi4ELi16ELi64Ei6__halfLNS0_11ScoringFuncE1EEEvPKT5_PKbPfiPT4_PiiiibPKf
; %bb.0:
	s_load_dword s18, s[4:5], 0x18
	v_bfe_u32 v1, v0, 10, 10
	s_lshl_b32 s0, s6, 8
	v_lshlrev_b32_e32 v1, 6, v1
	v_and_b32_e32 v0, 0x3ff, v0
	v_add3_u32 v16, v1, v0, s0
	s_waitcnt lgkmcnt(0)
	v_cmp_gt_i32_e32 vcc, s18, v16
	s_and_saveexec_b64 s[0:1], vcc
	s_cbranch_execz .LBB255_20
; %bb.1:
	s_load_dwordx4 s[0:3], s[4:5], 0x0
	s_load_dwordx2 s[12:13], s[4:5], 0x10
	s_mov_b64 s[10:11], -1
	s_mov_b64 s[14:15], -1
	s_waitcnt lgkmcnt(0)
	s_cmp_eq_u64 s[2:3], 0
	s_cbranch_scc1 .LBB255_3
; %bb.2:
	v_ashrrev_i32_e32 v1, 31, v16
	v_mov_b32_e32 v2, s3
	v_add_co_u32_e32 v0, vcc, s2, v16
	v_addc_co_u32_e32 v1, vcc, v2, v1, vcc
	global_load_ubyte v0, v[0:1], off
	s_waitcnt vmcnt(0)
	v_and_b32_e32 v0, 1, v0
	v_cmp_eq_u32_e32 vcc, 1, v0
	s_xor_b64 s[2:3], vcc, -1
	s_orn2_b64 s[14:15], s[2:3], exec
.LBB255_3:
	v_lshlrev_b32_e32 v0, 3, v16
	v_ashrrev_i32_e32 v1, 31, v0
	v_lshlrev_b64 v[0:1], 1, v[0:1]
	v_mov_b32_e32 v2, s1
	v_add_co_u32_e32 v0, vcc, s0, v0
	v_addc_co_u32_e32 v1, vcc, v2, v1, vcc
	global_load_dwordx4 v[0:3], v[0:1], off
	v_mov_b32_e32 v8, 0x207
	s_load_dwordx2 s[16:17], s[4:5], 0x40
	s_waitcnt lgkmcnt(0)
	s_cmp_eq_u64 s[16:17], 0
	s_waitcnt vmcnt(0)
	v_cvt_f32_f16_e32 v4, v0
	v_cvt_f32_f16_sdwa v0, v0 dst_sel:DWORD dst_unused:UNUSED_PAD src0_sel:WORD_1
	v_cvt_f32_f16_e32 v5, v1
	v_cvt_f32_f16_sdwa v1, v1 dst_sel:DWORD dst_unused:UNUSED_PAD src0_sel:WORD_1
	v_mul_f32_e32 v4, 0xbfb8aa3b, v4
	v_mul_f32_e32 v9, 0xbfb8aa3b, v0
	v_cvt_f32_f16_e32 v6, v2
	v_cvt_f32_f16_sdwa v2, v2 dst_sel:DWORD dst_unused:UNUSED_PAD src0_sel:WORD_1
	v_cvt_f32_f16_e32 v7, v3
	v_cvt_f32_f16_sdwa v3, v3 dst_sel:DWORD dst_unused:UNUSED_PAD src0_sel:WORD_1
	v_mul_f32_e32 v10, 0xbfb8aa3b, v1
	v_exp_f32_e32 v0, v4
	v_exp_f32_e32 v1, v9
	v_mul_f32_e32 v5, 0xbfb8aa3b, v5
	v_mul_f32_e32 v11, 0xbfb8aa3b, v2
	;; [unrolled: 1-line block ×3, first 2 shown]
	v_exp_f32_e32 v2, v5
	v_exp_f32_e32 v3, v10
	v_pk_add_f32 v[0:1], v[0:1], 1.0 op_sel_hi:[1,0]
	v_div_scale_f32 v9, s[0:1], v1, v1, 1.0
	v_rcp_f32_e32 v20, v9
	v_exp_f32_e32 v5, v11
	v_div_scale_f32 v11, s[0:1], v0, v0, 1.0
	v_pk_add_f32 v[2:3], v[2:3], 1.0 op_sel_hi:[1,0]
	v_rcp_f32_e32 v21, v11
	v_mul_f32_e32 v6, 0xbfb8aa3b, v6
	v_div_scale_f32 v13, s[2:3], v3, v3, 1.0
	v_exp_f32_e32 v4, v6
	v_rcp_f32_e32 v22, v13
	v_fma_f32 v25, -v9, v20, 1.0
	v_div_scale_f32 v10, vcc, 1.0, v1, 1.0
	v_div_scale_f32 v15, s[6:7], v2, v2, 1.0
	v_fmac_f32_e32 v20, v25, v20
	v_mul_f32_e32 v7, 0xbfb8aa3b, v7
	v_rcp_f32_e32 v23, v15
	v_fma_f32 v26, -v11, v21, 1.0
	v_mul_f32_e32 v25, v10, v20
	v_exp_f32_e32 v6, v7
	v_exp_f32_e32 v7, v12
	v_div_scale_f32 v12, s[0:1], 1.0, v0, 1.0
	v_fmac_f32_e32 v21, v26, v21
	v_fma_f32 v30, -v9, v25, v10
	v_pk_add_f32 v[4:5], v[4:5], 1.0 op_sel_hi:[1,0]
	v_fma_f32 v27, -v13, v22, 1.0
	v_mul_f32_e32 v26, v12, v21
	v_fmac_f32_e32 v25, v30, v20
	v_div_scale_f32 v14, s[2:3], 1.0, v3, 1.0
	v_div_scale_f32 v18, s[8:9], v5, v5, 1.0
	v_fmac_f32_e32 v22, v27, v22
	v_fma_f32 v31, -v11, v26, v12
	v_fma_f32 v9, -v9, v25, v10
	v_rcp_f32_e32 v24, v18
	v_fma_f32 v28, -v15, v23, 1.0
	v_mul_f32_e32 v27, v14, v22
	v_fmac_f32_e32 v26, v31, v21
	v_div_fmas_f32 v9, v9, v20, v25
	v_div_scale_f32 v17, s[6:7], 1.0, v2, 1.0
	v_fmac_f32_e32 v23, v28, v23
	v_fma_f32 v32, -v13, v27, v14
	v_fma_f32 v10, -v11, v26, v12
	v_div_fixup_f32 v1, v9, v1, 1.0
	s_mov_b64 vcc, s[0:1]
	v_mul_f32_e32 v28, v17, v23
	v_fmac_f32_e32 v27, v32, v22
	v_div_fmas_f32 v9, v10, v21, v26
	v_cmp_class_f32_e32 vcc, v1, v8
	v_fma_f32 v33, -v15, v28, v17
	v_fma_f32 v11, -v13, v27, v14
	v_div_fixup_f32 v0, v9, v0, 1.0
	v_cndmask_b32_e64 v1, v1, 0, vcc
	s_mov_b64 vcc, s[2:3]
	v_fma_f32 v29, -v18, v24, 1.0
	v_fmac_f32_e32 v28, v33, v23
	v_div_fmas_f32 v9, v11, v22, v27
	v_cmp_class_f32_e32 vcc, v0, v8
	v_div_scale_f32 v19, s[8:9], 1.0, v5, 1.0
	v_fmac_f32_e32 v24, v29, v24
	v_fma_f32 v12, -v15, v28, v17
	v_cndmask_b32_e64 v0, v0, 0, vcc
	s_mov_b64 vcc, s[6:7]
	v_mul_f32_e32 v29, v19, v24
	v_div_fixup_f32 v3, v9, v3, 1.0
	v_div_fmas_f32 v9, v12, v23, v28
	v_div_scale_f32 v10, s[0:1], v4, v4, 1.0
	v_fma_f32 v34, -v18, v29, v19
	v_div_fixup_f32 v2, v9, v2, 1.0
	v_cmp_class_f32_e32 vcc, v3, v8
	v_rcp_f32_e32 v11, v10
	v_cndmask_b32_e64 v3, v3, 0, vcc
	v_cmp_class_f32_e32 vcc, v2, v8
	v_fmac_f32_e32 v29, v34, v24
	v_cndmask_b32_e64 v2, v2, 0, vcc
	v_fma_f32 v9, -v18, v29, v19
	s_mov_b64 vcc, s[8:9]
	v_div_fmas_f32 v9, v9, v24, v29
	v_div_fixup_f32 v5, v9, v5, 1.0
	v_fma_f32 v9, -v10, v11, 1.0
	v_fmac_f32_e32 v11, v9, v11
	v_div_scale_f32 v9, vcc, 1.0, v4, 1.0
	v_mul_f32_e32 v12, v9, v11
	v_fma_f32 v13, -v10, v12, v9
	v_fmac_f32_e32 v12, v13, v11
	v_fma_f32 v9, -v10, v12, v9
	v_div_fmas_f32 v9, v9, v11, v12
	v_pk_add_f32 v[6:7], v[6:7], 1.0 op_sel_hi:[1,0]
	v_div_fixup_f32 v4, v9, v4, 1.0
	v_div_scale_f32 v9, s[0:1], v7, v7, 1.0
	v_rcp_f32_e32 v10, v9
	v_cmp_class_f32_e32 vcc, v5, v8
	v_cndmask_b32_e64 v5, v5, 0, vcc
	v_cmp_class_f32_e32 vcc, v4, v8
	v_fma_f32 v11, -v9, v10, 1.0
	v_cndmask_b32_e64 v4, v4, 0, vcc
	v_fmac_f32_e32 v10, v11, v10
	v_div_scale_f32 v11, vcc, 1.0, v7, 1.0
	v_mul_f32_e32 v12, v11, v10
	v_fma_f32 v13, -v9, v12, v11
	v_fmac_f32_e32 v12, v13, v10
	v_fma_f32 v9, -v9, v12, v11
	v_div_scale_f32 v11, s[0:1], v6, v6, 1.0
	v_rcp_f32_e32 v13, v11
	v_div_fmas_f32 v9, v9, v10, v12
	v_div_fixup_f32 v7, v9, v7, 1.0
	v_fma_f32 v9, -v11, v13, 1.0
	v_fmac_f32_e32 v13, v9, v13
	v_div_scale_f32 v9, vcc, 1.0, v6, 1.0
	v_mul_f32_e32 v10, v9, v13
	v_fma_f32 v12, -v11, v10, v9
	v_fmac_f32_e32 v10, v12, v13
	v_fma_f32 v9, -v11, v10, v9
	v_div_fmas_f32 v9, v9, v13, v10
	v_div_fixup_f32 v6, v9, v6, 1.0
	v_cmp_class_f32_e32 vcc, v7, v8
	v_cndmask_b32_e64 v7, v7, 0, vcc
	v_cmp_class_f32_e32 vcc, v6, v8
	v_cndmask_b32_e64 v6, v6, 0, vcc
	s_cbranch_scc1 .LBB255_10
; %bb.4:
	s_load_dwordx8 s[20:27], s[16:17], 0x0
	s_waitcnt lgkmcnt(0)
	v_pk_add_f32 v[8:9], s[20:21], v[0:1]
	v_pk_add_f32 v[10:11], s[22:23], v[2:3]
	;; [unrolled: 1-line block ×4, first 2 shown]
	s_cbranch_execnz .LBB255_6
.LBB255_5:
	v_pk_mov_b32 v[14:15], v[6:7], v[6:7] op_sel:[0,1]
	v_pk_mov_b32 v[12:13], v[4:5], v[4:5] op_sel:[0,1]
	v_pk_mov_b32 v[10:11], v[2:3], v[2:3] op_sel:[0,1]
	v_pk_mov_b32 v[8:9], v[0:1], v[0:1] op_sel:[0,1]
.LBB255_6:
	s_load_dwordx4 s[8:11], s[4:5], 0x30
	s_waitcnt lgkmcnt(0)
	s_bitcmp1_b32 s11, 0
	s_cselect_b64 vcc, -1, 0
	s_cmp_gt_i32 s8, 0
	s_cselect_b64 s[16:17], -1, 0
	s_cmp_lt_i32 s8, 1
	s_mov_b32 s11, 0
	s_cbranch_scc1 .LBB255_11
; %bb.7:
	s_load_dwordx4 s[4:7], s[4:5], 0x20
	v_mul_lo_u32 v18, v16, s8
	v_mov_b32_e32 v17, 0
	v_mov_b32_e32 v19, s13
	;; [unrolled: 1-line block ×3, first 2 shown]
	s_waitcnt lgkmcnt(0)
	v_mov_b32_e32 v20, s5
	v_mov_b32_e32 v21, s7
	;; [unrolled: 1-line block ×3, first 2 shown]
.LBB255_8:                              ; =>This Inner Loop Header: Depth=1
	v_cmp_gt_f32_e64 s[0:1], v9, v8
	v_cndmask_b32_e64 v26, v8, v9, s[0:1]
	v_cndmask_b32_e64 v24, 0, 1, s[0:1]
	v_cndmask_b32_e64 v25, v0, v1, s[0:1]
	v_cmp_gt_f32_e64 s[0:1], v10, v26
	v_cndmask_b32_e64 v26, v26, v10, s[0:1]
	v_cndmask_b32_e64 v24, v24, 2, s[0:1]
	v_cndmask_b32_e64 v25, v25, v2, s[0:1]
	;; [unrolled: 4-line block ×6, first 2 shown]
	v_cmp_gt_f32_e64 s[0:1], v15, v26
	v_cndmask_b32_e64 v28, v24, 7, s[0:1]
	v_add_u32_e32 v24, s11, v18
	v_cndmask_b32_e64 v29, v25, v7, s[0:1]
	v_ashrrev_i32_e32 v25, 31, v24
	v_cmp_le_i32_e64 s[0:1], s9, v28
	v_cmp_gt_i32_e64 s[2:3], s10, v28
	v_lshlrev_b64 v[24:25], 2, v[24:25]
	s_and_b64 s[2:3], s[0:1], s[2:3]
	v_add_co_u32_e64 v26, s[0:1], s12, v24
	v_addc_co_u32_e64 v27, s[0:1], v19, v25, s[0:1]
	global_store_dword v[26:27], v29, off
	v_subrev_u32_e32 v26, s9, v28
	s_and_b64 s[0:1], s[14:15], s[2:3]
	v_cndmask_b32_e64 v30, 8, v26, s[0:1]
	v_add_co_u32_e64 v26, s[0:1], s4, v24
	v_addc_co_u32_e64 v27, s[0:1], v20, v25, s[0:1]
	v_add_co_u32_e64 v24, s[0:1], s6, v24
	v_addc_co_u32_e64 v25, s[0:1], v21, v25, s[0:1]
	global_store_dword v[26:27], v30, off
	global_store_dword v[24:25], v23, off
	v_add_f32_e32 v24, v17, v29
	v_cmp_ne_u32_e64 s[0:1], 0, v28
	v_cndmask_b32_e32 v17, v17, v24, vcc
	v_cndmask_b32_e64 v24, v22, v8, s[0:1]
	v_cmp_ne_u32_e64 s[0:1], 1, v28
	v_cndmask_b32_e64 v25, v22, v9, s[0:1]
	v_cmp_ne_u32_e64 s[0:1], 2, v28
	;; [unrolled: 2-line block ×5, first 2 shown]
	s_add_i32 s11, s11, 1
	v_cndmask_b32_e64 v30, v22, v13, s[0:1]
	v_cmp_ne_u32_e64 s[0:1], 6, v28
	s_cmp_lt_i32 s11, s8
	v_cndmask_b32_e64 v31, v22, v14, s[0:1]
	v_cmp_ne_u32_e64 s[0:1], 7, v28
	v_cndmask_b32_e64 v28, v22, v15, s[0:1]
	s_cselect_b64 s[0:1], -1, 0
	v_cndmask_b32_e64 v15, v15, v28, s[0:1]
	v_cndmask_b32_e64 v14, v14, v31, s[0:1]
	;; [unrolled: 1-line block ×8, first 2 shown]
	s_cmp_eq_u32 s8, s11
	v_add_u32_e32 v23, s18, v23
	s_cbranch_scc0 .LBB255_8
; %bb.9:
	s_and_b64 vcc, exec, vcc
	s_cbranch_vccnz .LBB255_12
	s_branch .LBB255_20
.LBB255_10:
                                        ; implicit-def: $vgpr8_vgpr9_vgpr10_vgpr11_vgpr12_vgpr13_vgpr14_vgpr15
	s_andn2_b64 vcc, exec, s[10:11]
	s_cbranch_vccz .LBB255_5
	s_branch .LBB255_6
.LBB255_11:
	v_mov_b32_e32 v17, 0
	s_and_b64 vcc, exec, vcc
	s_cbranch_vccz .LBB255_20
.LBB255_12:
	s_andn2_b64 vcc, exec, s[16:17]
	s_cbranch_vccnz .LBB255_20
; %bb.13:
	v_cmp_lt_f32_e32 vcc, 0, v17
	s_mov_b32 s2, 0
	v_cndmask_b32_e32 v0, 1.0, v17, vcc
	v_mul_lo_u32 v4, v16, s8
	s_cmp_eq_u32 s8, 1
	s_mov_b64 s[0:1], -1
	s_cbranch_scc1 .LBB255_17
; %bb.14:
	s_and_b32 s2, s8, 0x7ffffffe
	v_mov_b32_e32 v1, v0
	v_mov_b32_e32 v5, s13
	s_mov_b32 s3, s2
	v_mov_b32_e32 v2, v4
.LBB255_15:                             ; =>This Inner Loop Header: Depth=1
	v_ashrrev_i32_e32 v3, 31, v2
	v_lshlrev_b64 v[6:7], 2, v[2:3]
	v_add_co_u32_e32 v6, vcc, s12, v6
	v_addc_co_u32_e32 v7, vcc, v5, v7, vcc
	global_load_dwordx2 v[8:9], v[6:7], off
	s_add_i32 s3, s3, -2
	s_cmp_lg_u32 s3, 0
	v_add_u32_e32 v2, 2, v2
	s_waitcnt vmcnt(0)
	v_div_scale_f32 v3, s[0:1], v1, v1, v9
	v_div_scale_f32 v11, s[0:1], v0, v0, v8
	v_rcp_f32_e32 v12, v3
	v_rcp_f32_e32 v13, v11
	v_div_scale_f32 v10, vcc, v9, v1, v9
	v_fma_f32 v15, -v3, v12, 1.0
	v_fma_f32 v16, -v11, v13, 1.0
	v_fmac_f32_e32 v12, v15, v12
	v_div_scale_f32 v14, s[0:1], v8, v0, v8
	v_fmac_f32_e32 v13, v16, v13
	v_mul_f32_e32 v15, v10, v12
	v_mul_f32_e32 v16, v14, v13
	v_fma_f32 v17, -v3, v15, v10
	v_fma_f32 v18, -v11, v16, v14
	v_fmac_f32_e32 v15, v17, v12
	v_fmac_f32_e32 v16, v18, v13
	v_fma_f32 v3, -v3, v15, v10
	v_fma_f32 v10, -v11, v16, v14
	v_div_fmas_f32 v3, v3, v12, v15
	s_mov_b64 vcc, s[0:1]
	v_div_fixup_f32 v9, v3, v1, v9
	v_div_fmas_f32 v3, v10, v13, v16
	v_div_fixup_f32 v8, v3, v0, v8
	global_store_dwordx2 v[6:7], v[8:9], off
	s_cbranch_scc1 .LBB255_15
; %bb.16:
	s_cmp_lg_u32 s2, s8
	s_cselect_b64 s[0:1], -1, 0
.LBB255_17:
	s_and_b64 vcc, exec, s[0:1]
	s_cbranch_vccz .LBB255_20
; %bb.18:
	v_ashrrev_i32_e32 v1, 31, v4
	v_add_co_u32_e32 v2, vcc, s2, v4
	v_addc_co_u32_e32 v3, vcc, 0, v1, vcc
	v_lshlrev_b64 v[2:3], 2, v[2:3]
	v_mov_b32_e32 v1, s13
	v_add_co_u32_e32 v2, vcc, s12, v2
	s_sub_i32 s0, s8, s2
	v_addc_co_u32_e32 v3, vcc, v1, v3, vcc
.LBB255_19:                             ; =>This Inner Loop Header: Depth=1
	global_load_dword v1, v[2:3], off
	s_add_i32 s0, s0, -1
	s_cmp_lg_u32 s0, 0
	s_waitcnt vmcnt(0)
	v_div_scale_f32 v4, s[2:3], v0, v0, v1
	v_rcp_f32_e32 v5, v4
	v_div_scale_f32 v6, vcc, v1, v0, v1
	v_fma_f32 v7, -v4, v5, 1.0
	v_fmac_f32_e32 v5, v7, v5
	v_mul_f32_e32 v7, v6, v5
	v_fma_f32 v8, -v4, v7, v6
	v_fmac_f32_e32 v7, v8, v5
	v_fma_f32 v4, -v4, v7, v6
	v_div_fmas_f32 v4, v4, v5, v7
	v_div_fixup_f32 v1, v4, v0, v1
	global_store_dword v[2:3], v1, off
	v_add_co_u32_e32 v2, vcc, 4, v2
	v_addc_co_u32_e32 v3, vcc, 0, v3, vcc
	s_cbranch_scc1 .LBB255_19
.LBB255_20:
	s_endpgm
	.section	.rodata,"a",@progbits
	.p2align	6, 0x0
	.amdhsa_kernel _ZN4vllm3moe10topkGatingILi8ELi8ELi4ELi16ELi64Ei6__halfLNS0_11ScoringFuncE1EEEvPKT5_PKbPfiPT4_PiiiibPKf
		.amdhsa_group_segment_fixed_size 0
		.amdhsa_private_segment_fixed_size 0
		.amdhsa_kernarg_size 72
		.amdhsa_user_sgpr_count 6
		.amdhsa_user_sgpr_private_segment_buffer 1
		.amdhsa_user_sgpr_dispatch_ptr 0
		.amdhsa_user_sgpr_queue_ptr 0
		.amdhsa_user_sgpr_kernarg_segment_ptr 1
		.amdhsa_user_sgpr_dispatch_id 0
		.amdhsa_user_sgpr_flat_scratch_init 0
		.amdhsa_user_sgpr_kernarg_preload_length 0
		.amdhsa_user_sgpr_kernarg_preload_offset 0
		.amdhsa_user_sgpr_private_segment_size 0
		.amdhsa_uses_dynamic_stack 0
		.amdhsa_system_sgpr_private_segment_wavefront_offset 0
		.amdhsa_system_sgpr_workgroup_id_x 1
		.amdhsa_system_sgpr_workgroup_id_y 0
		.amdhsa_system_sgpr_workgroup_id_z 0
		.amdhsa_system_sgpr_workgroup_info 0
		.amdhsa_system_vgpr_workitem_id 1
		.amdhsa_next_free_vgpr 35
		.amdhsa_next_free_sgpr 28
		.amdhsa_accum_offset 36
		.amdhsa_reserve_vcc 1
		.amdhsa_reserve_flat_scratch 0
		.amdhsa_float_round_mode_32 0
		.amdhsa_float_round_mode_16_64 0
		.amdhsa_float_denorm_mode_32 3
		.amdhsa_float_denorm_mode_16_64 3
		.amdhsa_dx10_clamp 1
		.amdhsa_ieee_mode 1
		.amdhsa_fp16_overflow 0
		.amdhsa_tg_split 0
		.amdhsa_exception_fp_ieee_invalid_op 0
		.amdhsa_exception_fp_denorm_src 0
		.amdhsa_exception_fp_ieee_div_zero 0
		.amdhsa_exception_fp_ieee_overflow 0
		.amdhsa_exception_fp_ieee_underflow 0
		.amdhsa_exception_fp_ieee_inexact 0
		.amdhsa_exception_int_div_zero 0
	.end_amdhsa_kernel
	.section	.text._ZN4vllm3moe10topkGatingILi8ELi8ELi4ELi16ELi64Ei6__halfLNS0_11ScoringFuncE1EEEvPKT5_PKbPfiPT4_PiiiibPKf,"axG",@progbits,_ZN4vllm3moe10topkGatingILi8ELi8ELi4ELi16ELi64Ei6__halfLNS0_11ScoringFuncE1EEEvPKT5_PKbPfiPT4_PiiiibPKf,comdat
.Lfunc_end255:
	.size	_ZN4vllm3moe10topkGatingILi8ELi8ELi4ELi16ELi64Ei6__halfLNS0_11ScoringFuncE1EEEvPKT5_PKbPfiPT4_PiiiibPKf, .Lfunc_end255-_ZN4vllm3moe10topkGatingILi8ELi8ELi4ELi16ELi64Ei6__halfLNS0_11ScoringFuncE1EEEvPKT5_PKbPfiPT4_PiiiibPKf
                                        ; -- End function
	.section	.AMDGPU.csdata,"",@progbits
; Kernel info:
; codeLenInByte = 2272
; NumSgprs: 32
; NumVgprs: 35
; NumAgprs: 0
; TotalNumVgprs: 35
; ScratchSize: 0
; MemoryBound: 1
; FloatMode: 240
; IeeeMode: 1
; LDSByteSize: 0 bytes/workgroup (compile time only)
; SGPRBlocks: 3
; VGPRBlocks: 4
; NumSGPRsForWavesPerEU: 32
; NumVGPRsForWavesPerEU: 35
; AccumOffset: 36
; Occupancy: 8
; WaveLimiterHint : 0
; COMPUTE_PGM_RSRC2:SCRATCH_EN: 0
; COMPUTE_PGM_RSRC2:USER_SGPR: 6
; COMPUTE_PGM_RSRC2:TRAP_HANDLER: 0
; COMPUTE_PGM_RSRC2:TGID_X_EN: 1
; COMPUTE_PGM_RSRC2:TGID_Y_EN: 0
; COMPUTE_PGM_RSRC2:TGID_Z_EN: 0
; COMPUTE_PGM_RSRC2:TIDIG_COMP_CNT: 1
; COMPUTE_PGM_RSRC3_GFX90A:ACCUM_OFFSET: 8
; COMPUTE_PGM_RSRC3_GFX90A:TG_SPLIT: 0
	.section	.text._ZN4vllm3moe10topkGatingILi8ELi8ELi4ELi16ELi32Ei6__halfLNS0_11ScoringFuncE1EEEvPKT5_PKbPfiPT4_PiiiibPKf,"axG",@progbits,_ZN4vllm3moe10topkGatingILi8ELi8ELi4ELi16ELi32Ei6__halfLNS0_11ScoringFuncE1EEEvPKT5_PKbPfiPT4_PiiiibPKf,comdat
	.protected	_ZN4vllm3moe10topkGatingILi8ELi8ELi4ELi16ELi32Ei6__halfLNS0_11ScoringFuncE1EEEvPKT5_PKbPfiPT4_PiiiibPKf ; -- Begin function _ZN4vllm3moe10topkGatingILi8ELi8ELi4ELi16ELi32Ei6__halfLNS0_11ScoringFuncE1EEEvPKT5_PKbPfiPT4_PiiiibPKf
	.globl	_ZN4vllm3moe10topkGatingILi8ELi8ELi4ELi16ELi32Ei6__halfLNS0_11ScoringFuncE1EEEvPKT5_PKbPfiPT4_PiiiibPKf
	.p2align	8
	.type	_ZN4vllm3moe10topkGatingILi8ELi8ELi4ELi16ELi32Ei6__halfLNS0_11ScoringFuncE1EEEvPKT5_PKbPfiPT4_PiiiibPKf,@function
_ZN4vllm3moe10topkGatingILi8ELi8ELi4ELi16ELi32Ei6__halfLNS0_11ScoringFuncE1EEEvPKT5_PKbPfiPT4_PiiiibPKf: ; @_ZN4vllm3moe10topkGatingILi8ELi8ELi4ELi16ELi32Ei6__halfLNS0_11ScoringFuncE1EEEvPKT5_PKbPfiPT4_PiiiibPKf
; %bb.0:
	s_load_dword s18, s[4:5], 0x18
	v_bfe_u32 v1, v0, 10, 10
	s_lshl_b32 s0, s6, 7
	v_lshlrev_b32_e32 v1, 5, v1
	v_and_b32_e32 v0, 0x3ff, v0
	v_add3_u32 v16, v1, v0, s0
	s_waitcnt lgkmcnt(0)
	v_cmp_gt_i32_e32 vcc, s18, v16
	s_and_saveexec_b64 s[0:1], vcc
	s_cbranch_execz .LBB256_20
; %bb.1:
	s_load_dwordx4 s[0:3], s[4:5], 0x0
	s_load_dwordx2 s[12:13], s[4:5], 0x10
	s_mov_b64 s[10:11], -1
	s_mov_b64 s[14:15], -1
	s_waitcnt lgkmcnt(0)
	s_cmp_eq_u64 s[2:3], 0
	s_cbranch_scc1 .LBB256_3
; %bb.2:
	v_ashrrev_i32_e32 v1, 31, v16
	v_mov_b32_e32 v2, s3
	v_add_co_u32_e32 v0, vcc, s2, v16
	v_addc_co_u32_e32 v1, vcc, v2, v1, vcc
	global_load_ubyte v0, v[0:1], off
	s_waitcnt vmcnt(0)
	v_and_b32_e32 v0, 1, v0
	v_cmp_eq_u32_e32 vcc, 1, v0
	s_xor_b64 s[2:3], vcc, -1
	s_orn2_b64 s[14:15], s[2:3], exec
.LBB256_3:
	v_lshlrev_b32_e32 v0, 3, v16
	v_ashrrev_i32_e32 v1, 31, v0
	v_lshlrev_b64 v[0:1], 1, v[0:1]
	v_mov_b32_e32 v2, s1
	v_add_co_u32_e32 v0, vcc, s0, v0
	v_addc_co_u32_e32 v1, vcc, v2, v1, vcc
	global_load_dwordx4 v[0:3], v[0:1], off
	v_mov_b32_e32 v8, 0x207
	s_load_dwordx2 s[16:17], s[4:5], 0x40
	s_waitcnt lgkmcnt(0)
	s_cmp_eq_u64 s[16:17], 0
	s_waitcnt vmcnt(0)
	v_cvt_f32_f16_e32 v4, v0
	v_cvt_f32_f16_sdwa v0, v0 dst_sel:DWORD dst_unused:UNUSED_PAD src0_sel:WORD_1
	v_cvt_f32_f16_e32 v5, v1
	v_cvt_f32_f16_sdwa v1, v1 dst_sel:DWORD dst_unused:UNUSED_PAD src0_sel:WORD_1
	v_mul_f32_e32 v4, 0xbfb8aa3b, v4
	v_mul_f32_e32 v9, 0xbfb8aa3b, v0
	v_cvt_f32_f16_e32 v6, v2
	v_cvt_f32_f16_sdwa v2, v2 dst_sel:DWORD dst_unused:UNUSED_PAD src0_sel:WORD_1
	v_cvt_f32_f16_e32 v7, v3
	v_cvt_f32_f16_sdwa v3, v3 dst_sel:DWORD dst_unused:UNUSED_PAD src0_sel:WORD_1
	v_mul_f32_e32 v10, 0xbfb8aa3b, v1
	v_exp_f32_e32 v0, v4
	v_exp_f32_e32 v1, v9
	v_mul_f32_e32 v5, 0xbfb8aa3b, v5
	v_mul_f32_e32 v11, 0xbfb8aa3b, v2
	;; [unrolled: 1-line block ×3, first 2 shown]
	v_exp_f32_e32 v2, v5
	v_exp_f32_e32 v3, v10
	v_pk_add_f32 v[0:1], v[0:1], 1.0 op_sel_hi:[1,0]
	v_div_scale_f32 v9, s[0:1], v1, v1, 1.0
	v_rcp_f32_e32 v20, v9
	v_exp_f32_e32 v5, v11
	v_div_scale_f32 v11, s[0:1], v0, v0, 1.0
	v_pk_add_f32 v[2:3], v[2:3], 1.0 op_sel_hi:[1,0]
	v_rcp_f32_e32 v21, v11
	v_mul_f32_e32 v6, 0xbfb8aa3b, v6
	v_div_scale_f32 v13, s[2:3], v3, v3, 1.0
	v_exp_f32_e32 v4, v6
	v_rcp_f32_e32 v22, v13
	v_fma_f32 v25, -v9, v20, 1.0
	v_div_scale_f32 v10, vcc, 1.0, v1, 1.0
	v_div_scale_f32 v15, s[6:7], v2, v2, 1.0
	v_fmac_f32_e32 v20, v25, v20
	v_mul_f32_e32 v7, 0xbfb8aa3b, v7
	v_rcp_f32_e32 v23, v15
	v_fma_f32 v26, -v11, v21, 1.0
	v_mul_f32_e32 v25, v10, v20
	v_exp_f32_e32 v6, v7
	v_exp_f32_e32 v7, v12
	v_div_scale_f32 v12, s[0:1], 1.0, v0, 1.0
	v_fmac_f32_e32 v21, v26, v21
	v_fma_f32 v30, -v9, v25, v10
	v_pk_add_f32 v[4:5], v[4:5], 1.0 op_sel_hi:[1,0]
	v_fma_f32 v27, -v13, v22, 1.0
	v_mul_f32_e32 v26, v12, v21
	v_fmac_f32_e32 v25, v30, v20
	v_div_scale_f32 v14, s[2:3], 1.0, v3, 1.0
	v_div_scale_f32 v18, s[8:9], v5, v5, 1.0
	v_fmac_f32_e32 v22, v27, v22
	v_fma_f32 v31, -v11, v26, v12
	v_fma_f32 v9, -v9, v25, v10
	v_rcp_f32_e32 v24, v18
	v_fma_f32 v28, -v15, v23, 1.0
	v_mul_f32_e32 v27, v14, v22
	v_fmac_f32_e32 v26, v31, v21
	v_div_fmas_f32 v9, v9, v20, v25
	v_div_scale_f32 v17, s[6:7], 1.0, v2, 1.0
	v_fmac_f32_e32 v23, v28, v23
	v_fma_f32 v32, -v13, v27, v14
	v_fma_f32 v10, -v11, v26, v12
	v_div_fixup_f32 v1, v9, v1, 1.0
	s_mov_b64 vcc, s[0:1]
	v_mul_f32_e32 v28, v17, v23
	v_fmac_f32_e32 v27, v32, v22
	v_div_fmas_f32 v9, v10, v21, v26
	v_cmp_class_f32_e32 vcc, v1, v8
	v_fma_f32 v33, -v15, v28, v17
	v_fma_f32 v11, -v13, v27, v14
	v_div_fixup_f32 v0, v9, v0, 1.0
	v_cndmask_b32_e64 v1, v1, 0, vcc
	s_mov_b64 vcc, s[2:3]
	v_fma_f32 v29, -v18, v24, 1.0
	v_fmac_f32_e32 v28, v33, v23
	v_div_fmas_f32 v9, v11, v22, v27
	v_cmp_class_f32_e32 vcc, v0, v8
	v_div_scale_f32 v19, s[8:9], 1.0, v5, 1.0
	v_fmac_f32_e32 v24, v29, v24
	v_fma_f32 v12, -v15, v28, v17
	v_cndmask_b32_e64 v0, v0, 0, vcc
	s_mov_b64 vcc, s[6:7]
	v_mul_f32_e32 v29, v19, v24
	v_div_fixup_f32 v3, v9, v3, 1.0
	v_div_fmas_f32 v9, v12, v23, v28
	v_div_scale_f32 v10, s[0:1], v4, v4, 1.0
	v_fma_f32 v34, -v18, v29, v19
	v_div_fixup_f32 v2, v9, v2, 1.0
	v_cmp_class_f32_e32 vcc, v3, v8
	v_rcp_f32_e32 v11, v10
	v_cndmask_b32_e64 v3, v3, 0, vcc
	v_cmp_class_f32_e32 vcc, v2, v8
	v_fmac_f32_e32 v29, v34, v24
	v_cndmask_b32_e64 v2, v2, 0, vcc
	v_fma_f32 v9, -v18, v29, v19
	s_mov_b64 vcc, s[8:9]
	v_div_fmas_f32 v9, v9, v24, v29
	v_div_fixup_f32 v5, v9, v5, 1.0
	v_fma_f32 v9, -v10, v11, 1.0
	v_fmac_f32_e32 v11, v9, v11
	v_div_scale_f32 v9, vcc, 1.0, v4, 1.0
	v_mul_f32_e32 v12, v9, v11
	v_fma_f32 v13, -v10, v12, v9
	v_fmac_f32_e32 v12, v13, v11
	v_fma_f32 v9, -v10, v12, v9
	v_div_fmas_f32 v9, v9, v11, v12
	v_pk_add_f32 v[6:7], v[6:7], 1.0 op_sel_hi:[1,0]
	v_div_fixup_f32 v4, v9, v4, 1.0
	v_div_scale_f32 v9, s[0:1], v7, v7, 1.0
	v_rcp_f32_e32 v10, v9
	v_cmp_class_f32_e32 vcc, v5, v8
	v_cndmask_b32_e64 v5, v5, 0, vcc
	v_cmp_class_f32_e32 vcc, v4, v8
	v_fma_f32 v11, -v9, v10, 1.0
	v_cndmask_b32_e64 v4, v4, 0, vcc
	v_fmac_f32_e32 v10, v11, v10
	v_div_scale_f32 v11, vcc, 1.0, v7, 1.0
	v_mul_f32_e32 v12, v11, v10
	v_fma_f32 v13, -v9, v12, v11
	v_fmac_f32_e32 v12, v13, v10
	v_fma_f32 v9, -v9, v12, v11
	v_div_scale_f32 v11, s[0:1], v6, v6, 1.0
	v_rcp_f32_e32 v13, v11
	v_div_fmas_f32 v9, v9, v10, v12
	v_div_fixup_f32 v7, v9, v7, 1.0
	v_fma_f32 v9, -v11, v13, 1.0
	v_fmac_f32_e32 v13, v9, v13
	v_div_scale_f32 v9, vcc, 1.0, v6, 1.0
	v_mul_f32_e32 v10, v9, v13
	v_fma_f32 v12, -v11, v10, v9
	v_fmac_f32_e32 v10, v12, v13
	v_fma_f32 v9, -v11, v10, v9
	v_div_fmas_f32 v9, v9, v13, v10
	v_div_fixup_f32 v6, v9, v6, 1.0
	v_cmp_class_f32_e32 vcc, v7, v8
	v_cndmask_b32_e64 v7, v7, 0, vcc
	v_cmp_class_f32_e32 vcc, v6, v8
	v_cndmask_b32_e64 v6, v6, 0, vcc
	s_cbranch_scc1 .LBB256_10
; %bb.4:
	s_load_dwordx8 s[20:27], s[16:17], 0x0
	s_waitcnt lgkmcnt(0)
	v_pk_add_f32 v[8:9], s[20:21], v[0:1]
	v_pk_add_f32 v[10:11], s[22:23], v[2:3]
	;; [unrolled: 1-line block ×4, first 2 shown]
	s_cbranch_execnz .LBB256_6
.LBB256_5:
	v_pk_mov_b32 v[14:15], v[6:7], v[6:7] op_sel:[0,1]
	v_pk_mov_b32 v[12:13], v[4:5], v[4:5] op_sel:[0,1]
	;; [unrolled: 1-line block ×4, first 2 shown]
.LBB256_6:
	s_load_dwordx4 s[8:11], s[4:5], 0x30
	s_waitcnt lgkmcnt(0)
	s_bitcmp1_b32 s11, 0
	s_cselect_b64 vcc, -1, 0
	s_cmp_gt_i32 s8, 0
	s_cselect_b64 s[16:17], -1, 0
	s_cmp_lt_i32 s8, 1
	s_mov_b32 s11, 0
	s_cbranch_scc1 .LBB256_11
; %bb.7:
	s_load_dwordx4 s[4:7], s[4:5], 0x20
	v_mul_lo_u32 v18, v16, s8
	v_mov_b32_e32 v17, 0
	v_mov_b32_e32 v19, s13
	;; [unrolled: 1-line block ×3, first 2 shown]
	s_waitcnt lgkmcnt(0)
	v_mov_b32_e32 v20, s5
	v_mov_b32_e32 v21, s7
	;; [unrolled: 1-line block ×3, first 2 shown]
.LBB256_8:                              ; =>This Inner Loop Header: Depth=1
	v_cmp_gt_f32_e64 s[0:1], v9, v8
	v_cndmask_b32_e64 v26, v8, v9, s[0:1]
	v_cndmask_b32_e64 v24, 0, 1, s[0:1]
	v_cndmask_b32_e64 v25, v0, v1, s[0:1]
	v_cmp_gt_f32_e64 s[0:1], v10, v26
	v_cndmask_b32_e64 v26, v26, v10, s[0:1]
	v_cndmask_b32_e64 v24, v24, 2, s[0:1]
	v_cndmask_b32_e64 v25, v25, v2, s[0:1]
	v_cmp_gt_f32_e64 s[0:1], v11, v26
	v_cndmask_b32_e64 v26, v26, v11, s[0:1]
	v_cndmask_b32_e64 v24, v24, 3, s[0:1]
	v_cndmask_b32_e64 v25, v25, v3, s[0:1]
	v_cmp_gt_f32_e64 s[0:1], v12, v26
	v_cndmask_b32_e64 v26, v26, v12, s[0:1]
	v_cndmask_b32_e64 v24, v24, 4, s[0:1]
	v_cndmask_b32_e64 v25, v25, v4, s[0:1]
	v_cmp_gt_f32_e64 s[0:1], v13, v26
	v_cndmask_b32_e64 v26, v26, v13, s[0:1]
	v_cndmask_b32_e64 v24, v24, 5, s[0:1]
	v_cndmask_b32_e64 v25, v25, v5, s[0:1]
	v_cmp_gt_f32_e64 s[0:1], v14, v26
	v_cndmask_b32_e64 v26, v26, v14, s[0:1]
	v_cndmask_b32_e64 v24, v24, 6, s[0:1]
	v_cndmask_b32_e64 v25, v25, v6, s[0:1]
	v_cmp_gt_f32_e64 s[0:1], v15, v26
	v_cndmask_b32_e64 v28, v24, 7, s[0:1]
	v_add_u32_e32 v24, s11, v18
	v_cndmask_b32_e64 v29, v25, v7, s[0:1]
	v_ashrrev_i32_e32 v25, 31, v24
	v_cmp_le_i32_e64 s[0:1], s9, v28
	v_cmp_gt_i32_e64 s[2:3], s10, v28
	v_lshlrev_b64 v[24:25], 2, v[24:25]
	s_and_b64 s[2:3], s[0:1], s[2:3]
	v_add_co_u32_e64 v26, s[0:1], s12, v24
	v_addc_co_u32_e64 v27, s[0:1], v19, v25, s[0:1]
	global_store_dword v[26:27], v29, off
	v_subrev_u32_e32 v26, s9, v28
	s_and_b64 s[0:1], s[14:15], s[2:3]
	v_cndmask_b32_e64 v30, 8, v26, s[0:1]
	v_add_co_u32_e64 v26, s[0:1], s4, v24
	v_addc_co_u32_e64 v27, s[0:1], v20, v25, s[0:1]
	v_add_co_u32_e64 v24, s[0:1], s6, v24
	v_addc_co_u32_e64 v25, s[0:1], v21, v25, s[0:1]
	global_store_dword v[26:27], v30, off
	global_store_dword v[24:25], v23, off
	v_add_f32_e32 v24, v17, v29
	v_cmp_ne_u32_e64 s[0:1], 0, v28
	v_cndmask_b32_e32 v17, v17, v24, vcc
	v_cndmask_b32_e64 v24, v22, v8, s[0:1]
	v_cmp_ne_u32_e64 s[0:1], 1, v28
	v_cndmask_b32_e64 v25, v22, v9, s[0:1]
	v_cmp_ne_u32_e64 s[0:1], 2, v28
	;; [unrolled: 2-line block ×5, first 2 shown]
	s_add_i32 s11, s11, 1
	v_cndmask_b32_e64 v30, v22, v13, s[0:1]
	v_cmp_ne_u32_e64 s[0:1], 6, v28
	s_cmp_lt_i32 s11, s8
	v_cndmask_b32_e64 v31, v22, v14, s[0:1]
	v_cmp_ne_u32_e64 s[0:1], 7, v28
	v_cndmask_b32_e64 v28, v22, v15, s[0:1]
	s_cselect_b64 s[0:1], -1, 0
	v_cndmask_b32_e64 v15, v15, v28, s[0:1]
	v_cndmask_b32_e64 v14, v14, v31, s[0:1]
	;; [unrolled: 1-line block ×8, first 2 shown]
	s_cmp_eq_u32 s8, s11
	v_add_u32_e32 v23, s18, v23
	s_cbranch_scc0 .LBB256_8
; %bb.9:
	s_and_b64 vcc, exec, vcc
	s_cbranch_vccnz .LBB256_12
	s_branch .LBB256_20
.LBB256_10:
                                        ; implicit-def: $vgpr8_vgpr9_vgpr10_vgpr11_vgpr12_vgpr13_vgpr14_vgpr15
	s_andn2_b64 vcc, exec, s[10:11]
	s_cbranch_vccz .LBB256_5
	s_branch .LBB256_6
.LBB256_11:
	v_mov_b32_e32 v17, 0
	s_and_b64 vcc, exec, vcc
	s_cbranch_vccz .LBB256_20
.LBB256_12:
	s_andn2_b64 vcc, exec, s[16:17]
	s_cbranch_vccnz .LBB256_20
; %bb.13:
	v_cmp_lt_f32_e32 vcc, 0, v17
	s_mov_b32 s2, 0
	v_cndmask_b32_e32 v0, 1.0, v17, vcc
	v_mul_lo_u32 v4, v16, s8
	s_cmp_eq_u32 s8, 1
	s_mov_b64 s[0:1], -1
	s_cbranch_scc1 .LBB256_17
; %bb.14:
	s_and_b32 s2, s8, 0x7ffffffe
	v_mov_b32_e32 v1, v0
	v_mov_b32_e32 v5, s13
	s_mov_b32 s3, s2
	v_mov_b32_e32 v2, v4
.LBB256_15:                             ; =>This Inner Loop Header: Depth=1
	v_ashrrev_i32_e32 v3, 31, v2
	v_lshlrev_b64 v[6:7], 2, v[2:3]
	v_add_co_u32_e32 v6, vcc, s12, v6
	v_addc_co_u32_e32 v7, vcc, v5, v7, vcc
	global_load_dwordx2 v[8:9], v[6:7], off
	s_add_i32 s3, s3, -2
	s_cmp_lg_u32 s3, 0
	v_add_u32_e32 v2, 2, v2
	s_waitcnt vmcnt(0)
	v_div_scale_f32 v3, s[0:1], v1, v1, v9
	v_div_scale_f32 v11, s[0:1], v0, v0, v8
	v_rcp_f32_e32 v12, v3
	v_rcp_f32_e32 v13, v11
	v_div_scale_f32 v10, vcc, v9, v1, v9
	v_fma_f32 v15, -v3, v12, 1.0
	v_fma_f32 v16, -v11, v13, 1.0
	v_fmac_f32_e32 v12, v15, v12
	v_div_scale_f32 v14, s[0:1], v8, v0, v8
	v_fmac_f32_e32 v13, v16, v13
	v_mul_f32_e32 v15, v10, v12
	v_mul_f32_e32 v16, v14, v13
	v_fma_f32 v17, -v3, v15, v10
	v_fma_f32 v18, -v11, v16, v14
	v_fmac_f32_e32 v15, v17, v12
	v_fmac_f32_e32 v16, v18, v13
	v_fma_f32 v3, -v3, v15, v10
	v_fma_f32 v10, -v11, v16, v14
	v_div_fmas_f32 v3, v3, v12, v15
	s_mov_b64 vcc, s[0:1]
	v_div_fixup_f32 v9, v3, v1, v9
	v_div_fmas_f32 v3, v10, v13, v16
	v_div_fixup_f32 v8, v3, v0, v8
	global_store_dwordx2 v[6:7], v[8:9], off
	s_cbranch_scc1 .LBB256_15
; %bb.16:
	s_cmp_lg_u32 s2, s8
	s_cselect_b64 s[0:1], -1, 0
.LBB256_17:
	s_and_b64 vcc, exec, s[0:1]
	s_cbranch_vccz .LBB256_20
; %bb.18:
	v_ashrrev_i32_e32 v1, 31, v4
	v_add_co_u32_e32 v2, vcc, s2, v4
	v_addc_co_u32_e32 v3, vcc, 0, v1, vcc
	v_lshlrev_b64 v[2:3], 2, v[2:3]
	v_mov_b32_e32 v1, s13
	v_add_co_u32_e32 v2, vcc, s12, v2
	s_sub_i32 s0, s8, s2
	v_addc_co_u32_e32 v3, vcc, v1, v3, vcc
.LBB256_19:                             ; =>This Inner Loop Header: Depth=1
	global_load_dword v1, v[2:3], off
	s_add_i32 s0, s0, -1
	s_cmp_lg_u32 s0, 0
	s_waitcnt vmcnt(0)
	v_div_scale_f32 v4, s[2:3], v0, v0, v1
	v_rcp_f32_e32 v5, v4
	v_div_scale_f32 v6, vcc, v1, v0, v1
	v_fma_f32 v7, -v4, v5, 1.0
	v_fmac_f32_e32 v5, v7, v5
	v_mul_f32_e32 v7, v6, v5
	v_fma_f32 v8, -v4, v7, v6
	v_fmac_f32_e32 v7, v8, v5
	v_fma_f32 v4, -v4, v7, v6
	v_div_fmas_f32 v4, v4, v5, v7
	v_div_fixup_f32 v1, v4, v0, v1
	global_store_dword v[2:3], v1, off
	v_add_co_u32_e32 v2, vcc, 4, v2
	v_addc_co_u32_e32 v3, vcc, 0, v3, vcc
	s_cbranch_scc1 .LBB256_19
.LBB256_20:
	s_endpgm
	.section	.rodata,"a",@progbits
	.p2align	6, 0x0
	.amdhsa_kernel _ZN4vllm3moe10topkGatingILi8ELi8ELi4ELi16ELi32Ei6__halfLNS0_11ScoringFuncE1EEEvPKT5_PKbPfiPT4_PiiiibPKf
		.amdhsa_group_segment_fixed_size 0
		.amdhsa_private_segment_fixed_size 0
		.amdhsa_kernarg_size 72
		.amdhsa_user_sgpr_count 6
		.amdhsa_user_sgpr_private_segment_buffer 1
		.amdhsa_user_sgpr_dispatch_ptr 0
		.amdhsa_user_sgpr_queue_ptr 0
		.amdhsa_user_sgpr_kernarg_segment_ptr 1
		.amdhsa_user_sgpr_dispatch_id 0
		.amdhsa_user_sgpr_flat_scratch_init 0
		.amdhsa_user_sgpr_kernarg_preload_length 0
		.amdhsa_user_sgpr_kernarg_preload_offset 0
		.amdhsa_user_sgpr_private_segment_size 0
		.amdhsa_uses_dynamic_stack 0
		.amdhsa_system_sgpr_private_segment_wavefront_offset 0
		.amdhsa_system_sgpr_workgroup_id_x 1
		.amdhsa_system_sgpr_workgroup_id_y 0
		.amdhsa_system_sgpr_workgroup_id_z 0
		.amdhsa_system_sgpr_workgroup_info 0
		.amdhsa_system_vgpr_workitem_id 1
		.amdhsa_next_free_vgpr 35
		.amdhsa_next_free_sgpr 28
		.amdhsa_accum_offset 36
		.amdhsa_reserve_vcc 1
		.amdhsa_reserve_flat_scratch 0
		.amdhsa_float_round_mode_32 0
		.amdhsa_float_round_mode_16_64 0
		.amdhsa_float_denorm_mode_32 3
		.amdhsa_float_denorm_mode_16_64 3
		.amdhsa_dx10_clamp 1
		.amdhsa_ieee_mode 1
		.amdhsa_fp16_overflow 0
		.amdhsa_tg_split 0
		.amdhsa_exception_fp_ieee_invalid_op 0
		.amdhsa_exception_fp_denorm_src 0
		.amdhsa_exception_fp_ieee_div_zero 0
		.amdhsa_exception_fp_ieee_overflow 0
		.amdhsa_exception_fp_ieee_underflow 0
		.amdhsa_exception_fp_ieee_inexact 0
		.amdhsa_exception_int_div_zero 0
	.end_amdhsa_kernel
	.section	.text._ZN4vllm3moe10topkGatingILi8ELi8ELi4ELi16ELi32Ei6__halfLNS0_11ScoringFuncE1EEEvPKT5_PKbPfiPT4_PiiiibPKf,"axG",@progbits,_ZN4vllm3moe10topkGatingILi8ELi8ELi4ELi16ELi32Ei6__halfLNS0_11ScoringFuncE1EEEvPKT5_PKbPfiPT4_PiiiibPKf,comdat
.Lfunc_end256:
	.size	_ZN4vllm3moe10topkGatingILi8ELi8ELi4ELi16ELi32Ei6__halfLNS0_11ScoringFuncE1EEEvPKT5_PKbPfiPT4_PiiiibPKf, .Lfunc_end256-_ZN4vllm3moe10topkGatingILi8ELi8ELi4ELi16ELi32Ei6__halfLNS0_11ScoringFuncE1EEEvPKT5_PKbPfiPT4_PiiiibPKf
                                        ; -- End function
	.section	.AMDGPU.csdata,"",@progbits
; Kernel info:
; codeLenInByte = 2272
; NumSgprs: 32
; NumVgprs: 35
; NumAgprs: 0
; TotalNumVgprs: 35
; ScratchSize: 0
; MemoryBound: 1
; FloatMode: 240
; IeeeMode: 1
; LDSByteSize: 0 bytes/workgroup (compile time only)
; SGPRBlocks: 3
; VGPRBlocks: 4
; NumSGPRsForWavesPerEU: 32
; NumVGPRsForWavesPerEU: 35
; AccumOffset: 36
; Occupancy: 8
; WaveLimiterHint : 0
; COMPUTE_PGM_RSRC2:SCRATCH_EN: 0
; COMPUTE_PGM_RSRC2:USER_SGPR: 6
; COMPUTE_PGM_RSRC2:TRAP_HANDLER: 0
; COMPUTE_PGM_RSRC2:TGID_X_EN: 1
; COMPUTE_PGM_RSRC2:TGID_Y_EN: 0
; COMPUTE_PGM_RSRC2:TGID_Z_EN: 0
; COMPUTE_PGM_RSRC2:TIDIG_COMP_CNT: 1
; COMPUTE_PGM_RSRC3_GFX90A:ACCUM_OFFSET: 8
; COMPUTE_PGM_RSRC3_GFX90A:TG_SPLIT: 0
	.section	.text._ZN4vllm3moe10topkGatingILi8ELi16ELi4ELi16ELi64Ei6__halfLNS0_11ScoringFuncE1EEEvPKT5_PKbPfiPT4_PiiiibPKf,"axG",@progbits,_ZN4vllm3moe10topkGatingILi8ELi16ELi4ELi16ELi64Ei6__halfLNS0_11ScoringFuncE1EEEvPKT5_PKbPfiPT4_PiiiibPKf,comdat
	.protected	_ZN4vllm3moe10topkGatingILi8ELi16ELi4ELi16ELi64Ei6__halfLNS0_11ScoringFuncE1EEEvPKT5_PKbPfiPT4_PiiiibPKf ; -- Begin function _ZN4vllm3moe10topkGatingILi8ELi16ELi4ELi16ELi64Ei6__halfLNS0_11ScoringFuncE1EEEvPKT5_PKbPfiPT4_PiiiibPKf
	.globl	_ZN4vllm3moe10topkGatingILi8ELi16ELi4ELi16ELi64Ei6__halfLNS0_11ScoringFuncE1EEEvPKT5_PKbPfiPT4_PiiiibPKf
	.p2align	8
	.type	_ZN4vllm3moe10topkGatingILi8ELi16ELi4ELi16ELi64Ei6__halfLNS0_11ScoringFuncE1EEEvPKT5_PKbPfiPT4_PiiiibPKf,@function
_ZN4vllm3moe10topkGatingILi8ELi16ELi4ELi16ELi64Ei6__halfLNS0_11ScoringFuncE1EEEvPKT5_PKbPfiPT4_PiiiibPKf: ; @_ZN4vllm3moe10topkGatingILi8ELi16ELi4ELi16ELi64Ei6__halfLNS0_11ScoringFuncE1EEEvPKT5_PKbPfiPT4_PiiiibPKf
; %bb.0:
	s_load_dword s24, s[4:5], 0x18
	v_bfe_u32 v1, v0, 10, 10
	v_and_b32_e32 v0, 0x3ff, v0
	s_lshl_b32 s0, s6, 7
	v_lshlrev_b32_e32 v1, 5, v1
	v_lshrrev_b32_e32 v2, 1, v0
	v_add3_u32 v16, s0, v1, v2
	s_waitcnt lgkmcnt(0)
	v_cmp_gt_i32_e32 vcc, s24, v16
	s_and_saveexec_b64 s[0:1], vcc
	s_cbranch_execz .LBB257_30
; %bb.1:
	s_load_dwordx4 s[0:3], s[4:5], 0x0
	s_load_dwordx2 s[16:17], s[4:5], 0x10
	s_mov_b64 s[8:9], -1
	s_mov_b64 s[18:19], -1
	s_waitcnt lgkmcnt(0)
	s_cmp_eq_u64 s[2:3], 0
	s_cbranch_scc1 .LBB257_3
; %bb.2:
	v_ashrrev_i32_e32 v1, 31, v16
	v_mov_b32_e32 v3, s3
	v_add_co_u32_e32 v2, vcc, s2, v16
	v_addc_co_u32_e32 v3, vcc, v3, v1, vcc
	global_load_ubyte v1, v[2:3], off
	s_waitcnt vmcnt(0)
	v_and_b32_e32 v1, 1, v1
	v_cmp_eq_u32_e32 vcc, 1, v1
	s_xor_b64 s[2:3], vcc, -1
	s_orn2_b64 s[18:19], s[2:3], exec
.LBB257_3:
	v_lshlrev_b32_e32 v2, 4, v16
	v_ashrrev_i32_e32 v3, 31, v2
	v_lshlrev_b64 v[2:3], 1, v[2:3]
	v_mov_b32_e32 v1, s1
	v_add_co_u32_e32 v2, vcc, s0, v2
	v_and_b32_e32 v17, 1, v0
	v_addc_co_u32_e32 v1, vcc, v1, v3, vcc
	v_lshlrev_b32_e32 v0, 4, v17
	v_add_co_u32_e32 v0, vcc, v2, v0
	v_addc_co_u32_e32 v1, vcc, 0, v1, vcc
	global_load_dwordx4 v[0:3], v[0:1], off
	v_mov_b32_e32 v8, 0x207
	s_load_dwordx2 s[10:11], s[4:5], 0x40
	v_lshlrev_b32_e32 v18, 3, v17
	s_waitcnt lgkmcnt(0)
	s_cmp_eq_u64 s[10:11], 0
	s_waitcnt vmcnt(0)
	v_cvt_f32_f16_e32 v4, v0
	v_cvt_f32_f16_sdwa v0, v0 dst_sel:DWORD dst_unused:UNUSED_PAD src0_sel:WORD_1
	v_cvt_f32_f16_e32 v5, v1
	v_cvt_f32_f16_sdwa v1, v1 dst_sel:DWORD dst_unused:UNUSED_PAD src0_sel:WORD_1
	v_mul_f32_e32 v4, 0xbfb8aa3b, v4
	v_mul_f32_e32 v9, 0xbfb8aa3b, v0
	v_cvt_f32_f16_e32 v6, v2
	v_cvt_f32_f16_sdwa v2, v2 dst_sel:DWORD dst_unused:UNUSED_PAD src0_sel:WORD_1
	v_cvt_f32_f16_e32 v7, v3
	v_cvt_f32_f16_sdwa v3, v3 dst_sel:DWORD dst_unused:UNUSED_PAD src0_sel:WORD_1
	v_mul_f32_e32 v10, 0xbfb8aa3b, v1
	v_exp_f32_e32 v0, v4
	v_exp_f32_e32 v1, v9
	v_mul_f32_e32 v5, 0xbfb8aa3b, v5
	v_mul_f32_e32 v11, 0xbfb8aa3b, v2
	;; [unrolled: 1-line block ×3, first 2 shown]
	v_exp_f32_e32 v2, v5
	v_exp_f32_e32 v3, v10
	v_pk_add_f32 v[0:1], v[0:1], 1.0 op_sel_hi:[1,0]
	v_div_scale_f32 v9, s[0:1], v1, v1, 1.0
	v_rcp_f32_e32 v21, v9
	v_exp_f32_e32 v5, v11
	v_div_scale_f32 v11, s[0:1], v0, v0, 1.0
	v_pk_add_f32 v[2:3], v[2:3], 1.0 op_sel_hi:[1,0]
	v_rcp_f32_e32 v22, v11
	v_div_scale_f32 v13, s[2:3], v3, v3, 1.0
	v_rcp_f32_e32 v23, v13
	v_fma_f32 v26, -v9, v21, 1.0
	v_div_scale_f32 v10, vcc, 1.0, v1, 1.0
	v_div_scale_f32 v15, s[6:7], v2, v2, 1.0
	v_fmac_f32_e32 v21, v26, v21
	v_mul_f32_e32 v6, 0xbfb8aa3b, v6
	v_mul_f32_e32 v7, 0xbfb8aa3b, v7
	v_rcp_f32_e32 v24, v15
	v_fma_f32 v27, -v11, v22, 1.0
	v_mul_f32_e32 v26, v10, v21
	v_exp_f32_e32 v4, v6
	v_exp_f32_e32 v6, v7
	;; [unrolled: 1-line block ×3, first 2 shown]
	v_div_scale_f32 v12, s[0:1], 1.0, v0, 1.0
	v_fmac_f32_e32 v22, v27, v22
	v_fma_f32 v30, -v9, v26, v10
	v_fma_f32 v28, -v13, v23, 1.0
	v_mul_f32_e32 v27, v12, v22
	v_fmac_f32_e32 v26, v30, v21
	v_div_scale_f32 v14, s[2:3], 1.0, v3, 1.0
	v_fmac_f32_e32 v23, v28, v23
	v_fma_f32 v31, -v11, v27, v12
	v_fma_f32 v9, -v9, v26, v10
	v_fma_f32 v29, -v15, v24, 1.0
	v_mul_f32_e32 v28, v14, v23
	v_fmac_f32_e32 v27, v31, v22
	v_div_fmas_f32 v9, v9, v21, v26
	v_div_scale_f32 v19, s[6:7], 1.0, v2, 1.0
	v_fmac_f32_e32 v24, v29, v24
	v_fma_f32 v32, -v13, v28, v14
	v_fma_f32 v10, -v11, v27, v12
	v_div_fixup_f32 v1, v9, v1, 1.0
	s_mov_b64 vcc, s[0:1]
	v_pk_add_f32 v[4:5], v[4:5], 1.0 op_sel_hi:[1,0]
	v_mul_f32_e32 v29, v19, v24
	v_fmac_f32_e32 v28, v32, v23
	v_div_fmas_f32 v9, v10, v22, v27
	v_cmp_class_f32_e32 vcc, v1, v8
	v_div_scale_f32 v20, s[12:13], v5, v5, 1.0
	v_fma_f32 v33, -v15, v29, v19
	v_fma_f32 v11, -v13, v28, v14
	v_div_fixup_f32 v0, v9, v0, 1.0
	v_cndmask_b32_e64 v1, v1, 0, vcc
	s_mov_b64 vcc, s[2:3]
	v_rcp_f32_e32 v25, v20
	v_fmac_f32_e32 v29, v33, v24
	v_div_fmas_f32 v9, v11, v23, v28
	v_cmp_class_f32_e32 vcc, v0, v8
	v_fma_f32 v12, -v15, v29, v19
	v_cndmask_b32_e64 v0, v0, 0, vcc
	s_mov_b64 vcc, s[6:7]
	v_div_fixup_f32 v3, v9, v3, 1.0
	v_div_fmas_f32 v9, v12, v24, v29
	v_div_fixup_f32 v2, v9, v2, 1.0
	v_cmp_class_f32_e32 vcc, v3, v8
	v_cndmask_b32_e64 v3, v3, 0, vcc
	v_cmp_class_f32_e32 vcc, v2, v8
	v_fma_f32 v9, -v20, v25, 1.0
	v_cndmask_b32_e64 v2, v2, 0, vcc
	v_fmac_f32_e32 v25, v9, v25
	v_div_scale_f32 v9, vcc, 1.0, v5, 1.0
	v_mul_f32_e32 v10, v9, v25
	v_fma_f32 v11, -v20, v10, v9
	v_fmac_f32_e32 v10, v11, v25
	v_div_scale_f32 v11, s[0:1], v4, v4, 1.0
	v_rcp_f32_e32 v12, v11
	v_fma_f32 v9, -v20, v10, v9
	v_div_fmas_f32 v9, v9, v25, v10
	v_div_fixup_f32 v5, v9, v5, 1.0
	v_fma_f32 v9, -v11, v12, 1.0
	v_fmac_f32_e32 v12, v9, v12
	v_div_scale_f32 v9, vcc, 1.0, v4, 1.0
	v_mul_f32_e32 v10, v9, v12
	v_fma_f32 v13, -v11, v10, v9
	v_fmac_f32_e32 v10, v13, v12
	v_fma_f32 v9, -v11, v10, v9
	v_div_fmas_f32 v9, v9, v12, v10
	v_pk_add_f32 v[6:7], v[6:7], 1.0 op_sel_hi:[1,0]
	v_div_fixup_f32 v4, v9, v4, 1.0
	v_div_scale_f32 v9, s[0:1], v7, v7, 1.0
	v_rcp_f32_e32 v10, v9
	v_cmp_class_f32_e32 vcc, v5, v8
	v_cndmask_b32_e64 v5, v5, 0, vcc
	v_cmp_class_f32_e32 vcc, v4, v8
	v_fma_f32 v11, -v9, v10, 1.0
	v_cndmask_b32_e64 v4, v4, 0, vcc
	v_fmac_f32_e32 v10, v11, v10
	v_div_scale_f32 v11, vcc, 1.0, v7, 1.0
	v_mul_f32_e32 v12, v11, v10
	v_fma_f32 v13, -v9, v12, v11
	v_fmac_f32_e32 v12, v13, v10
	v_fma_f32 v9, -v9, v12, v11
	v_div_scale_f32 v11, s[0:1], v6, v6, 1.0
	v_rcp_f32_e32 v13, v11
	v_div_fmas_f32 v9, v9, v10, v12
	v_div_fixup_f32 v7, v9, v7, 1.0
	v_fma_f32 v9, -v11, v13, 1.0
	v_fmac_f32_e32 v13, v9, v13
	v_div_scale_f32 v9, vcc, 1.0, v6, 1.0
	v_mul_f32_e32 v10, v9, v13
	v_fma_f32 v12, -v11, v10, v9
	v_fmac_f32_e32 v10, v12, v13
	v_fma_f32 v9, -v11, v10, v9
	v_div_fmas_f32 v9, v9, v13, v10
	v_div_fixup_f32 v6, v9, v6, 1.0
	v_cmp_class_f32_e32 vcc, v7, v8
	v_cndmask_b32_e64 v7, v7, 0, vcc
	v_cmp_class_f32_e32 vcc, v6, v8
	v_cndmask_b32_e64 v6, v6, 0, vcc
	s_cbranch_scc1 .LBB257_19
; %bb.4:
	v_lshlrev_b32_e32 v19, 2, v18
	global_load_dwordx4 v[8:11], v19, s[10:11]
	global_load_dwordx4 v[12:15], v19, s[10:11] offset:16
	s_waitcnt vmcnt(1)
	v_pk_add_f32 v[8:9], v[8:9], v[0:1]
	v_pk_add_f32 v[10:11], v[10:11], v[2:3]
	s_waitcnt vmcnt(0)
	v_pk_add_f32 v[12:13], v[12:13], v[4:5]
	v_pk_add_f32 v[14:15], v[14:15], v[6:7]
	s_cbranch_execnz .LBB257_6
.LBB257_5:
	v_pk_mov_b32 v[14:15], v[6:7], v[6:7] op_sel:[0,1]
	v_pk_mov_b32 v[12:13], v[4:5], v[4:5] op_sel:[0,1]
	;; [unrolled: 1-line block ×4, first 2 shown]
.LBB257_6:
	s_load_dwordx4 s[8:11], s[4:5], 0x30
	s_mov_b32 s25, 0
	v_cmp_eq_u32_e64 s[0:1], 0, v17
	s_waitcnt lgkmcnt(0)
	s_bitcmp1_b32 s11, 0
	s_cselect_b64 vcc, -1, 0
	s_cmp_gt_i32 s8, 0
	s_cselect_b64 s[6:7], -1, 0
	s_cmp_lt_i32 s8, 1
	s_cbranch_scc1 .LBB257_20
; %bb.7:
	v_mbcnt_lo_u32_b32 v19, -1, 0
	v_mbcnt_hi_u32_b32 v19, -1, v19
	s_load_dwordx4 s[12:15], s[4:5], 0x20
	v_and_b32_e32 v21, 0x7e, v19
	v_xor_b32_e32 v20, 1, v19
	v_add_u32_e32 v21, 2, v21
	v_cmp_lt_i32_e64 s[2:3], v20, v21
	v_cndmask_b32_e64 v19, v19, v20, s[2:3]
	v_lshlrev_b32_e32 v20, 2, v19
	v_mul_lo_u32 v21, v16, s8
	v_mov_b32_e32 v19, 0
	v_mov_b32_e32 v22, 0xc61c4000
	;; [unrolled: 1-line block ×3, first 2 shown]
	s_branch .LBB257_10
.LBB257_8:                              ;   in Loop: Header=BB257_10 Depth=1
	s_or_b64 exec, exec, s[4:5]
.LBB257_9:                              ;   in Loop: Header=BB257_10 Depth=1
	s_cmp_eq_u32 s8, s25
	v_add_u32_e32 v23, s24, v23
	s_cbranch_scc1 .LBB257_21
.LBB257_10:                             ; =>This Inner Loop Header: Depth=1
	v_cmp_gt_f32_e64 s[2:3], v9, v8
	v_cndmask_b32_e64 v26, v8, v9, s[2:3]
	v_cndmask_b32_e64 v24, 0, 1, s[2:3]
	v_cndmask_b32_e64 v25, v0, v1, s[2:3]
	v_cmp_gt_f32_e64 s[2:3], v10, v26
	v_cndmask_b32_e64 v26, v26, v10, s[2:3]
	v_cndmask_b32_e64 v24, v24, 2, s[2:3]
	v_cndmask_b32_e64 v25, v25, v2, s[2:3]
	;; [unrolled: 4-line block ×6, first 2 shown]
	v_cmp_gt_f32_e64 s[2:3], v15, v26
	v_cndmask_b32_e64 v24, v24, 7, s[2:3]
	v_cndmask_b32_e64 v28, v26, v15, s[2:3]
	v_or_b32_e32 v24, v18, v24
	v_cndmask_b32_e64 v25, v25, v7, s[2:3]
	ds_bpermute_b32 v29, v20, v28
	ds_bpermute_b32 v26, v20, v25
	;; [unrolled: 1-line block ×3, first 2 shown]
	s_waitcnt lgkmcnt(0)
	v_cmp_lt_f32_e64 s[20:21], v28, v29
	v_cmp_nlt_f32_e64 s[2:3], v28, v29
	s_and_saveexec_b64 s[22:23], s[2:3]
	s_cbranch_execnz .LBB257_14
; %bb.11:                               ;   in Loop: Header=BB257_10 Depth=1
	s_or_b64 exec, exec, s[22:23]
	s_and_saveexec_b64 s[2:3], s[20:21]
	s_cbranch_execnz .LBB257_15
.LBB257_12:                             ;   in Loop: Header=BB257_10 Depth=1
	s_or_b64 exec, exec, s[2:3]
	s_and_saveexec_b64 s[20:21], s[0:1]
	s_cbranch_execnz .LBB257_16
.LBB257_13:                             ;   in Loop: Header=BB257_10 Depth=1
	s_or_b64 exec, exec, s[20:21]
	s_add_i32 s25, s25, 1
	s_cmp_ge_i32 s25, s8
	s_cbranch_scc1 .LBB257_9
	s_branch .LBB257_17
.LBB257_14:                             ;   in Loop: Header=BB257_10 Depth=1
	v_cmp_eq_f32_e64 s[2:3], v28, v29
	v_cmp_lt_i32_e64 s[4:5], v27, v24
	s_and_b64 s[2:3], s[2:3], s[4:5]
	s_andn2_b64 s[4:5], s[20:21], exec
	s_and_b64 s[2:3], s[2:3], exec
	s_or_b64 s[20:21], s[4:5], s[2:3]
	s_or_b64 exec, exec, s[22:23]
	s_and_saveexec_b64 s[2:3], s[20:21]
	s_cbranch_execz .LBB257_12
.LBB257_15:                             ;   in Loop: Header=BB257_10 Depth=1
	v_mov_b32_e32 v24, v27
	v_mov_b32_e32 v25, v26
	s_or_b64 exec, exec, s[2:3]
	s_and_saveexec_b64 s[20:21], s[0:1]
	s_cbranch_execz .LBB257_13
.LBB257_16:                             ;   in Loop: Header=BB257_10 Depth=1
	v_add_u32_e32 v26, s25, v21
	v_ashrrev_i32_e32 v27, 31, v26
	v_cmp_le_i32_e64 s[2:3], s9, v24
	v_cmp_gt_i32_e64 s[4:5], s10, v24
	v_lshlrev_b64 v[26:27], 2, v[26:27]
	s_and_b64 s[4:5], s[2:3], s[4:5]
	v_mov_b32_e32 v29, s17
	v_add_co_u32_e64 v28, s[2:3], s16, v26
	v_addc_co_u32_e64 v29, s[2:3], v29, v27, s[2:3]
	global_store_dword v[28:29], v25, off
	v_subrev_u32_e32 v28, s9, v24
	s_and_b64 s[2:3], s[18:19], s[4:5]
	v_cndmask_b32_e64 v30, 16, v28, s[2:3]
	v_mov_b32_e32 v29, s13
	v_add_co_u32_e64 v28, s[2:3], s12, v26
	v_addc_co_u32_e64 v29, s[2:3], v29, v27, s[2:3]
	global_store_dword v[28:29], v30, off
	v_mov_b32_e32 v28, s15
	v_add_co_u32_e64 v26, s[2:3], s14, v26
	v_add_f32_e32 v25, v19, v25
	v_addc_co_u32_e64 v27, s[2:3], v28, v27, s[2:3]
	v_cndmask_b32_e32 v19, v19, v25, vcc
	global_store_dword v[26:27], v23, off
	s_or_b64 exec, exec, s[20:21]
	s_add_i32 s25, s25, 1
	s_cmp_ge_i32 s25, s8
	s_cbranch_scc1 .LBB257_9
.LBB257_17:                             ;   in Loop: Header=BB257_10 Depth=1
	v_ashrrev_i32_e32 v26, 31, v24
	v_lshrrev_b32_e32 v25, 29, v26
	v_add_u32_e32 v27, v24, v25
	v_ashrrev_i32_e32 v25, 3, v27
	v_lshrrev_b32_e32 v27, 31, v27
	v_add_u32_e32 v27, v25, v27
	v_and_b32_e32 v27, -2, v27
	v_sub_u32_e32 v27, v25, v27
	v_cmp_eq_u32_e64 s[2:3], v17, v27
	s_and_saveexec_b64 s[4:5], s[2:3]
	s_cbranch_execz .LBB257_8
; %bb.18:                               ;   in Loop: Header=BB257_10 Depth=1
	v_lshrrev_b32_e32 v26, 28, v26
	v_add_u32_e32 v26, v24, v26
	v_lshlrev_b32_e32 v25, 3, v25
	v_ashrrev_i32_e32 v26, 4, v26
	v_sub_u32_e32 v24, v24, v25
	v_lshl_add_u32 v24, v26, 3, v24
	v_cmp_ne_u32_e64 s[2:3], 7, v24
	v_cndmask_b32_e64 v15, v22, v15, s[2:3]
	v_cmp_ne_u32_e64 s[2:3], 6, v24
	v_cndmask_b32_e64 v14, v22, v14, s[2:3]
	;; [unrolled: 2-line block ×8, first 2 shown]
	s_branch .LBB257_8
.LBB257_19:
                                        ; implicit-def: $vgpr8_vgpr9_vgpr10_vgpr11_vgpr12_vgpr13_vgpr14_vgpr15
	s_andn2_b64 vcc, exec, s[8:9]
	s_cbranch_vccz .LBB257_5
	s_branch .LBB257_6
.LBB257_20:
	v_mov_b32_e32 v19, 0
.LBB257_21:
	v_cmp_eq_u32_e64 s[0:1], 0, v17
	s_and_b64 s[0:1], s[0:1], vcc
	s_and_b64 exec, exec, s[0:1]
	s_cbranch_execz .LBB257_30
; %bb.22:
	s_andn2_b64 vcc, exec, s[6:7]
	s_cbranch_vccnz .LBB257_30
; %bb.23:
	v_cmp_lt_f32_e32 vcc, 0, v19
	s_mov_b32 s2, 0
	v_cndmask_b32_e32 v0, 1.0, v19, vcc
	v_mul_lo_u32 v4, v16, s8
	s_cmp_eq_u32 s8, 1
	s_mov_b64 s[0:1], -1
	s_cbranch_scc1 .LBB257_27
; %bb.24:
	s_and_b32 s2, s8, 0x7ffffffe
	v_mov_b32_e32 v1, v0
	v_mov_b32_e32 v5, s17
	s_mov_b32 s3, s2
	v_mov_b32_e32 v2, v4
.LBB257_25:                             ; =>This Inner Loop Header: Depth=1
	v_ashrrev_i32_e32 v3, 31, v2
	v_lshlrev_b64 v[6:7], 2, v[2:3]
	v_add_co_u32_e32 v6, vcc, s16, v6
	v_addc_co_u32_e32 v7, vcc, v5, v7, vcc
	global_load_dwordx2 v[8:9], v[6:7], off
	s_add_i32 s3, s3, -2
	s_cmp_lg_u32 s3, 0
	v_add_u32_e32 v2, 2, v2
	s_waitcnt vmcnt(0)
	v_div_scale_f32 v3, s[0:1], v1, v1, v9
	v_div_scale_f32 v11, s[0:1], v0, v0, v8
	v_rcp_f32_e32 v12, v3
	v_rcp_f32_e32 v13, v11
	v_div_scale_f32 v10, vcc, v9, v1, v9
	v_fma_f32 v15, -v3, v12, 1.0
	v_fma_f32 v16, -v11, v13, 1.0
	v_fmac_f32_e32 v12, v15, v12
	v_div_scale_f32 v14, s[0:1], v8, v0, v8
	v_fmac_f32_e32 v13, v16, v13
	v_mul_f32_e32 v15, v10, v12
	v_mul_f32_e32 v16, v14, v13
	v_fma_f32 v17, -v3, v15, v10
	v_fma_f32 v18, -v11, v16, v14
	v_fmac_f32_e32 v15, v17, v12
	v_fmac_f32_e32 v16, v18, v13
	v_fma_f32 v3, -v3, v15, v10
	v_fma_f32 v10, -v11, v16, v14
	v_div_fmas_f32 v3, v3, v12, v15
	s_mov_b64 vcc, s[0:1]
	v_div_fixup_f32 v9, v3, v1, v9
	v_div_fmas_f32 v3, v10, v13, v16
	v_div_fixup_f32 v8, v3, v0, v8
	global_store_dwordx2 v[6:7], v[8:9], off
	s_cbranch_scc1 .LBB257_25
; %bb.26:
	s_cmp_lg_u32 s2, s8
	s_cselect_b64 s[0:1], -1, 0
.LBB257_27:
	s_and_b64 vcc, exec, s[0:1]
	s_cbranch_vccz .LBB257_30
; %bb.28:
	v_ashrrev_i32_e32 v1, 31, v4
	v_add_co_u32_e32 v2, vcc, s2, v4
	v_addc_co_u32_e32 v3, vcc, 0, v1, vcc
	v_lshlrev_b64 v[2:3], 2, v[2:3]
	v_mov_b32_e32 v1, s17
	v_add_co_u32_e32 v2, vcc, s16, v2
	s_sub_i32 s0, s8, s2
	v_addc_co_u32_e32 v3, vcc, v1, v3, vcc
.LBB257_29:                             ; =>This Inner Loop Header: Depth=1
	global_load_dword v1, v[2:3], off
	s_add_i32 s0, s0, -1
	s_cmp_lg_u32 s0, 0
	s_waitcnt vmcnt(0)
	v_div_scale_f32 v4, s[2:3], v0, v0, v1
	v_rcp_f32_e32 v5, v4
	v_div_scale_f32 v6, vcc, v1, v0, v1
	v_fma_f32 v7, -v4, v5, 1.0
	v_fmac_f32_e32 v5, v7, v5
	v_mul_f32_e32 v7, v6, v5
	v_fma_f32 v8, -v4, v7, v6
	v_fmac_f32_e32 v7, v8, v5
	v_fma_f32 v4, -v4, v7, v6
	v_div_fmas_f32 v4, v4, v5, v7
	v_div_fixup_f32 v1, v4, v0, v1
	global_store_dword v[2:3], v1, off
	v_add_co_u32_e32 v2, vcc, 4, v2
	v_addc_co_u32_e32 v3, vcc, 0, v3, vcc
	s_cbranch_scc1 .LBB257_29
.LBB257_30:
	s_endpgm
	.section	.rodata,"a",@progbits
	.p2align	6, 0x0
	.amdhsa_kernel _ZN4vllm3moe10topkGatingILi8ELi16ELi4ELi16ELi64Ei6__halfLNS0_11ScoringFuncE1EEEvPKT5_PKbPfiPT4_PiiiibPKf
		.amdhsa_group_segment_fixed_size 0
		.amdhsa_private_segment_fixed_size 0
		.amdhsa_kernarg_size 72
		.amdhsa_user_sgpr_count 6
		.amdhsa_user_sgpr_private_segment_buffer 1
		.amdhsa_user_sgpr_dispatch_ptr 0
		.amdhsa_user_sgpr_queue_ptr 0
		.amdhsa_user_sgpr_kernarg_segment_ptr 1
		.amdhsa_user_sgpr_dispatch_id 0
		.amdhsa_user_sgpr_flat_scratch_init 0
		.amdhsa_user_sgpr_kernarg_preload_length 0
		.amdhsa_user_sgpr_kernarg_preload_offset 0
		.amdhsa_user_sgpr_private_segment_size 0
		.amdhsa_uses_dynamic_stack 0
		.amdhsa_system_sgpr_private_segment_wavefront_offset 0
		.amdhsa_system_sgpr_workgroup_id_x 1
		.amdhsa_system_sgpr_workgroup_id_y 0
		.amdhsa_system_sgpr_workgroup_id_z 0
		.amdhsa_system_sgpr_workgroup_info 0
		.amdhsa_system_vgpr_workitem_id 1
		.amdhsa_next_free_vgpr 34
		.amdhsa_next_free_sgpr 26
		.amdhsa_accum_offset 36
		.amdhsa_reserve_vcc 1
		.amdhsa_reserve_flat_scratch 0
		.amdhsa_float_round_mode_32 0
		.amdhsa_float_round_mode_16_64 0
		.amdhsa_float_denorm_mode_32 3
		.amdhsa_float_denorm_mode_16_64 3
		.amdhsa_dx10_clamp 1
		.amdhsa_ieee_mode 1
		.amdhsa_fp16_overflow 0
		.amdhsa_tg_split 0
		.amdhsa_exception_fp_ieee_invalid_op 0
		.amdhsa_exception_fp_denorm_src 0
		.amdhsa_exception_fp_ieee_div_zero 0
		.amdhsa_exception_fp_ieee_overflow 0
		.amdhsa_exception_fp_ieee_underflow 0
		.amdhsa_exception_fp_ieee_inexact 0
		.amdhsa_exception_int_div_zero 0
	.end_amdhsa_kernel
	.section	.text._ZN4vllm3moe10topkGatingILi8ELi16ELi4ELi16ELi64Ei6__halfLNS0_11ScoringFuncE1EEEvPKT5_PKbPfiPT4_PiiiibPKf,"axG",@progbits,_ZN4vllm3moe10topkGatingILi8ELi16ELi4ELi16ELi64Ei6__halfLNS0_11ScoringFuncE1EEEvPKT5_PKbPfiPT4_PiiiibPKf,comdat
.Lfunc_end257:
	.size	_ZN4vllm3moe10topkGatingILi8ELi16ELi4ELi16ELi64Ei6__halfLNS0_11ScoringFuncE1EEEvPKT5_PKbPfiPT4_PiiiibPKf, .Lfunc_end257-_ZN4vllm3moe10topkGatingILi8ELi16ELi4ELi16ELi64Ei6__halfLNS0_11ScoringFuncE1EEEvPKT5_PKbPfiPT4_PiiiibPKf
                                        ; -- End function
	.section	.AMDGPU.csdata,"",@progbits
; Kernel info:
; codeLenInByte = 2564
; NumSgprs: 30
; NumVgprs: 34
; NumAgprs: 0
; TotalNumVgprs: 34
; ScratchSize: 0
; MemoryBound: 0
; FloatMode: 240
; IeeeMode: 1
; LDSByteSize: 0 bytes/workgroup (compile time only)
; SGPRBlocks: 3
; VGPRBlocks: 4
; NumSGPRsForWavesPerEU: 30
; NumVGPRsForWavesPerEU: 34
; AccumOffset: 36
; Occupancy: 8
; WaveLimiterHint : 0
; COMPUTE_PGM_RSRC2:SCRATCH_EN: 0
; COMPUTE_PGM_RSRC2:USER_SGPR: 6
; COMPUTE_PGM_RSRC2:TRAP_HANDLER: 0
; COMPUTE_PGM_RSRC2:TGID_X_EN: 1
; COMPUTE_PGM_RSRC2:TGID_Y_EN: 0
; COMPUTE_PGM_RSRC2:TGID_Z_EN: 0
; COMPUTE_PGM_RSRC2:TIDIG_COMP_CNT: 1
; COMPUTE_PGM_RSRC3_GFX90A:ACCUM_OFFSET: 8
; COMPUTE_PGM_RSRC3_GFX90A:TG_SPLIT: 0
	.section	.text._ZN4vllm3moe10topkGatingILi8ELi16ELi4ELi16ELi32Ei6__halfLNS0_11ScoringFuncE1EEEvPKT5_PKbPfiPT4_PiiiibPKf,"axG",@progbits,_ZN4vllm3moe10topkGatingILi8ELi16ELi4ELi16ELi32Ei6__halfLNS0_11ScoringFuncE1EEEvPKT5_PKbPfiPT4_PiiiibPKf,comdat
	.protected	_ZN4vllm3moe10topkGatingILi8ELi16ELi4ELi16ELi32Ei6__halfLNS0_11ScoringFuncE1EEEvPKT5_PKbPfiPT4_PiiiibPKf ; -- Begin function _ZN4vllm3moe10topkGatingILi8ELi16ELi4ELi16ELi32Ei6__halfLNS0_11ScoringFuncE1EEEvPKT5_PKbPfiPT4_PiiiibPKf
	.globl	_ZN4vllm3moe10topkGatingILi8ELi16ELi4ELi16ELi32Ei6__halfLNS0_11ScoringFuncE1EEEvPKT5_PKbPfiPT4_PiiiibPKf
	.p2align	8
	.type	_ZN4vllm3moe10topkGatingILi8ELi16ELi4ELi16ELi32Ei6__halfLNS0_11ScoringFuncE1EEEvPKT5_PKbPfiPT4_PiiiibPKf,@function
_ZN4vllm3moe10topkGatingILi8ELi16ELi4ELi16ELi32Ei6__halfLNS0_11ScoringFuncE1EEEvPKT5_PKbPfiPT4_PiiiibPKf: ; @_ZN4vllm3moe10topkGatingILi8ELi16ELi4ELi16ELi32Ei6__halfLNS0_11ScoringFuncE1EEEvPKT5_PKbPfiPT4_PiiiibPKf
; %bb.0:
	s_load_dword s24, s[4:5], 0x18
	v_bfe_u32 v1, v0, 10, 10
	v_and_b32_e32 v0, 0x3ff, v0
	s_lshl_b32 s0, s6, 6
	v_lshlrev_b32_e32 v1, 4, v1
	v_lshrrev_b32_e32 v2, 1, v0
	v_add3_u32 v16, s0, v1, v2
	s_waitcnt lgkmcnt(0)
	v_cmp_gt_i32_e32 vcc, s24, v16
	s_and_saveexec_b64 s[0:1], vcc
	s_cbranch_execz .LBB258_30
; %bb.1:
	s_load_dwordx4 s[0:3], s[4:5], 0x0
	s_load_dwordx2 s[16:17], s[4:5], 0x10
	s_mov_b64 s[8:9], -1
	s_mov_b64 s[18:19], -1
	s_waitcnt lgkmcnt(0)
	s_cmp_eq_u64 s[2:3], 0
	s_cbranch_scc1 .LBB258_3
; %bb.2:
	v_ashrrev_i32_e32 v1, 31, v16
	v_mov_b32_e32 v3, s3
	v_add_co_u32_e32 v2, vcc, s2, v16
	v_addc_co_u32_e32 v3, vcc, v3, v1, vcc
	global_load_ubyte v1, v[2:3], off
	s_waitcnt vmcnt(0)
	v_and_b32_e32 v1, 1, v1
	v_cmp_eq_u32_e32 vcc, 1, v1
	s_xor_b64 s[2:3], vcc, -1
	s_orn2_b64 s[18:19], s[2:3], exec
.LBB258_3:
	v_lshlrev_b32_e32 v2, 4, v16
	v_ashrrev_i32_e32 v3, 31, v2
	v_lshlrev_b64 v[2:3], 1, v[2:3]
	v_mov_b32_e32 v1, s1
	v_add_co_u32_e32 v2, vcc, s0, v2
	v_and_b32_e32 v17, 1, v0
	v_addc_co_u32_e32 v1, vcc, v1, v3, vcc
	v_lshlrev_b32_e32 v0, 4, v17
	v_add_co_u32_e32 v0, vcc, v2, v0
	v_addc_co_u32_e32 v1, vcc, 0, v1, vcc
	global_load_dwordx4 v[0:3], v[0:1], off
	v_mov_b32_e32 v8, 0x207
	s_load_dwordx2 s[10:11], s[4:5], 0x40
	v_lshlrev_b32_e32 v18, 3, v17
	s_waitcnt lgkmcnt(0)
	s_cmp_eq_u64 s[10:11], 0
	s_waitcnt vmcnt(0)
	v_cvt_f32_f16_e32 v4, v0
	v_cvt_f32_f16_sdwa v0, v0 dst_sel:DWORD dst_unused:UNUSED_PAD src0_sel:WORD_1
	v_cvt_f32_f16_e32 v5, v1
	v_cvt_f32_f16_sdwa v1, v1 dst_sel:DWORD dst_unused:UNUSED_PAD src0_sel:WORD_1
	v_mul_f32_e32 v4, 0xbfb8aa3b, v4
	v_mul_f32_e32 v9, 0xbfb8aa3b, v0
	v_cvt_f32_f16_e32 v6, v2
	v_cvt_f32_f16_sdwa v2, v2 dst_sel:DWORD dst_unused:UNUSED_PAD src0_sel:WORD_1
	v_cvt_f32_f16_e32 v7, v3
	v_cvt_f32_f16_sdwa v3, v3 dst_sel:DWORD dst_unused:UNUSED_PAD src0_sel:WORD_1
	v_mul_f32_e32 v10, 0xbfb8aa3b, v1
	v_exp_f32_e32 v0, v4
	v_exp_f32_e32 v1, v9
	v_mul_f32_e32 v5, 0xbfb8aa3b, v5
	v_mul_f32_e32 v11, 0xbfb8aa3b, v2
	;; [unrolled: 1-line block ×3, first 2 shown]
	v_exp_f32_e32 v2, v5
	v_exp_f32_e32 v3, v10
	v_pk_add_f32 v[0:1], v[0:1], 1.0 op_sel_hi:[1,0]
	v_div_scale_f32 v9, s[0:1], v1, v1, 1.0
	v_rcp_f32_e32 v21, v9
	v_exp_f32_e32 v5, v11
	v_div_scale_f32 v11, s[0:1], v0, v0, 1.0
	v_pk_add_f32 v[2:3], v[2:3], 1.0 op_sel_hi:[1,0]
	v_rcp_f32_e32 v22, v11
	v_div_scale_f32 v13, s[2:3], v3, v3, 1.0
	v_rcp_f32_e32 v23, v13
	v_fma_f32 v26, -v9, v21, 1.0
	v_div_scale_f32 v10, vcc, 1.0, v1, 1.0
	v_div_scale_f32 v15, s[6:7], v2, v2, 1.0
	v_fmac_f32_e32 v21, v26, v21
	v_mul_f32_e32 v6, 0xbfb8aa3b, v6
	v_mul_f32_e32 v7, 0xbfb8aa3b, v7
	v_rcp_f32_e32 v24, v15
	v_fma_f32 v27, -v11, v22, 1.0
	v_mul_f32_e32 v26, v10, v21
	v_exp_f32_e32 v4, v6
	v_exp_f32_e32 v6, v7
	;; [unrolled: 1-line block ×3, first 2 shown]
	v_div_scale_f32 v12, s[0:1], 1.0, v0, 1.0
	v_fmac_f32_e32 v22, v27, v22
	v_fma_f32 v30, -v9, v26, v10
	v_fma_f32 v28, -v13, v23, 1.0
	v_mul_f32_e32 v27, v12, v22
	v_fmac_f32_e32 v26, v30, v21
	v_div_scale_f32 v14, s[2:3], 1.0, v3, 1.0
	v_fmac_f32_e32 v23, v28, v23
	v_fma_f32 v31, -v11, v27, v12
	v_fma_f32 v9, -v9, v26, v10
	v_fma_f32 v29, -v15, v24, 1.0
	v_mul_f32_e32 v28, v14, v23
	v_fmac_f32_e32 v27, v31, v22
	v_div_fmas_f32 v9, v9, v21, v26
	v_div_scale_f32 v19, s[6:7], 1.0, v2, 1.0
	v_fmac_f32_e32 v24, v29, v24
	v_fma_f32 v32, -v13, v28, v14
	v_fma_f32 v10, -v11, v27, v12
	v_div_fixup_f32 v1, v9, v1, 1.0
	s_mov_b64 vcc, s[0:1]
	v_pk_add_f32 v[4:5], v[4:5], 1.0 op_sel_hi:[1,0]
	v_mul_f32_e32 v29, v19, v24
	v_fmac_f32_e32 v28, v32, v23
	v_div_fmas_f32 v9, v10, v22, v27
	v_cmp_class_f32_e32 vcc, v1, v8
	v_div_scale_f32 v20, s[12:13], v5, v5, 1.0
	v_fma_f32 v33, -v15, v29, v19
	v_fma_f32 v11, -v13, v28, v14
	v_div_fixup_f32 v0, v9, v0, 1.0
	v_cndmask_b32_e64 v1, v1, 0, vcc
	s_mov_b64 vcc, s[2:3]
	v_rcp_f32_e32 v25, v20
	v_fmac_f32_e32 v29, v33, v24
	v_div_fmas_f32 v9, v11, v23, v28
	v_cmp_class_f32_e32 vcc, v0, v8
	v_fma_f32 v12, -v15, v29, v19
	v_cndmask_b32_e64 v0, v0, 0, vcc
	s_mov_b64 vcc, s[6:7]
	v_div_fixup_f32 v3, v9, v3, 1.0
	v_div_fmas_f32 v9, v12, v24, v29
	v_div_fixup_f32 v2, v9, v2, 1.0
	v_cmp_class_f32_e32 vcc, v3, v8
	v_cndmask_b32_e64 v3, v3, 0, vcc
	v_cmp_class_f32_e32 vcc, v2, v8
	v_fma_f32 v9, -v20, v25, 1.0
	v_cndmask_b32_e64 v2, v2, 0, vcc
	v_fmac_f32_e32 v25, v9, v25
	v_div_scale_f32 v9, vcc, 1.0, v5, 1.0
	v_mul_f32_e32 v10, v9, v25
	v_fma_f32 v11, -v20, v10, v9
	v_fmac_f32_e32 v10, v11, v25
	v_div_scale_f32 v11, s[0:1], v4, v4, 1.0
	v_rcp_f32_e32 v12, v11
	v_fma_f32 v9, -v20, v10, v9
	v_div_fmas_f32 v9, v9, v25, v10
	v_div_fixup_f32 v5, v9, v5, 1.0
	v_fma_f32 v9, -v11, v12, 1.0
	v_fmac_f32_e32 v12, v9, v12
	v_div_scale_f32 v9, vcc, 1.0, v4, 1.0
	v_mul_f32_e32 v10, v9, v12
	v_fma_f32 v13, -v11, v10, v9
	v_fmac_f32_e32 v10, v13, v12
	v_fma_f32 v9, -v11, v10, v9
	v_div_fmas_f32 v9, v9, v12, v10
	v_pk_add_f32 v[6:7], v[6:7], 1.0 op_sel_hi:[1,0]
	v_div_fixup_f32 v4, v9, v4, 1.0
	v_div_scale_f32 v9, s[0:1], v7, v7, 1.0
	v_rcp_f32_e32 v10, v9
	v_cmp_class_f32_e32 vcc, v5, v8
	v_cndmask_b32_e64 v5, v5, 0, vcc
	v_cmp_class_f32_e32 vcc, v4, v8
	v_fma_f32 v11, -v9, v10, 1.0
	v_cndmask_b32_e64 v4, v4, 0, vcc
	v_fmac_f32_e32 v10, v11, v10
	v_div_scale_f32 v11, vcc, 1.0, v7, 1.0
	v_mul_f32_e32 v12, v11, v10
	v_fma_f32 v13, -v9, v12, v11
	v_fmac_f32_e32 v12, v13, v10
	v_fma_f32 v9, -v9, v12, v11
	v_div_scale_f32 v11, s[0:1], v6, v6, 1.0
	v_rcp_f32_e32 v13, v11
	v_div_fmas_f32 v9, v9, v10, v12
	v_div_fixup_f32 v7, v9, v7, 1.0
	v_fma_f32 v9, -v11, v13, 1.0
	v_fmac_f32_e32 v13, v9, v13
	v_div_scale_f32 v9, vcc, 1.0, v6, 1.0
	v_mul_f32_e32 v10, v9, v13
	v_fma_f32 v12, -v11, v10, v9
	v_fmac_f32_e32 v10, v12, v13
	v_fma_f32 v9, -v11, v10, v9
	v_div_fmas_f32 v9, v9, v13, v10
	v_div_fixup_f32 v6, v9, v6, 1.0
	v_cmp_class_f32_e32 vcc, v7, v8
	v_cndmask_b32_e64 v7, v7, 0, vcc
	v_cmp_class_f32_e32 vcc, v6, v8
	v_cndmask_b32_e64 v6, v6, 0, vcc
	s_cbranch_scc1 .LBB258_19
; %bb.4:
	v_lshlrev_b32_e32 v19, 2, v18
	global_load_dwordx4 v[8:11], v19, s[10:11]
	global_load_dwordx4 v[12:15], v19, s[10:11] offset:16
	s_waitcnt vmcnt(1)
	v_pk_add_f32 v[8:9], v[8:9], v[0:1]
	v_pk_add_f32 v[10:11], v[10:11], v[2:3]
	s_waitcnt vmcnt(0)
	v_pk_add_f32 v[12:13], v[12:13], v[4:5]
	v_pk_add_f32 v[14:15], v[14:15], v[6:7]
	s_cbranch_execnz .LBB258_6
.LBB258_5:
	v_pk_mov_b32 v[14:15], v[6:7], v[6:7] op_sel:[0,1]
	v_pk_mov_b32 v[12:13], v[4:5], v[4:5] op_sel:[0,1]
	;; [unrolled: 1-line block ×4, first 2 shown]
.LBB258_6:
	s_load_dwordx4 s[8:11], s[4:5], 0x30
	s_mov_b32 s25, 0
	v_cmp_eq_u32_e64 s[0:1], 0, v17
	s_waitcnt lgkmcnt(0)
	s_bitcmp1_b32 s11, 0
	s_cselect_b64 vcc, -1, 0
	s_cmp_gt_i32 s8, 0
	s_cselect_b64 s[6:7], -1, 0
	s_cmp_lt_i32 s8, 1
	s_cbranch_scc1 .LBB258_20
; %bb.7:
	v_mbcnt_lo_u32_b32 v19, -1, 0
	v_mbcnt_hi_u32_b32 v19, -1, v19
	s_load_dwordx4 s[12:15], s[4:5], 0x20
	v_and_b32_e32 v21, 0x7e, v19
	v_xor_b32_e32 v20, 1, v19
	v_add_u32_e32 v21, 2, v21
	v_cmp_lt_i32_e64 s[2:3], v20, v21
	v_cndmask_b32_e64 v19, v19, v20, s[2:3]
	v_lshlrev_b32_e32 v20, 2, v19
	v_mul_lo_u32 v21, v16, s8
	v_mov_b32_e32 v19, 0
	v_mov_b32_e32 v22, 0xc61c4000
	;; [unrolled: 1-line block ×3, first 2 shown]
	s_branch .LBB258_10
.LBB258_8:                              ;   in Loop: Header=BB258_10 Depth=1
	s_or_b64 exec, exec, s[4:5]
.LBB258_9:                              ;   in Loop: Header=BB258_10 Depth=1
	s_cmp_eq_u32 s8, s25
	v_add_u32_e32 v23, s24, v23
	s_cbranch_scc1 .LBB258_21
.LBB258_10:                             ; =>This Inner Loop Header: Depth=1
	v_cmp_gt_f32_e64 s[2:3], v9, v8
	v_cndmask_b32_e64 v26, v8, v9, s[2:3]
	v_cndmask_b32_e64 v24, 0, 1, s[2:3]
	v_cndmask_b32_e64 v25, v0, v1, s[2:3]
	v_cmp_gt_f32_e64 s[2:3], v10, v26
	v_cndmask_b32_e64 v26, v26, v10, s[2:3]
	v_cndmask_b32_e64 v24, v24, 2, s[2:3]
	v_cndmask_b32_e64 v25, v25, v2, s[2:3]
	;; [unrolled: 4-line block ×6, first 2 shown]
	v_cmp_gt_f32_e64 s[2:3], v15, v26
	v_cndmask_b32_e64 v24, v24, 7, s[2:3]
	v_cndmask_b32_e64 v28, v26, v15, s[2:3]
	v_or_b32_e32 v24, v18, v24
	v_cndmask_b32_e64 v25, v25, v7, s[2:3]
	ds_bpermute_b32 v29, v20, v28
	ds_bpermute_b32 v26, v20, v25
	;; [unrolled: 1-line block ×3, first 2 shown]
	s_waitcnt lgkmcnt(0)
	v_cmp_lt_f32_e64 s[20:21], v28, v29
	v_cmp_nlt_f32_e64 s[2:3], v28, v29
	s_and_saveexec_b64 s[22:23], s[2:3]
	s_cbranch_execnz .LBB258_14
; %bb.11:                               ;   in Loop: Header=BB258_10 Depth=1
	s_or_b64 exec, exec, s[22:23]
	s_and_saveexec_b64 s[2:3], s[20:21]
	s_cbranch_execnz .LBB258_15
.LBB258_12:                             ;   in Loop: Header=BB258_10 Depth=1
	s_or_b64 exec, exec, s[2:3]
	s_and_saveexec_b64 s[20:21], s[0:1]
	s_cbranch_execnz .LBB258_16
.LBB258_13:                             ;   in Loop: Header=BB258_10 Depth=1
	s_or_b64 exec, exec, s[20:21]
	s_add_i32 s25, s25, 1
	s_cmp_ge_i32 s25, s8
	s_cbranch_scc1 .LBB258_9
	s_branch .LBB258_17
.LBB258_14:                             ;   in Loop: Header=BB258_10 Depth=1
	v_cmp_eq_f32_e64 s[2:3], v28, v29
	v_cmp_lt_i32_e64 s[4:5], v27, v24
	s_and_b64 s[2:3], s[2:3], s[4:5]
	s_andn2_b64 s[4:5], s[20:21], exec
	s_and_b64 s[2:3], s[2:3], exec
	s_or_b64 s[20:21], s[4:5], s[2:3]
	s_or_b64 exec, exec, s[22:23]
	s_and_saveexec_b64 s[2:3], s[20:21]
	s_cbranch_execz .LBB258_12
.LBB258_15:                             ;   in Loop: Header=BB258_10 Depth=1
	v_mov_b32_e32 v24, v27
	v_mov_b32_e32 v25, v26
	s_or_b64 exec, exec, s[2:3]
	s_and_saveexec_b64 s[20:21], s[0:1]
	s_cbranch_execz .LBB258_13
.LBB258_16:                             ;   in Loop: Header=BB258_10 Depth=1
	v_add_u32_e32 v26, s25, v21
	v_ashrrev_i32_e32 v27, 31, v26
	v_cmp_le_i32_e64 s[2:3], s9, v24
	v_cmp_gt_i32_e64 s[4:5], s10, v24
	v_lshlrev_b64 v[26:27], 2, v[26:27]
	s_and_b64 s[4:5], s[2:3], s[4:5]
	v_mov_b32_e32 v29, s17
	v_add_co_u32_e64 v28, s[2:3], s16, v26
	v_addc_co_u32_e64 v29, s[2:3], v29, v27, s[2:3]
	global_store_dword v[28:29], v25, off
	v_subrev_u32_e32 v28, s9, v24
	s_and_b64 s[2:3], s[18:19], s[4:5]
	v_cndmask_b32_e64 v30, 16, v28, s[2:3]
	v_mov_b32_e32 v29, s13
	v_add_co_u32_e64 v28, s[2:3], s12, v26
	v_addc_co_u32_e64 v29, s[2:3], v29, v27, s[2:3]
	global_store_dword v[28:29], v30, off
	v_mov_b32_e32 v28, s15
	v_add_co_u32_e64 v26, s[2:3], s14, v26
	v_add_f32_e32 v25, v19, v25
	v_addc_co_u32_e64 v27, s[2:3], v28, v27, s[2:3]
	v_cndmask_b32_e32 v19, v19, v25, vcc
	global_store_dword v[26:27], v23, off
	s_or_b64 exec, exec, s[20:21]
	s_add_i32 s25, s25, 1
	s_cmp_ge_i32 s25, s8
	s_cbranch_scc1 .LBB258_9
.LBB258_17:                             ;   in Loop: Header=BB258_10 Depth=1
	v_ashrrev_i32_e32 v26, 31, v24
	v_lshrrev_b32_e32 v25, 29, v26
	v_add_u32_e32 v27, v24, v25
	v_ashrrev_i32_e32 v25, 3, v27
	v_lshrrev_b32_e32 v27, 31, v27
	v_add_u32_e32 v27, v25, v27
	v_and_b32_e32 v27, -2, v27
	v_sub_u32_e32 v27, v25, v27
	v_cmp_eq_u32_e64 s[2:3], v17, v27
	s_and_saveexec_b64 s[4:5], s[2:3]
	s_cbranch_execz .LBB258_8
; %bb.18:                               ;   in Loop: Header=BB258_10 Depth=1
	v_lshrrev_b32_e32 v26, 28, v26
	v_add_u32_e32 v26, v24, v26
	v_lshlrev_b32_e32 v25, 3, v25
	v_ashrrev_i32_e32 v26, 4, v26
	v_sub_u32_e32 v24, v24, v25
	v_lshl_add_u32 v24, v26, 3, v24
	v_cmp_ne_u32_e64 s[2:3], 7, v24
	v_cndmask_b32_e64 v15, v22, v15, s[2:3]
	v_cmp_ne_u32_e64 s[2:3], 6, v24
	v_cndmask_b32_e64 v14, v22, v14, s[2:3]
	;; [unrolled: 2-line block ×8, first 2 shown]
	s_branch .LBB258_8
.LBB258_19:
                                        ; implicit-def: $vgpr8_vgpr9_vgpr10_vgpr11_vgpr12_vgpr13_vgpr14_vgpr15
	s_andn2_b64 vcc, exec, s[8:9]
	s_cbranch_vccz .LBB258_5
	s_branch .LBB258_6
.LBB258_20:
	v_mov_b32_e32 v19, 0
.LBB258_21:
	v_cmp_eq_u32_e64 s[0:1], 0, v17
	s_and_b64 s[0:1], s[0:1], vcc
	s_and_b64 exec, exec, s[0:1]
	s_cbranch_execz .LBB258_30
; %bb.22:
	s_andn2_b64 vcc, exec, s[6:7]
	s_cbranch_vccnz .LBB258_30
; %bb.23:
	v_cmp_lt_f32_e32 vcc, 0, v19
	s_mov_b32 s2, 0
	v_cndmask_b32_e32 v0, 1.0, v19, vcc
	v_mul_lo_u32 v4, v16, s8
	s_cmp_eq_u32 s8, 1
	s_mov_b64 s[0:1], -1
	s_cbranch_scc1 .LBB258_27
; %bb.24:
	s_and_b32 s2, s8, 0x7ffffffe
	v_mov_b32_e32 v1, v0
	v_mov_b32_e32 v5, s17
	s_mov_b32 s3, s2
	v_mov_b32_e32 v2, v4
.LBB258_25:                             ; =>This Inner Loop Header: Depth=1
	v_ashrrev_i32_e32 v3, 31, v2
	v_lshlrev_b64 v[6:7], 2, v[2:3]
	v_add_co_u32_e32 v6, vcc, s16, v6
	v_addc_co_u32_e32 v7, vcc, v5, v7, vcc
	global_load_dwordx2 v[8:9], v[6:7], off
	s_add_i32 s3, s3, -2
	s_cmp_lg_u32 s3, 0
	v_add_u32_e32 v2, 2, v2
	s_waitcnt vmcnt(0)
	v_div_scale_f32 v3, s[0:1], v1, v1, v9
	v_div_scale_f32 v11, s[0:1], v0, v0, v8
	v_rcp_f32_e32 v12, v3
	v_rcp_f32_e32 v13, v11
	v_div_scale_f32 v10, vcc, v9, v1, v9
	v_fma_f32 v15, -v3, v12, 1.0
	v_fma_f32 v16, -v11, v13, 1.0
	v_fmac_f32_e32 v12, v15, v12
	v_div_scale_f32 v14, s[0:1], v8, v0, v8
	v_fmac_f32_e32 v13, v16, v13
	v_mul_f32_e32 v15, v10, v12
	v_mul_f32_e32 v16, v14, v13
	v_fma_f32 v17, -v3, v15, v10
	v_fma_f32 v18, -v11, v16, v14
	v_fmac_f32_e32 v15, v17, v12
	v_fmac_f32_e32 v16, v18, v13
	v_fma_f32 v3, -v3, v15, v10
	v_fma_f32 v10, -v11, v16, v14
	v_div_fmas_f32 v3, v3, v12, v15
	s_mov_b64 vcc, s[0:1]
	v_div_fixup_f32 v9, v3, v1, v9
	v_div_fmas_f32 v3, v10, v13, v16
	v_div_fixup_f32 v8, v3, v0, v8
	global_store_dwordx2 v[6:7], v[8:9], off
	s_cbranch_scc1 .LBB258_25
; %bb.26:
	s_cmp_lg_u32 s2, s8
	s_cselect_b64 s[0:1], -1, 0
.LBB258_27:
	s_and_b64 vcc, exec, s[0:1]
	s_cbranch_vccz .LBB258_30
; %bb.28:
	v_ashrrev_i32_e32 v1, 31, v4
	v_add_co_u32_e32 v2, vcc, s2, v4
	v_addc_co_u32_e32 v3, vcc, 0, v1, vcc
	v_lshlrev_b64 v[2:3], 2, v[2:3]
	v_mov_b32_e32 v1, s17
	v_add_co_u32_e32 v2, vcc, s16, v2
	s_sub_i32 s0, s8, s2
	v_addc_co_u32_e32 v3, vcc, v1, v3, vcc
.LBB258_29:                             ; =>This Inner Loop Header: Depth=1
	global_load_dword v1, v[2:3], off
	s_add_i32 s0, s0, -1
	s_cmp_lg_u32 s0, 0
	s_waitcnt vmcnt(0)
	v_div_scale_f32 v4, s[2:3], v0, v0, v1
	v_rcp_f32_e32 v5, v4
	v_div_scale_f32 v6, vcc, v1, v0, v1
	v_fma_f32 v7, -v4, v5, 1.0
	v_fmac_f32_e32 v5, v7, v5
	v_mul_f32_e32 v7, v6, v5
	v_fma_f32 v8, -v4, v7, v6
	v_fmac_f32_e32 v7, v8, v5
	v_fma_f32 v4, -v4, v7, v6
	v_div_fmas_f32 v4, v4, v5, v7
	v_div_fixup_f32 v1, v4, v0, v1
	global_store_dword v[2:3], v1, off
	v_add_co_u32_e32 v2, vcc, 4, v2
	v_addc_co_u32_e32 v3, vcc, 0, v3, vcc
	s_cbranch_scc1 .LBB258_29
.LBB258_30:
	s_endpgm
	.section	.rodata,"a",@progbits
	.p2align	6, 0x0
	.amdhsa_kernel _ZN4vllm3moe10topkGatingILi8ELi16ELi4ELi16ELi32Ei6__halfLNS0_11ScoringFuncE1EEEvPKT5_PKbPfiPT4_PiiiibPKf
		.amdhsa_group_segment_fixed_size 0
		.amdhsa_private_segment_fixed_size 0
		.amdhsa_kernarg_size 72
		.amdhsa_user_sgpr_count 6
		.amdhsa_user_sgpr_private_segment_buffer 1
		.amdhsa_user_sgpr_dispatch_ptr 0
		.amdhsa_user_sgpr_queue_ptr 0
		.amdhsa_user_sgpr_kernarg_segment_ptr 1
		.amdhsa_user_sgpr_dispatch_id 0
		.amdhsa_user_sgpr_flat_scratch_init 0
		.amdhsa_user_sgpr_kernarg_preload_length 0
		.amdhsa_user_sgpr_kernarg_preload_offset 0
		.amdhsa_user_sgpr_private_segment_size 0
		.amdhsa_uses_dynamic_stack 0
		.amdhsa_system_sgpr_private_segment_wavefront_offset 0
		.amdhsa_system_sgpr_workgroup_id_x 1
		.amdhsa_system_sgpr_workgroup_id_y 0
		.amdhsa_system_sgpr_workgroup_id_z 0
		.amdhsa_system_sgpr_workgroup_info 0
		.amdhsa_system_vgpr_workitem_id 1
		.amdhsa_next_free_vgpr 34
		.amdhsa_next_free_sgpr 26
		.amdhsa_accum_offset 36
		.amdhsa_reserve_vcc 1
		.amdhsa_reserve_flat_scratch 0
		.amdhsa_float_round_mode_32 0
		.amdhsa_float_round_mode_16_64 0
		.amdhsa_float_denorm_mode_32 3
		.amdhsa_float_denorm_mode_16_64 3
		.amdhsa_dx10_clamp 1
		.amdhsa_ieee_mode 1
		.amdhsa_fp16_overflow 0
		.amdhsa_tg_split 0
		.amdhsa_exception_fp_ieee_invalid_op 0
		.amdhsa_exception_fp_denorm_src 0
		.amdhsa_exception_fp_ieee_div_zero 0
		.amdhsa_exception_fp_ieee_overflow 0
		.amdhsa_exception_fp_ieee_underflow 0
		.amdhsa_exception_fp_ieee_inexact 0
		.amdhsa_exception_int_div_zero 0
	.end_amdhsa_kernel
	.section	.text._ZN4vllm3moe10topkGatingILi8ELi16ELi4ELi16ELi32Ei6__halfLNS0_11ScoringFuncE1EEEvPKT5_PKbPfiPT4_PiiiibPKf,"axG",@progbits,_ZN4vllm3moe10topkGatingILi8ELi16ELi4ELi16ELi32Ei6__halfLNS0_11ScoringFuncE1EEEvPKT5_PKbPfiPT4_PiiiibPKf,comdat
.Lfunc_end258:
	.size	_ZN4vllm3moe10topkGatingILi8ELi16ELi4ELi16ELi32Ei6__halfLNS0_11ScoringFuncE1EEEvPKT5_PKbPfiPT4_PiiiibPKf, .Lfunc_end258-_ZN4vllm3moe10topkGatingILi8ELi16ELi4ELi16ELi32Ei6__halfLNS0_11ScoringFuncE1EEEvPKT5_PKbPfiPT4_PiiiibPKf
                                        ; -- End function
	.section	.AMDGPU.csdata,"",@progbits
; Kernel info:
; codeLenInByte = 2564
; NumSgprs: 30
; NumVgprs: 34
; NumAgprs: 0
; TotalNumVgprs: 34
; ScratchSize: 0
; MemoryBound: 0
; FloatMode: 240
; IeeeMode: 1
; LDSByteSize: 0 bytes/workgroup (compile time only)
; SGPRBlocks: 3
; VGPRBlocks: 4
; NumSGPRsForWavesPerEU: 30
; NumVGPRsForWavesPerEU: 34
; AccumOffset: 36
; Occupancy: 8
; WaveLimiterHint : 0
; COMPUTE_PGM_RSRC2:SCRATCH_EN: 0
; COMPUTE_PGM_RSRC2:USER_SGPR: 6
; COMPUTE_PGM_RSRC2:TRAP_HANDLER: 0
; COMPUTE_PGM_RSRC2:TGID_X_EN: 1
; COMPUTE_PGM_RSRC2:TGID_Y_EN: 0
; COMPUTE_PGM_RSRC2:TGID_Z_EN: 0
; COMPUTE_PGM_RSRC2:TIDIG_COMP_CNT: 1
; COMPUTE_PGM_RSRC3_GFX90A:ACCUM_OFFSET: 8
; COMPUTE_PGM_RSRC3_GFX90A:TG_SPLIT: 0
	.section	.text._ZN4vllm3moe10topkGatingILi8ELi32ELi4ELi16ELi64Ei6__halfLNS0_11ScoringFuncE1EEEvPKT5_PKbPfiPT4_PiiiibPKf,"axG",@progbits,_ZN4vllm3moe10topkGatingILi8ELi32ELi4ELi16ELi64Ei6__halfLNS0_11ScoringFuncE1EEEvPKT5_PKbPfiPT4_PiiiibPKf,comdat
	.protected	_ZN4vllm3moe10topkGatingILi8ELi32ELi4ELi16ELi64Ei6__halfLNS0_11ScoringFuncE1EEEvPKT5_PKbPfiPT4_PiiiibPKf ; -- Begin function _ZN4vllm3moe10topkGatingILi8ELi32ELi4ELi16ELi64Ei6__halfLNS0_11ScoringFuncE1EEEvPKT5_PKbPfiPT4_PiiiibPKf
	.globl	_ZN4vllm3moe10topkGatingILi8ELi32ELi4ELi16ELi64Ei6__halfLNS0_11ScoringFuncE1EEEvPKT5_PKbPfiPT4_PiiiibPKf
	.p2align	8
	.type	_ZN4vllm3moe10topkGatingILi8ELi32ELi4ELi16ELi64Ei6__halfLNS0_11ScoringFuncE1EEEvPKT5_PKbPfiPT4_PiiiibPKf,@function
_ZN4vllm3moe10topkGatingILi8ELi32ELi4ELi16ELi64Ei6__halfLNS0_11ScoringFuncE1EEEvPKT5_PKbPfiPT4_PiiiibPKf: ; @_ZN4vllm3moe10topkGatingILi8ELi32ELi4ELi16ELi64Ei6__halfLNS0_11ScoringFuncE1EEEvPKT5_PKbPfiPT4_PiiiibPKf
; %bb.0:
	s_load_dword s24, s[4:5], 0x18
	v_bfe_u32 v1, v0, 10, 10
	v_and_b32_e32 v0, 0x3ff, v0
	s_lshl_b32 s0, s6, 6
	v_lshlrev_b32_e32 v1, 4, v1
	v_lshrrev_b32_e32 v2, 2, v0
	v_add3_u32 v16, s0, v1, v2
	s_waitcnt lgkmcnt(0)
	v_cmp_gt_i32_e32 vcc, s24, v16
	s_and_saveexec_b64 s[0:1], vcc
	s_cbranch_execz .LBB259_34
; %bb.1:
	s_load_dwordx4 s[0:3], s[4:5], 0x0
	s_load_dwordx2 s[16:17], s[4:5], 0x10
	s_mov_b64 s[8:9], -1
	s_mov_b64 s[18:19], -1
	s_waitcnt lgkmcnt(0)
	s_cmp_eq_u64 s[2:3], 0
	s_cbranch_scc1 .LBB259_3
; %bb.2:
	v_ashrrev_i32_e32 v1, 31, v16
	v_mov_b32_e32 v3, s3
	v_add_co_u32_e32 v2, vcc, s2, v16
	v_addc_co_u32_e32 v3, vcc, v3, v1, vcc
	global_load_ubyte v1, v[2:3], off
	s_waitcnt vmcnt(0)
	v_and_b32_e32 v1, 1, v1
	v_cmp_eq_u32_e32 vcc, 1, v1
	s_xor_b64 s[2:3], vcc, -1
	s_orn2_b64 s[18:19], s[2:3], exec
.LBB259_3:
	v_lshlrev_b32_e32 v2, 5, v16
	v_ashrrev_i32_e32 v3, 31, v2
	v_lshlrev_b64 v[2:3], 1, v[2:3]
	v_mov_b32_e32 v1, s1
	v_add_co_u32_e32 v2, vcc, s0, v2
	v_and_b32_e32 v17, 3, v0
	v_addc_co_u32_e32 v1, vcc, v1, v3, vcc
	v_lshlrev_b32_e32 v0, 4, v17
	v_add_co_u32_e32 v0, vcc, v2, v0
	v_addc_co_u32_e32 v1, vcc, 0, v1, vcc
	global_load_dwordx4 v[0:3], v[0:1], off
	v_mov_b32_e32 v8, 0x207
	s_load_dwordx2 s[10:11], s[4:5], 0x40
	v_lshlrev_b32_e32 v18, 3, v17
	s_waitcnt lgkmcnt(0)
	s_cmp_eq_u64 s[10:11], 0
	s_waitcnt vmcnt(0)
	v_cvt_f32_f16_e32 v4, v0
	v_cvt_f32_f16_sdwa v0, v0 dst_sel:DWORD dst_unused:UNUSED_PAD src0_sel:WORD_1
	v_cvt_f32_f16_e32 v5, v1
	v_cvt_f32_f16_sdwa v1, v1 dst_sel:DWORD dst_unused:UNUSED_PAD src0_sel:WORD_1
	v_mul_f32_e32 v4, 0xbfb8aa3b, v4
	v_mul_f32_e32 v9, 0xbfb8aa3b, v0
	v_cvt_f32_f16_e32 v6, v2
	v_cvt_f32_f16_sdwa v2, v2 dst_sel:DWORD dst_unused:UNUSED_PAD src0_sel:WORD_1
	v_cvt_f32_f16_e32 v7, v3
	v_cvt_f32_f16_sdwa v3, v3 dst_sel:DWORD dst_unused:UNUSED_PAD src0_sel:WORD_1
	v_mul_f32_e32 v10, 0xbfb8aa3b, v1
	v_exp_f32_e32 v0, v4
	v_exp_f32_e32 v1, v9
	v_mul_f32_e32 v5, 0xbfb8aa3b, v5
	v_mul_f32_e32 v11, 0xbfb8aa3b, v2
	;; [unrolled: 1-line block ×3, first 2 shown]
	v_exp_f32_e32 v2, v5
	v_exp_f32_e32 v3, v10
	v_pk_add_f32 v[0:1], v[0:1], 1.0 op_sel_hi:[1,0]
	v_div_scale_f32 v9, s[0:1], v1, v1, 1.0
	v_rcp_f32_e32 v21, v9
	v_exp_f32_e32 v5, v11
	v_div_scale_f32 v11, s[0:1], v0, v0, 1.0
	v_pk_add_f32 v[2:3], v[2:3], 1.0 op_sel_hi:[1,0]
	v_rcp_f32_e32 v22, v11
	v_div_scale_f32 v13, s[2:3], v3, v3, 1.0
	v_rcp_f32_e32 v23, v13
	v_fma_f32 v26, -v9, v21, 1.0
	v_div_scale_f32 v10, vcc, 1.0, v1, 1.0
	v_div_scale_f32 v15, s[6:7], v2, v2, 1.0
	v_fmac_f32_e32 v21, v26, v21
	v_mul_f32_e32 v6, 0xbfb8aa3b, v6
	v_mul_f32_e32 v7, 0xbfb8aa3b, v7
	v_rcp_f32_e32 v24, v15
	v_fma_f32 v27, -v11, v22, 1.0
	v_mul_f32_e32 v26, v10, v21
	v_exp_f32_e32 v4, v6
	v_exp_f32_e32 v6, v7
	;; [unrolled: 1-line block ×3, first 2 shown]
	v_div_scale_f32 v12, s[0:1], 1.0, v0, 1.0
	v_fmac_f32_e32 v22, v27, v22
	v_fma_f32 v30, -v9, v26, v10
	v_fma_f32 v28, -v13, v23, 1.0
	v_mul_f32_e32 v27, v12, v22
	v_fmac_f32_e32 v26, v30, v21
	v_div_scale_f32 v14, s[2:3], 1.0, v3, 1.0
	v_fmac_f32_e32 v23, v28, v23
	v_fma_f32 v31, -v11, v27, v12
	v_fma_f32 v9, -v9, v26, v10
	v_fma_f32 v29, -v15, v24, 1.0
	v_mul_f32_e32 v28, v14, v23
	v_fmac_f32_e32 v27, v31, v22
	v_div_fmas_f32 v9, v9, v21, v26
	v_div_scale_f32 v19, s[6:7], 1.0, v2, 1.0
	v_fmac_f32_e32 v24, v29, v24
	v_fma_f32 v32, -v13, v28, v14
	v_fma_f32 v10, -v11, v27, v12
	v_div_fixup_f32 v1, v9, v1, 1.0
	s_mov_b64 vcc, s[0:1]
	v_pk_add_f32 v[4:5], v[4:5], 1.0 op_sel_hi:[1,0]
	v_mul_f32_e32 v29, v19, v24
	v_fmac_f32_e32 v28, v32, v23
	v_div_fmas_f32 v9, v10, v22, v27
	v_cmp_class_f32_e32 vcc, v1, v8
	v_div_scale_f32 v20, s[12:13], v5, v5, 1.0
	v_fma_f32 v33, -v15, v29, v19
	v_fma_f32 v11, -v13, v28, v14
	v_div_fixup_f32 v0, v9, v0, 1.0
	v_cndmask_b32_e64 v1, v1, 0, vcc
	s_mov_b64 vcc, s[2:3]
	v_rcp_f32_e32 v25, v20
	v_fmac_f32_e32 v29, v33, v24
	v_div_fmas_f32 v9, v11, v23, v28
	v_cmp_class_f32_e32 vcc, v0, v8
	v_fma_f32 v12, -v15, v29, v19
	v_cndmask_b32_e64 v0, v0, 0, vcc
	s_mov_b64 vcc, s[6:7]
	v_div_fixup_f32 v3, v9, v3, 1.0
	v_div_fmas_f32 v9, v12, v24, v29
	v_div_fixup_f32 v2, v9, v2, 1.0
	v_cmp_class_f32_e32 vcc, v3, v8
	v_cndmask_b32_e64 v3, v3, 0, vcc
	v_cmp_class_f32_e32 vcc, v2, v8
	v_fma_f32 v9, -v20, v25, 1.0
	v_cndmask_b32_e64 v2, v2, 0, vcc
	v_fmac_f32_e32 v25, v9, v25
	v_div_scale_f32 v9, vcc, 1.0, v5, 1.0
	v_mul_f32_e32 v10, v9, v25
	v_fma_f32 v11, -v20, v10, v9
	v_fmac_f32_e32 v10, v11, v25
	v_div_scale_f32 v11, s[0:1], v4, v4, 1.0
	v_rcp_f32_e32 v12, v11
	v_fma_f32 v9, -v20, v10, v9
	v_div_fmas_f32 v9, v9, v25, v10
	v_div_fixup_f32 v5, v9, v5, 1.0
	v_fma_f32 v9, -v11, v12, 1.0
	v_fmac_f32_e32 v12, v9, v12
	v_div_scale_f32 v9, vcc, 1.0, v4, 1.0
	v_mul_f32_e32 v10, v9, v12
	v_fma_f32 v13, -v11, v10, v9
	v_fmac_f32_e32 v10, v13, v12
	v_fma_f32 v9, -v11, v10, v9
	v_div_fmas_f32 v9, v9, v12, v10
	v_pk_add_f32 v[6:7], v[6:7], 1.0 op_sel_hi:[1,0]
	v_div_fixup_f32 v4, v9, v4, 1.0
	v_div_scale_f32 v9, s[0:1], v7, v7, 1.0
	v_rcp_f32_e32 v10, v9
	v_cmp_class_f32_e32 vcc, v5, v8
	v_cndmask_b32_e64 v5, v5, 0, vcc
	v_cmp_class_f32_e32 vcc, v4, v8
	v_fma_f32 v11, -v9, v10, 1.0
	v_cndmask_b32_e64 v4, v4, 0, vcc
	v_fmac_f32_e32 v10, v11, v10
	v_div_scale_f32 v11, vcc, 1.0, v7, 1.0
	v_mul_f32_e32 v12, v11, v10
	v_fma_f32 v13, -v9, v12, v11
	v_fmac_f32_e32 v12, v13, v10
	v_fma_f32 v9, -v9, v12, v11
	v_div_scale_f32 v11, s[0:1], v6, v6, 1.0
	v_rcp_f32_e32 v13, v11
	v_div_fmas_f32 v9, v9, v10, v12
	v_div_fixup_f32 v7, v9, v7, 1.0
	v_fma_f32 v9, -v11, v13, 1.0
	v_fmac_f32_e32 v13, v9, v13
	v_div_scale_f32 v9, vcc, 1.0, v6, 1.0
	v_mul_f32_e32 v10, v9, v13
	v_fma_f32 v12, -v11, v10, v9
	v_fmac_f32_e32 v10, v12, v13
	v_fma_f32 v9, -v11, v10, v9
	v_div_fmas_f32 v9, v9, v13, v10
	v_div_fixup_f32 v6, v9, v6, 1.0
	v_cmp_class_f32_e32 vcc, v7, v8
	v_cndmask_b32_e64 v7, v7, 0, vcc
	v_cmp_class_f32_e32 vcc, v6, v8
	v_cndmask_b32_e64 v6, v6, 0, vcc
	s_cbranch_scc1 .LBB259_23
; %bb.4:
	v_lshlrev_b32_e32 v19, 2, v18
	global_load_dwordx4 v[8:11], v19, s[10:11]
	global_load_dwordx4 v[12:15], v19, s[10:11] offset:16
	s_waitcnt vmcnt(1)
	v_pk_add_f32 v[8:9], v[8:9], v[0:1]
	v_pk_add_f32 v[10:11], v[10:11], v[2:3]
	s_waitcnt vmcnt(0)
	v_pk_add_f32 v[12:13], v[12:13], v[4:5]
	v_pk_add_f32 v[14:15], v[14:15], v[6:7]
	s_cbranch_execnz .LBB259_6
.LBB259_5:
	v_pk_mov_b32 v[14:15], v[6:7], v[6:7] op_sel:[0,1]
	v_pk_mov_b32 v[12:13], v[4:5], v[4:5] op_sel:[0,1]
	;; [unrolled: 1-line block ×4, first 2 shown]
.LBB259_6:
	s_load_dwordx4 s[8:11], s[4:5], 0x30
	s_mov_b32 s25, 0
	v_cmp_eq_u32_e64 s[0:1], 0, v17
	s_waitcnt lgkmcnt(0)
	s_bitcmp1_b32 s11, 0
	s_cselect_b64 vcc, -1, 0
	s_cmp_gt_i32 s8, 0
	s_cselect_b64 s[6:7], -1, 0
	s_cmp_lt_i32 s8, 1
	s_cbranch_scc1 .LBB259_24
; %bb.7:
	v_mbcnt_lo_u32_b32 v19, -1, 0
	v_mbcnt_hi_u32_b32 v19, -1, v19
	v_and_b32_e32 v20, 0x7c, v19
	s_load_dwordx4 s[12:15], s[4:5], 0x20
	v_add_u32_e32 v22, 4, v20
	v_xor_b32_e32 v21, 2, v19
	v_cmp_lt_i32_e64 s[2:3], v21, v22
	v_xor_b32_e32 v23, 1, v19
	v_cndmask_b32_e64 v21, v19, v21, s[2:3]
	v_cmp_lt_i32_e64 s[2:3], v23, v22
	v_cndmask_b32_e64 v19, v19, v23, s[2:3]
	v_mul_lo_u32 v20, v16, s8
	v_lshlrev_b32_e32 v21, 2, v21
	v_lshlrev_b32_e32 v22, 2, v19
	v_mov_b32_e32 v19, 0
	v_mov_b32_e32 v23, 0xc61c4000
	;; [unrolled: 1-line block ×3, first 2 shown]
	s_branch .LBB259_10
.LBB259_8:                              ;   in Loop: Header=BB259_10 Depth=1
	s_or_b64 exec, exec, s[4:5]
.LBB259_9:                              ;   in Loop: Header=BB259_10 Depth=1
	s_cmp_eq_u32 s8, s25
	v_add_u32_e32 v24, s24, v24
	s_cbranch_scc1 .LBB259_25
.LBB259_10:                             ; =>This Inner Loop Header: Depth=1
	v_cmp_gt_f32_e64 s[2:3], v9, v8
	v_cndmask_b32_e64 v27, v8, v9, s[2:3]
	v_cndmask_b32_e64 v25, 0, 1, s[2:3]
	v_cndmask_b32_e64 v26, v0, v1, s[2:3]
	v_cmp_gt_f32_e64 s[2:3], v10, v27
	v_cndmask_b32_e64 v27, v27, v10, s[2:3]
	v_cndmask_b32_e64 v25, v25, 2, s[2:3]
	v_cndmask_b32_e64 v26, v26, v2, s[2:3]
	;; [unrolled: 4-line block ×6, first 2 shown]
	v_cmp_gt_f32_e64 s[2:3], v15, v27
	v_cndmask_b32_e64 v25, v25, 7, s[2:3]
	v_cndmask_b32_e64 v27, v27, v15, s[2:3]
	v_or_b32_e32 v25, v18, v25
	v_cndmask_b32_e64 v26, v26, v7, s[2:3]
	s_waitcnt lgkmcnt(0)
	ds_bpermute_b32 v28, v21, v27
	ds_bpermute_b32 v30, v21, v26
	;; [unrolled: 1-line block ×3, first 2 shown]
	s_waitcnt lgkmcnt(0)
	v_cmp_lt_f32_e64 s[20:21], v27, v28
	v_cmp_nlt_f32_e64 s[2:3], v27, v28
	s_and_saveexec_b64 s[22:23], s[2:3]
; %bb.11:                               ;   in Loop: Header=BB259_10 Depth=1
	v_cmp_eq_f32_e64 s[2:3], v27, v28
	v_cmp_lt_i32_e64 s[4:5], v29, v25
	s_and_b64 s[2:3], s[2:3], s[4:5]
	s_andn2_b64 s[4:5], s[20:21], exec
	s_and_b64 s[2:3], s[2:3], exec
	s_or_b64 s[20:21], s[4:5], s[2:3]
; %bb.12:                               ;   in Loop: Header=BB259_10 Depth=1
	s_or_b64 exec, exec, s[22:23]
	s_and_saveexec_b64 s[2:3], s[20:21]
; %bb.13:                               ;   in Loop: Header=BB259_10 Depth=1
	v_mov_b32_e32 v26, v30
	v_mov_b32_e32 v27, v28
	;; [unrolled: 1-line block ×3, first 2 shown]
; %bb.14:                               ;   in Loop: Header=BB259_10 Depth=1
	s_or_b64 exec, exec, s[2:3]
	ds_bpermute_b32 v30, v22, v27
	ds_bpermute_b32 v28, v22, v26
	;; [unrolled: 1-line block ×3, first 2 shown]
	s_waitcnt lgkmcnt(2)
	v_cmp_lt_f32_e64 s[20:21], v27, v30
	v_cmp_nlt_f32_e64 s[2:3], v27, v30
	s_and_saveexec_b64 s[22:23], s[2:3]
	s_cbranch_execnz .LBB259_18
; %bb.15:                               ;   in Loop: Header=BB259_10 Depth=1
	s_or_b64 exec, exec, s[22:23]
	s_and_saveexec_b64 s[2:3], s[20:21]
	s_cbranch_execnz .LBB259_19
.LBB259_16:                             ;   in Loop: Header=BB259_10 Depth=1
	s_or_b64 exec, exec, s[2:3]
	s_and_saveexec_b64 s[20:21], s[0:1]
	s_cbranch_execnz .LBB259_20
.LBB259_17:                             ;   in Loop: Header=BB259_10 Depth=1
	s_or_b64 exec, exec, s[20:21]
	s_add_i32 s25, s25, 1
	s_cmp_ge_i32 s25, s8
	s_cbranch_scc1 .LBB259_9
	s_branch .LBB259_21
.LBB259_18:                             ;   in Loop: Header=BB259_10 Depth=1
	v_cmp_eq_f32_e64 s[2:3], v27, v30
	s_waitcnt lgkmcnt(0)
	v_cmp_lt_i32_e64 s[4:5], v29, v25
	s_and_b64 s[2:3], s[2:3], s[4:5]
	s_andn2_b64 s[4:5], s[20:21], exec
	s_and_b64 s[2:3], s[2:3], exec
	s_or_b64 s[20:21], s[4:5], s[2:3]
	s_or_b64 exec, exec, s[22:23]
	s_and_saveexec_b64 s[2:3], s[20:21]
	s_cbranch_execz .LBB259_16
.LBB259_19:                             ;   in Loop: Header=BB259_10 Depth=1
	s_waitcnt lgkmcnt(0)
	v_mov_b32_e32 v25, v29
	v_mov_b32_e32 v26, v28
	s_or_b64 exec, exec, s[2:3]
	s_and_saveexec_b64 s[20:21], s[0:1]
	s_cbranch_execz .LBB259_17
.LBB259_20:                             ;   in Loop: Header=BB259_10 Depth=1
	s_waitcnt lgkmcnt(1)
	v_add_u32_e32 v28, s25, v20
	s_waitcnt lgkmcnt(0)
	v_ashrrev_i32_e32 v29, 31, v28
	v_cmp_le_i32_e64 s[2:3], s9, v25
	v_cmp_gt_i32_e64 s[4:5], s10, v25
	v_lshlrev_b64 v[28:29], 2, v[28:29]
	s_and_b64 s[4:5], s[2:3], s[4:5]
	v_mov_b32_e32 v27, s17
	v_add_co_u32_e64 v30, s[2:3], s16, v28
	v_addc_co_u32_e64 v31, s[2:3], v27, v29, s[2:3]
	v_subrev_u32_e32 v27, s9, v25
	s_and_b64 s[2:3], s[18:19], s[4:5]
	global_store_dword v[30:31], v26, off
	v_cndmask_b32_e64 v27, 32, v27, s[2:3]
	v_mov_b32_e32 v31, s13
	v_add_co_u32_e64 v30, s[2:3], s12, v28
	v_addc_co_u32_e64 v31, s[2:3], v31, v29, s[2:3]
	global_store_dword v[30:31], v27, off
	v_mov_b32_e32 v27, s15
	v_add_co_u32_e64 v28, s[2:3], s14, v28
	v_add_f32_e32 v26, v19, v26
	v_addc_co_u32_e64 v29, s[2:3], v27, v29, s[2:3]
	v_cndmask_b32_e32 v19, v19, v26, vcc
	global_store_dword v[28:29], v24, off
	s_or_b64 exec, exec, s[20:21]
	s_add_i32 s25, s25, 1
	s_cmp_ge_i32 s25, s8
	s_cbranch_scc1 .LBB259_9
.LBB259_21:                             ;   in Loop: Header=BB259_10 Depth=1
	v_ashrrev_i32_e32 v27, 31, v25
	v_lshrrev_b32_e32 v26, 29, v27
	v_add_u32_e32 v26, v25, v26
	v_ashrrev_i32_e32 v26, 3, v26
	s_waitcnt lgkmcnt(1)
	v_lshrrev_b32_e32 v28, 30, v26
	v_add_u32_e32 v28, v26, v28
	v_and_b32_e32 v28, -4, v28
	v_sub_u32_e32 v28, v26, v28
	v_cmp_eq_u32_e64 s[2:3], v17, v28
	s_and_saveexec_b64 s[4:5], s[2:3]
	s_cbranch_execz .LBB259_8
; %bb.22:                               ;   in Loop: Header=BB259_10 Depth=1
	v_lshrrev_b32_e32 v27, 27, v27
	v_add_u32_e32 v27, v25, v27
	v_lshlrev_b32_e32 v26, 3, v26
	v_ashrrev_i32_e32 v27, 5, v27
	v_sub_u32_e32 v25, v25, v26
	v_lshl_add_u32 v25, v27, 3, v25
	v_cmp_ne_u32_e64 s[2:3], 7, v25
	v_cndmask_b32_e64 v15, v23, v15, s[2:3]
	v_cmp_ne_u32_e64 s[2:3], 6, v25
	v_cndmask_b32_e64 v14, v23, v14, s[2:3]
	;; [unrolled: 2-line block ×8, first 2 shown]
	s_branch .LBB259_8
.LBB259_23:
                                        ; implicit-def: $vgpr8_vgpr9_vgpr10_vgpr11_vgpr12_vgpr13_vgpr14_vgpr15
	s_andn2_b64 vcc, exec, s[8:9]
	s_cbranch_vccz .LBB259_5
	s_branch .LBB259_6
.LBB259_24:
	v_mov_b32_e32 v19, 0
.LBB259_25:
	v_cmp_eq_u32_e64 s[0:1], 0, v17
	s_and_b64 s[0:1], s[0:1], vcc
	s_and_b64 exec, exec, s[0:1]
	s_cbranch_execz .LBB259_34
; %bb.26:
	s_andn2_b64 vcc, exec, s[6:7]
	s_cbranch_vccnz .LBB259_34
; %bb.27:
	v_cmp_lt_f32_e32 vcc, 0, v19
	s_mov_b32 s2, 0
	v_cndmask_b32_e32 v0, 1.0, v19, vcc
	v_mul_lo_u32 v4, v16, s8
	s_cmp_eq_u32 s8, 1
	s_mov_b64 s[0:1], -1
	s_cbranch_scc1 .LBB259_31
; %bb.28:
	s_and_b32 s2, s8, 0x7ffffffe
	v_mov_b32_e32 v1, v0
	v_mov_b32_e32 v5, s17
	s_mov_b32 s3, s2
	v_mov_b32_e32 v2, v4
.LBB259_29:                             ; =>This Inner Loop Header: Depth=1
	v_ashrrev_i32_e32 v3, 31, v2
	v_lshlrev_b64 v[6:7], 2, v[2:3]
	v_add_co_u32_e32 v6, vcc, s16, v6
	v_addc_co_u32_e32 v7, vcc, v5, v7, vcc
	global_load_dwordx2 v[8:9], v[6:7], off
	s_add_i32 s3, s3, -2
	s_cmp_lg_u32 s3, 0
	v_add_u32_e32 v2, 2, v2
	s_waitcnt vmcnt(0)
	v_div_scale_f32 v3, s[0:1], v1, v1, v9
	v_div_scale_f32 v11, s[0:1], v0, v0, v8
	v_rcp_f32_e32 v12, v3
	v_rcp_f32_e32 v13, v11
	v_div_scale_f32 v10, vcc, v9, v1, v9
	v_fma_f32 v15, -v3, v12, 1.0
	v_fma_f32 v16, -v11, v13, 1.0
	v_fmac_f32_e32 v12, v15, v12
	v_div_scale_f32 v14, s[0:1], v8, v0, v8
	v_fmac_f32_e32 v13, v16, v13
	v_mul_f32_e32 v15, v10, v12
	v_mul_f32_e32 v16, v14, v13
	v_fma_f32 v17, -v3, v15, v10
	v_fma_f32 v18, -v11, v16, v14
	v_fmac_f32_e32 v15, v17, v12
	v_fmac_f32_e32 v16, v18, v13
	v_fma_f32 v3, -v3, v15, v10
	v_fma_f32 v10, -v11, v16, v14
	v_div_fmas_f32 v3, v3, v12, v15
	s_mov_b64 vcc, s[0:1]
	v_div_fixup_f32 v9, v3, v1, v9
	v_div_fmas_f32 v3, v10, v13, v16
	v_div_fixup_f32 v8, v3, v0, v8
	global_store_dwordx2 v[6:7], v[8:9], off
	s_cbranch_scc1 .LBB259_29
; %bb.30:
	s_cmp_lg_u32 s2, s8
	s_cselect_b64 s[0:1], -1, 0
.LBB259_31:
	s_and_b64 vcc, exec, s[0:1]
	s_cbranch_vccz .LBB259_34
; %bb.32:
	v_ashrrev_i32_e32 v1, 31, v4
	v_add_co_u32_e32 v2, vcc, s2, v4
	v_addc_co_u32_e32 v3, vcc, 0, v1, vcc
	v_lshlrev_b64 v[2:3], 2, v[2:3]
	v_mov_b32_e32 v1, s17
	v_add_co_u32_e32 v2, vcc, s16, v2
	s_sub_i32 s0, s8, s2
	v_addc_co_u32_e32 v3, vcc, v1, v3, vcc
.LBB259_33:                             ; =>This Inner Loop Header: Depth=1
	global_load_dword v1, v[2:3], off
	s_add_i32 s0, s0, -1
	s_cmp_lg_u32 s0, 0
	s_waitcnt vmcnt(0)
	v_div_scale_f32 v4, s[2:3], v0, v0, v1
	v_rcp_f32_e32 v5, v4
	v_div_scale_f32 v6, vcc, v1, v0, v1
	v_fma_f32 v7, -v4, v5, 1.0
	v_fmac_f32_e32 v5, v7, v5
	v_mul_f32_e32 v7, v6, v5
	v_fma_f32 v8, -v4, v7, v6
	v_fmac_f32_e32 v7, v8, v5
	v_fma_f32 v4, -v4, v7, v6
	v_div_fmas_f32 v4, v4, v5, v7
	v_div_fixup_f32 v1, v4, v0, v1
	global_store_dword v[2:3], v1, off
	v_add_co_u32_e32 v2, vcc, 4, v2
	v_addc_co_u32_e32 v3, vcc, 0, v3, vcc
	s_cbranch_scc1 .LBB259_33
.LBB259_34:
	s_endpgm
	.section	.rodata,"a",@progbits
	.p2align	6, 0x0
	.amdhsa_kernel _ZN4vllm3moe10topkGatingILi8ELi32ELi4ELi16ELi64Ei6__halfLNS0_11ScoringFuncE1EEEvPKT5_PKbPfiPT4_PiiiibPKf
		.amdhsa_group_segment_fixed_size 0
		.amdhsa_private_segment_fixed_size 0
		.amdhsa_kernarg_size 72
		.amdhsa_user_sgpr_count 6
		.amdhsa_user_sgpr_private_segment_buffer 1
		.amdhsa_user_sgpr_dispatch_ptr 0
		.amdhsa_user_sgpr_queue_ptr 0
		.amdhsa_user_sgpr_kernarg_segment_ptr 1
		.amdhsa_user_sgpr_dispatch_id 0
		.amdhsa_user_sgpr_flat_scratch_init 0
		.amdhsa_user_sgpr_kernarg_preload_length 0
		.amdhsa_user_sgpr_kernarg_preload_offset 0
		.amdhsa_user_sgpr_private_segment_size 0
		.amdhsa_uses_dynamic_stack 0
		.amdhsa_system_sgpr_private_segment_wavefront_offset 0
		.amdhsa_system_sgpr_workgroup_id_x 1
		.amdhsa_system_sgpr_workgroup_id_y 0
		.amdhsa_system_sgpr_workgroup_id_z 0
		.amdhsa_system_sgpr_workgroup_info 0
		.amdhsa_system_vgpr_workitem_id 1
		.amdhsa_next_free_vgpr 34
		.amdhsa_next_free_sgpr 26
		.amdhsa_accum_offset 36
		.amdhsa_reserve_vcc 1
		.amdhsa_reserve_flat_scratch 0
		.amdhsa_float_round_mode_32 0
		.amdhsa_float_round_mode_16_64 0
		.amdhsa_float_denorm_mode_32 3
		.amdhsa_float_denorm_mode_16_64 3
		.amdhsa_dx10_clamp 1
		.amdhsa_ieee_mode 1
		.amdhsa_fp16_overflow 0
		.amdhsa_tg_split 0
		.amdhsa_exception_fp_ieee_invalid_op 0
		.amdhsa_exception_fp_denorm_src 0
		.amdhsa_exception_fp_ieee_div_zero 0
		.amdhsa_exception_fp_ieee_overflow 0
		.amdhsa_exception_fp_ieee_underflow 0
		.amdhsa_exception_fp_ieee_inexact 0
		.amdhsa_exception_int_div_zero 0
	.end_amdhsa_kernel
	.section	.text._ZN4vllm3moe10topkGatingILi8ELi32ELi4ELi16ELi64Ei6__halfLNS0_11ScoringFuncE1EEEvPKT5_PKbPfiPT4_PiiiibPKf,"axG",@progbits,_ZN4vllm3moe10topkGatingILi8ELi32ELi4ELi16ELi64Ei6__halfLNS0_11ScoringFuncE1EEEvPKT5_PKbPfiPT4_PiiiibPKf,comdat
.Lfunc_end259:
	.size	_ZN4vllm3moe10topkGatingILi8ELi32ELi4ELi16ELi64Ei6__halfLNS0_11ScoringFuncE1EEEvPKT5_PKbPfiPT4_PiiiibPKf, .Lfunc_end259-_ZN4vllm3moe10topkGatingILi8ELi32ELi4ELi16ELi64Ei6__halfLNS0_11ScoringFuncE1EEEvPKT5_PKbPfiPT4_PiiiibPKf
                                        ; -- End function
	.section	.AMDGPU.csdata,"",@progbits
; Kernel info:
; codeLenInByte = 2716
; NumSgprs: 30
; NumVgprs: 34
; NumAgprs: 0
; TotalNumVgprs: 34
; ScratchSize: 0
; MemoryBound: 0
; FloatMode: 240
; IeeeMode: 1
; LDSByteSize: 0 bytes/workgroup (compile time only)
; SGPRBlocks: 3
; VGPRBlocks: 4
; NumSGPRsForWavesPerEU: 30
; NumVGPRsForWavesPerEU: 34
; AccumOffset: 36
; Occupancy: 8
; WaveLimiterHint : 0
; COMPUTE_PGM_RSRC2:SCRATCH_EN: 0
; COMPUTE_PGM_RSRC2:USER_SGPR: 6
; COMPUTE_PGM_RSRC2:TRAP_HANDLER: 0
; COMPUTE_PGM_RSRC2:TGID_X_EN: 1
; COMPUTE_PGM_RSRC2:TGID_Y_EN: 0
; COMPUTE_PGM_RSRC2:TGID_Z_EN: 0
; COMPUTE_PGM_RSRC2:TIDIG_COMP_CNT: 1
; COMPUTE_PGM_RSRC3_GFX90A:ACCUM_OFFSET: 8
; COMPUTE_PGM_RSRC3_GFX90A:TG_SPLIT: 0
	.section	.text._ZN4vllm3moe10topkGatingILi8ELi32ELi4ELi16ELi32Ei6__halfLNS0_11ScoringFuncE1EEEvPKT5_PKbPfiPT4_PiiiibPKf,"axG",@progbits,_ZN4vllm3moe10topkGatingILi8ELi32ELi4ELi16ELi32Ei6__halfLNS0_11ScoringFuncE1EEEvPKT5_PKbPfiPT4_PiiiibPKf,comdat
	.protected	_ZN4vllm3moe10topkGatingILi8ELi32ELi4ELi16ELi32Ei6__halfLNS0_11ScoringFuncE1EEEvPKT5_PKbPfiPT4_PiiiibPKf ; -- Begin function _ZN4vllm3moe10topkGatingILi8ELi32ELi4ELi16ELi32Ei6__halfLNS0_11ScoringFuncE1EEEvPKT5_PKbPfiPT4_PiiiibPKf
	.globl	_ZN4vllm3moe10topkGatingILi8ELi32ELi4ELi16ELi32Ei6__halfLNS0_11ScoringFuncE1EEEvPKT5_PKbPfiPT4_PiiiibPKf
	.p2align	8
	.type	_ZN4vllm3moe10topkGatingILi8ELi32ELi4ELi16ELi32Ei6__halfLNS0_11ScoringFuncE1EEEvPKT5_PKbPfiPT4_PiiiibPKf,@function
_ZN4vllm3moe10topkGatingILi8ELi32ELi4ELi16ELi32Ei6__halfLNS0_11ScoringFuncE1EEEvPKT5_PKbPfiPT4_PiiiibPKf: ; @_ZN4vllm3moe10topkGatingILi8ELi32ELi4ELi16ELi32Ei6__halfLNS0_11ScoringFuncE1EEEvPKT5_PKbPfiPT4_PiiiibPKf
; %bb.0:
	s_load_dword s24, s[4:5], 0x18
	v_bfe_u32 v1, v0, 10, 10
	v_and_b32_e32 v0, 0x3ff, v0
	s_lshl_b32 s0, s6, 5
	v_lshlrev_b32_e32 v1, 3, v1
	v_lshrrev_b32_e32 v2, 2, v0
	v_add3_u32 v16, s0, v1, v2
	s_waitcnt lgkmcnt(0)
	v_cmp_gt_i32_e32 vcc, s24, v16
	s_and_saveexec_b64 s[0:1], vcc
	s_cbranch_execz .LBB260_34
; %bb.1:
	s_load_dwordx4 s[0:3], s[4:5], 0x0
	s_load_dwordx2 s[16:17], s[4:5], 0x10
	s_mov_b64 s[8:9], -1
	s_mov_b64 s[18:19], -1
	s_waitcnt lgkmcnt(0)
	s_cmp_eq_u64 s[2:3], 0
	s_cbranch_scc1 .LBB260_3
; %bb.2:
	v_ashrrev_i32_e32 v1, 31, v16
	v_mov_b32_e32 v3, s3
	v_add_co_u32_e32 v2, vcc, s2, v16
	v_addc_co_u32_e32 v3, vcc, v3, v1, vcc
	global_load_ubyte v1, v[2:3], off
	s_waitcnt vmcnt(0)
	v_and_b32_e32 v1, 1, v1
	v_cmp_eq_u32_e32 vcc, 1, v1
	s_xor_b64 s[2:3], vcc, -1
	s_orn2_b64 s[18:19], s[2:3], exec
.LBB260_3:
	v_lshlrev_b32_e32 v2, 5, v16
	v_ashrrev_i32_e32 v3, 31, v2
	v_lshlrev_b64 v[2:3], 1, v[2:3]
	v_mov_b32_e32 v1, s1
	v_add_co_u32_e32 v2, vcc, s0, v2
	v_and_b32_e32 v17, 3, v0
	v_addc_co_u32_e32 v1, vcc, v1, v3, vcc
	v_lshlrev_b32_e32 v0, 4, v17
	v_add_co_u32_e32 v0, vcc, v2, v0
	v_addc_co_u32_e32 v1, vcc, 0, v1, vcc
	global_load_dwordx4 v[0:3], v[0:1], off
	v_mov_b32_e32 v8, 0x207
	s_load_dwordx2 s[10:11], s[4:5], 0x40
	v_lshlrev_b32_e32 v18, 3, v17
	s_waitcnt lgkmcnt(0)
	s_cmp_eq_u64 s[10:11], 0
	s_waitcnt vmcnt(0)
	v_cvt_f32_f16_e32 v4, v0
	v_cvt_f32_f16_sdwa v0, v0 dst_sel:DWORD dst_unused:UNUSED_PAD src0_sel:WORD_1
	v_cvt_f32_f16_e32 v5, v1
	v_cvt_f32_f16_sdwa v1, v1 dst_sel:DWORD dst_unused:UNUSED_PAD src0_sel:WORD_1
	v_mul_f32_e32 v4, 0xbfb8aa3b, v4
	v_mul_f32_e32 v9, 0xbfb8aa3b, v0
	v_cvt_f32_f16_e32 v6, v2
	v_cvt_f32_f16_sdwa v2, v2 dst_sel:DWORD dst_unused:UNUSED_PAD src0_sel:WORD_1
	v_cvt_f32_f16_e32 v7, v3
	v_cvt_f32_f16_sdwa v3, v3 dst_sel:DWORD dst_unused:UNUSED_PAD src0_sel:WORD_1
	v_mul_f32_e32 v10, 0xbfb8aa3b, v1
	v_exp_f32_e32 v0, v4
	v_exp_f32_e32 v1, v9
	v_mul_f32_e32 v5, 0xbfb8aa3b, v5
	v_mul_f32_e32 v11, 0xbfb8aa3b, v2
	;; [unrolled: 1-line block ×3, first 2 shown]
	v_exp_f32_e32 v2, v5
	v_exp_f32_e32 v3, v10
	v_pk_add_f32 v[0:1], v[0:1], 1.0 op_sel_hi:[1,0]
	v_div_scale_f32 v9, s[0:1], v1, v1, 1.0
	v_rcp_f32_e32 v21, v9
	v_exp_f32_e32 v5, v11
	v_div_scale_f32 v11, s[0:1], v0, v0, 1.0
	v_pk_add_f32 v[2:3], v[2:3], 1.0 op_sel_hi:[1,0]
	v_rcp_f32_e32 v22, v11
	v_div_scale_f32 v13, s[2:3], v3, v3, 1.0
	v_rcp_f32_e32 v23, v13
	v_fma_f32 v26, -v9, v21, 1.0
	v_div_scale_f32 v10, vcc, 1.0, v1, 1.0
	v_div_scale_f32 v15, s[6:7], v2, v2, 1.0
	v_fmac_f32_e32 v21, v26, v21
	v_mul_f32_e32 v6, 0xbfb8aa3b, v6
	v_mul_f32_e32 v7, 0xbfb8aa3b, v7
	v_rcp_f32_e32 v24, v15
	v_fma_f32 v27, -v11, v22, 1.0
	v_mul_f32_e32 v26, v10, v21
	v_exp_f32_e32 v4, v6
	v_exp_f32_e32 v6, v7
	;; [unrolled: 1-line block ×3, first 2 shown]
	v_div_scale_f32 v12, s[0:1], 1.0, v0, 1.0
	v_fmac_f32_e32 v22, v27, v22
	v_fma_f32 v30, -v9, v26, v10
	v_fma_f32 v28, -v13, v23, 1.0
	v_mul_f32_e32 v27, v12, v22
	v_fmac_f32_e32 v26, v30, v21
	v_div_scale_f32 v14, s[2:3], 1.0, v3, 1.0
	v_fmac_f32_e32 v23, v28, v23
	v_fma_f32 v31, -v11, v27, v12
	v_fma_f32 v9, -v9, v26, v10
	v_fma_f32 v29, -v15, v24, 1.0
	v_mul_f32_e32 v28, v14, v23
	v_fmac_f32_e32 v27, v31, v22
	v_div_fmas_f32 v9, v9, v21, v26
	v_div_scale_f32 v19, s[6:7], 1.0, v2, 1.0
	v_fmac_f32_e32 v24, v29, v24
	v_fma_f32 v32, -v13, v28, v14
	v_fma_f32 v10, -v11, v27, v12
	v_div_fixup_f32 v1, v9, v1, 1.0
	s_mov_b64 vcc, s[0:1]
	v_pk_add_f32 v[4:5], v[4:5], 1.0 op_sel_hi:[1,0]
	v_mul_f32_e32 v29, v19, v24
	v_fmac_f32_e32 v28, v32, v23
	v_div_fmas_f32 v9, v10, v22, v27
	v_cmp_class_f32_e32 vcc, v1, v8
	v_div_scale_f32 v20, s[12:13], v5, v5, 1.0
	v_fma_f32 v33, -v15, v29, v19
	v_fma_f32 v11, -v13, v28, v14
	v_div_fixup_f32 v0, v9, v0, 1.0
	v_cndmask_b32_e64 v1, v1, 0, vcc
	s_mov_b64 vcc, s[2:3]
	v_rcp_f32_e32 v25, v20
	v_fmac_f32_e32 v29, v33, v24
	v_div_fmas_f32 v9, v11, v23, v28
	v_cmp_class_f32_e32 vcc, v0, v8
	v_fma_f32 v12, -v15, v29, v19
	v_cndmask_b32_e64 v0, v0, 0, vcc
	s_mov_b64 vcc, s[6:7]
	v_div_fixup_f32 v3, v9, v3, 1.0
	v_div_fmas_f32 v9, v12, v24, v29
	v_div_fixup_f32 v2, v9, v2, 1.0
	v_cmp_class_f32_e32 vcc, v3, v8
	v_cndmask_b32_e64 v3, v3, 0, vcc
	v_cmp_class_f32_e32 vcc, v2, v8
	v_fma_f32 v9, -v20, v25, 1.0
	v_cndmask_b32_e64 v2, v2, 0, vcc
	v_fmac_f32_e32 v25, v9, v25
	v_div_scale_f32 v9, vcc, 1.0, v5, 1.0
	v_mul_f32_e32 v10, v9, v25
	v_fma_f32 v11, -v20, v10, v9
	v_fmac_f32_e32 v10, v11, v25
	v_div_scale_f32 v11, s[0:1], v4, v4, 1.0
	v_rcp_f32_e32 v12, v11
	v_fma_f32 v9, -v20, v10, v9
	v_div_fmas_f32 v9, v9, v25, v10
	v_div_fixup_f32 v5, v9, v5, 1.0
	v_fma_f32 v9, -v11, v12, 1.0
	v_fmac_f32_e32 v12, v9, v12
	v_div_scale_f32 v9, vcc, 1.0, v4, 1.0
	v_mul_f32_e32 v10, v9, v12
	v_fma_f32 v13, -v11, v10, v9
	v_fmac_f32_e32 v10, v13, v12
	v_fma_f32 v9, -v11, v10, v9
	v_div_fmas_f32 v9, v9, v12, v10
	v_pk_add_f32 v[6:7], v[6:7], 1.0 op_sel_hi:[1,0]
	v_div_fixup_f32 v4, v9, v4, 1.0
	v_div_scale_f32 v9, s[0:1], v7, v7, 1.0
	v_rcp_f32_e32 v10, v9
	v_cmp_class_f32_e32 vcc, v5, v8
	v_cndmask_b32_e64 v5, v5, 0, vcc
	v_cmp_class_f32_e32 vcc, v4, v8
	v_fma_f32 v11, -v9, v10, 1.0
	v_cndmask_b32_e64 v4, v4, 0, vcc
	v_fmac_f32_e32 v10, v11, v10
	v_div_scale_f32 v11, vcc, 1.0, v7, 1.0
	v_mul_f32_e32 v12, v11, v10
	v_fma_f32 v13, -v9, v12, v11
	v_fmac_f32_e32 v12, v13, v10
	v_fma_f32 v9, -v9, v12, v11
	v_div_scale_f32 v11, s[0:1], v6, v6, 1.0
	v_rcp_f32_e32 v13, v11
	v_div_fmas_f32 v9, v9, v10, v12
	v_div_fixup_f32 v7, v9, v7, 1.0
	v_fma_f32 v9, -v11, v13, 1.0
	v_fmac_f32_e32 v13, v9, v13
	v_div_scale_f32 v9, vcc, 1.0, v6, 1.0
	v_mul_f32_e32 v10, v9, v13
	v_fma_f32 v12, -v11, v10, v9
	v_fmac_f32_e32 v10, v12, v13
	v_fma_f32 v9, -v11, v10, v9
	v_div_fmas_f32 v9, v9, v13, v10
	v_div_fixup_f32 v6, v9, v6, 1.0
	v_cmp_class_f32_e32 vcc, v7, v8
	v_cndmask_b32_e64 v7, v7, 0, vcc
	v_cmp_class_f32_e32 vcc, v6, v8
	v_cndmask_b32_e64 v6, v6, 0, vcc
	s_cbranch_scc1 .LBB260_23
; %bb.4:
	v_lshlrev_b32_e32 v19, 2, v18
	global_load_dwordx4 v[8:11], v19, s[10:11]
	global_load_dwordx4 v[12:15], v19, s[10:11] offset:16
	s_waitcnt vmcnt(1)
	v_pk_add_f32 v[8:9], v[8:9], v[0:1]
	v_pk_add_f32 v[10:11], v[10:11], v[2:3]
	s_waitcnt vmcnt(0)
	v_pk_add_f32 v[12:13], v[12:13], v[4:5]
	v_pk_add_f32 v[14:15], v[14:15], v[6:7]
	s_cbranch_execnz .LBB260_6
.LBB260_5:
	v_pk_mov_b32 v[14:15], v[6:7], v[6:7] op_sel:[0,1]
	v_pk_mov_b32 v[12:13], v[4:5], v[4:5] op_sel:[0,1]
	;; [unrolled: 1-line block ×4, first 2 shown]
.LBB260_6:
	s_load_dwordx4 s[8:11], s[4:5], 0x30
	s_mov_b32 s25, 0
	v_cmp_eq_u32_e64 s[0:1], 0, v17
	s_waitcnt lgkmcnt(0)
	s_bitcmp1_b32 s11, 0
	s_cselect_b64 vcc, -1, 0
	s_cmp_gt_i32 s8, 0
	s_cselect_b64 s[6:7], -1, 0
	s_cmp_lt_i32 s8, 1
	s_cbranch_scc1 .LBB260_24
; %bb.7:
	v_mbcnt_lo_u32_b32 v19, -1, 0
	v_mbcnt_hi_u32_b32 v19, -1, v19
	v_and_b32_e32 v20, 0x7c, v19
	s_load_dwordx4 s[12:15], s[4:5], 0x20
	v_add_u32_e32 v22, 4, v20
	v_xor_b32_e32 v21, 2, v19
	v_cmp_lt_i32_e64 s[2:3], v21, v22
	v_xor_b32_e32 v23, 1, v19
	v_cndmask_b32_e64 v21, v19, v21, s[2:3]
	v_cmp_lt_i32_e64 s[2:3], v23, v22
	v_cndmask_b32_e64 v19, v19, v23, s[2:3]
	v_mul_lo_u32 v20, v16, s8
	v_lshlrev_b32_e32 v21, 2, v21
	v_lshlrev_b32_e32 v22, 2, v19
	v_mov_b32_e32 v19, 0
	v_mov_b32_e32 v23, 0xc61c4000
	;; [unrolled: 1-line block ×3, first 2 shown]
	s_branch .LBB260_10
.LBB260_8:                              ;   in Loop: Header=BB260_10 Depth=1
	s_or_b64 exec, exec, s[4:5]
.LBB260_9:                              ;   in Loop: Header=BB260_10 Depth=1
	s_cmp_eq_u32 s8, s25
	v_add_u32_e32 v24, s24, v24
	s_cbranch_scc1 .LBB260_25
.LBB260_10:                             ; =>This Inner Loop Header: Depth=1
	v_cmp_gt_f32_e64 s[2:3], v9, v8
	v_cndmask_b32_e64 v27, v8, v9, s[2:3]
	v_cndmask_b32_e64 v25, 0, 1, s[2:3]
	v_cndmask_b32_e64 v26, v0, v1, s[2:3]
	v_cmp_gt_f32_e64 s[2:3], v10, v27
	v_cndmask_b32_e64 v27, v27, v10, s[2:3]
	v_cndmask_b32_e64 v25, v25, 2, s[2:3]
	v_cndmask_b32_e64 v26, v26, v2, s[2:3]
	;; [unrolled: 4-line block ×6, first 2 shown]
	v_cmp_gt_f32_e64 s[2:3], v15, v27
	v_cndmask_b32_e64 v25, v25, 7, s[2:3]
	v_cndmask_b32_e64 v27, v27, v15, s[2:3]
	v_or_b32_e32 v25, v18, v25
	v_cndmask_b32_e64 v26, v26, v7, s[2:3]
	s_waitcnt lgkmcnt(0)
	ds_bpermute_b32 v28, v21, v27
	ds_bpermute_b32 v30, v21, v26
	;; [unrolled: 1-line block ×3, first 2 shown]
	s_waitcnt lgkmcnt(0)
	v_cmp_lt_f32_e64 s[20:21], v27, v28
	v_cmp_nlt_f32_e64 s[2:3], v27, v28
	s_and_saveexec_b64 s[22:23], s[2:3]
; %bb.11:                               ;   in Loop: Header=BB260_10 Depth=1
	v_cmp_eq_f32_e64 s[2:3], v27, v28
	v_cmp_lt_i32_e64 s[4:5], v29, v25
	s_and_b64 s[2:3], s[2:3], s[4:5]
	s_andn2_b64 s[4:5], s[20:21], exec
	s_and_b64 s[2:3], s[2:3], exec
	s_or_b64 s[20:21], s[4:5], s[2:3]
; %bb.12:                               ;   in Loop: Header=BB260_10 Depth=1
	s_or_b64 exec, exec, s[22:23]
	s_and_saveexec_b64 s[2:3], s[20:21]
; %bb.13:                               ;   in Loop: Header=BB260_10 Depth=1
	v_mov_b32_e32 v26, v30
	v_mov_b32_e32 v27, v28
	;; [unrolled: 1-line block ×3, first 2 shown]
; %bb.14:                               ;   in Loop: Header=BB260_10 Depth=1
	s_or_b64 exec, exec, s[2:3]
	ds_bpermute_b32 v30, v22, v27
	ds_bpermute_b32 v28, v22, v26
	;; [unrolled: 1-line block ×3, first 2 shown]
	s_waitcnt lgkmcnt(2)
	v_cmp_lt_f32_e64 s[20:21], v27, v30
	v_cmp_nlt_f32_e64 s[2:3], v27, v30
	s_and_saveexec_b64 s[22:23], s[2:3]
	s_cbranch_execnz .LBB260_18
; %bb.15:                               ;   in Loop: Header=BB260_10 Depth=1
	s_or_b64 exec, exec, s[22:23]
	s_and_saveexec_b64 s[2:3], s[20:21]
	s_cbranch_execnz .LBB260_19
.LBB260_16:                             ;   in Loop: Header=BB260_10 Depth=1
	s_or_b64 exec, exec, s[2:3]
	s_and_saveexec_b64 s[20:21], s[0:1]
	s_cbranch_execnz .LBB260_20
.LBB260_17:                             ;   in Loop: Header=BB260_10 Depth=1
	s_or_b64 exec, exec, s[20:21]
	s_add_i32 s25, s25, 1
	s_cmp_ge_i32 s25, s8
	s_cbranch_scc1 .LBB260_9
	s_branch .LBB260_21
.LBB260_18:                             ;   in Loop: Header=BB260_10 Depth=1
	v_cmp_eq_f32_e64 s[2:3], v27, v30
	s_waitcnt lgkmcnt(0)
	v_cmp_lt_i32_e64 s[4:5], v29, v25
	s_and_b64 s[2:3], s[2:3], s[4:5]
	s_andn2_b64 s[4:5], s[20:21], exec
	s_and_b64 s[2:3], s[2:3], exec
	s_or_b64 s[20:21], s[4:5], s[2:3]
	s_or_b64 exec, exec, s[22:23]
	s_and_saveexec_b64 s[2:3], s[20:21]
	s_cbranch_execz .LBB260_16
.LBB260_19:                             ;   in Loop: Header=BB260_10 Depth=1
	s_waitcnt lgkmcnt(0)
	v_mov_b32_e32 v25, v29
	v_mov_b32_e32 v26, v28
	s_or_b64 exec, exec, s[2:3]
	s_and_saveexec_b64 s[20:21], s[0:1]
	s_cbranch_execz .LBB260_17
.LBB260_20:                             ;   in Loop: Header=BB260_10 Depth=1
	s_waitcnt lgkmcnt(1)
	v_add_u32_e32 v28, s25, v20
	s_waitcnt lgkmcnt(0)
	v_ashrrev_i32_e32 v29, 31, v28
	v_cmp_le_i32_e64 s[2:3], s9, v25
	v_cmp_gt_i32_e64 s[4:5], s10, v25
	v_lshlrev_b64 v[28:29], 2, v[28:29]
	s_and_b64 s[4:5], s[2:3], s[4:5]
	v_mov_b32_e32 v27, s17
	v_add_co_u32_e64 v30, s[2:3], s16, v28
	v_addc_co_u32_e64 v31, s[2:3], v27, v29, s[2:3]
	v_subrev_u32_e32 v27, s9, v25
	s_and_b64 s[2:3], s[18:19], s[4:5]
	global_store_dword v[30:31], v26, off
	v_cndmask_b32_e64 v27, 32, v27, s[2:3]
	v_mov_b32_e32 v31, s13
	v_add_co_u32_e64 v30, s[2:3], s12, v28
	v_addc_co_u32_e64 v31, s[2:3], v31, v29, s[2:3]
	global_store_dword v[30:31], v27, off
	v_mov_b32_e32 v27, s15
	v_add_co_u32_e64 v28, s[2:3], s14, v28
	v_add_f32_e32 v26, v19, v26
	v_addc_co_u32_e64 v29, s[2:3], v27, v29, s[2:3]
	v_cndmask_b32_e32 v19, v19, v26, vcc
	global_store_dword v[28:29], v24, off
	s_or_b64 exec, exec, s[20:21]
	s_add_i32 s25, s25, 1
	s_cmp_ge_i32 s25, s8
	s_cbranch_scc1 .LBB260_9
.LBB260_21:                             ;   in Loop: Header=BB260_10 Depth=1
	v_ashrrev_i32_e32 v27, 31, v25
	v_lshrrev_b32_e32 v26, 29, v27
	v_add_u32_e32 v26, v25, v26
	v_ashrrev_i32_e32 v26, 3, v26
	s_waitcnt lgkmcnt(1)
	v_lshrrev_b32_e32 v28, 30, v26
	v_add_u32_e32 v28, v26, v28
	v_and_b32_e32 v28, -4, v28
	v_sub_u32_e32 v28, v26, v28
	v_cmp_eq_u32_e64 s[2:3], v17, v28
	s_and_saveexec_b64 s[4:5], s[2:3]
	s_cbranch_execz .LBB260_8
; %bb.22:                               ;   in Loop: Header=BB260_10 Depth=1
	v_lshrrev_b32_e32 v27, 27, v27
	v_add_u32_e32 v27, v25, v27
	v_lshlrev_b32_e32 v26, 3, v26
	v_ashrrev_i32_e32 v27, 5, v27
	v_sub_u32_e32 v25, v25, v26
	v_lshl_add_u32 v25, v27, 3, v25
	v_cmp_ne_u32_e64 s[2:3], 7, v25
	v_cndmask_b32_e64 v15, v23, v15, s[2:3]
	v_cmp_ne_u32_e64 s[2:3], 6, v25
	v_cndmask_b32_e64 v14, v23, v14, s[2:3]
	;; [unrolled: 2-line block ×8, first 2 shown]
	s_branch .LBB260_8
.LBB260_23:
                                        ; implicit-def: $vgpr8_vgpr9_vgpr10_vgpr11_vgpr12_vgpr13_vgpr14_vgpr15
	s_andn2_b64 vcc, exec, s[8:9]
	s_cbranch_vccz .LBB260_5
	s_branch .LBB260_6
.LBB260_24:
	v_mov_b32_e32 v19, 0
.LBB260_25:
	v_cmp_eq_u32_e64 s[0:1], 0, v17
	s_and_b64 s[0:1], s[0:1], vcc
	s_and_b64 exec, exec, s[0:1]
	s_cbranch_execz .LBB260_34
; %bb.26:
	s_andn2_b64 vcc, exec, s[6:7]
	s_cbranch_vccnz .LBB260_34
; %bb.27:
	v_cmp_lt_f32_e32 vcc, 0, v19
	s_mov_b32 s2, 0
	v_cndmask_b32_e32 v0, 1.0, v19, vcc
	v_mul_lo_u32 v4, v16, s8
	s_cmp_eq_u32 s8, 1
	s_mov_b64 s[0:1], -1
	s_cbranch_scc1 .LBB260_31
; %bb.28:
	s_and_b32 s2, s8, 0x7ffffffe
	v_mov_b32_e32 v1, v0
	v_mov_b32_e32 v5, s17
	s_mov_b32 s3, s2
	v_mov_b32_e32 v2, v4
.LBB260_29:                             ; =>This Inner Loop Header: Depth=1
	v_ashrrev_i32_e32 v3, 31, v2
	v_lshlrev_b64 v[6:7], 2, v[2:3]
	v_add_co_u32_e32 v6, vcc, s16, v6
	v_addc_co_u32_e32 v7, vcc, v5, v7, vcc
	global_load_dwordx2 v[8:9], v[6:7], off
	s_add_i32 s3, s3, -2
	s_cmp_lg_u32 s3, 0
	v_add_u32_e32 v2, 2, v2
	s_waitcnt vmcnt(0)
	v_div_scale_f32 v3, s[0:1], v1, v1, v9
	v_div_scale_f32 v11, s[0:1], v0, v0, v8
	v_rcp_f32_e32 v12, v3
	v_rcp_f32_e32 v13, v11
	v_div_scale_f32 v10, vcc, v9, v1, v9
	v_fma_f32 v15, -v3, v12, 1.0
	v_fma_f32 v16, -v11, v13, 1.0
	v_fmac_f32_e32 v12, v15, v12
	v_div_scale_f32 v14, s[0:1], v8, v0, v8
	v_fmac_f32_e32 v13, v16, v13
	v_mul_f32_e32 v15, v10, v12
	v_mul_f32_e32 v16, v14, v13
	v_fma_f32 v17, -v3, v15, v10
	v_fma_f32 v18, -v11, v16, v14
	v_fmac_f32_e32 v15, v17, v12
	v_fmac_f32_e32 v16, v18, v13
	v_fma_f32 v3, -v3, v15, v10
	v_fma_f32 v10, -v11, v16, v14
	v_div_fmas_f32 v3, v3, v12, v15
	s_mov_b64 vcc, s[0:1]
	v_div_fixup_f32 v9, v3, v1, v9
	v_div_fmas_f32 v3, v10, v13, v16
	v_div_fixup_f32 v8, v3, v0, v8
	global_store_dwordx2 v[6:7], v[8:9], off
	s_cbranch_scc1 .LBB260_29
; %bb.30:
	s_cmp_lg_u32 s2, s8
	s_cselect_b64 s[0:1], -1, 0
.LBB260_31:
	s_and_b64 vcc, exec, s[0:1]
	s_cbranch_vccz .LBB260_34
; %bb.32:
	v_ashrrev_i32_e32 v1, 31, v4
	v_add_co_u32_e32 v2, vcc, s2, v4
	v_addc_co_u32_e32 v3, vcc, 0, v1, vcc
	v_lshlrev_b64 v[2:3], 2, v[2:3]
	v_mov_b32_e32 v1, s17
	v_add_co_u32_e32 v2, vcc, s16, v2
	s_sub_i32 s0, s8, s2
	v_addc_co_u32_e32 v3, vcc, v1, v3, vcc
.LBB260_33:                             ; =>This Inner Loop Header: Depth=1
	global_load_dword v1, v[2:3], off
	s_add_i32 s0, s0, -1
	s_cmp_lg_u32 s0, 0
	s_waitcnt vmcnt(0)
	v_div_scale_f32 v4, s[2:3], v0, v0, v1
	v_rcp_f32_e32 v5, v4
	v_div_scale_f32 v6, vcc, v1, v0, v1
	v_fma_f32 v7, -v4, v5, 1.0
	v_fmac_f32_e32 v5, v7, v5
	v_mul_f32_e32 v7, v6, v5
	v_fma_f32 v8, -v4, v7, v6
	v_fmac_f32_e32 v7, v8, v5
	v_fma_f32 v4, -v4, v7, v6
	v_div_fmas_f32 v4, v4, v5, v7
	v_div_fixup_f32 v1, v4, v0, v1
	global_store_dword v[2:3], v1, off
	v_add_co_u32_e32 v2, vcc, 4, v2
	v_addc_co_u32_e32 v3, vcc, 0, v3, vcc
	s_cbranch_scc1 .LBB260_33
.LBB260_34:
	s_endpgm
	.section	.rodata,"a",@progbits
	.p2align	6, 0x0
	.amdhsa_kernel _ZN4vllm3moe10topkGatingILi8ELi32ELi4ELi16ELi32Ei6__halfLNS0_11ScoringFuncE1EEEvPKT5_PKbPfiPT4_PiiiibPKf
		.amdhsa_group_segment_fixed_size 0
		.amdhsa_private_segment_fixed_size 0
		.amdhsa_kernarg_size 72
		.amdhsa_user_sgpr_count 6
		.amdhsa_user_sgpr_private_segment_buffer 1
		.amdhsa_user_sgpr_dispatch_ptr 0
		.amdhsa_user_sgpr_queue_ptr 0
		.amdhsa_user_sgpr_kernarg_segment_ptr 1
		.amdhsa_user_sgpr_dispatch_id 0
		.amdhsa_user_sgpr_flat_scratch_init 0
		.amdhsa_user_sgpr_kernarg_preload_length 0
		.amdhsa_user_sgpr_kernarg_preload_offset 0
		.amdhsa_user_sgpr_private_segment_size 0
		.amdhsa_uses_dynamic_stack 0
		.amdhsa_system_sgpr_private_segment_wavefront_offset 0
		.amdhsa_system_sgpr_workgroup_id_x 1
		.amdhsa_system_sgpr_workgroup_id_y 0
		.amdhsa_system_sgpr_workgroup_id_z 0
		.amdhsa_system_sgpr_workgroup_info 0
		.amdhsa_system_vgpr_workitem_id 1
		.amdhsa_next_free_vgpr 34
		.amdhsa_next_free_sgpr 26
		.amdhsa_accum_offset 36
		.amdhsa_reserve_vcc 1
		.amdhsa_reserve_flat_scratch 0
		.amdhsa_float_round_mode_32 0
		.amdhsa_float_round_mode_16_64 0
		.amdhsa_float_denorm_mode_32 3
		.amdhsa_float_denorm_mode_16_64 3
		.amdhsa_dx10_clamp 1
		.amdhsa_ieee_mode 1
		.amdhsa_fp16_overflow 0
		.amdhsa_tg_split 0
		.amdhsa_exception_fp_ieee_invalid_op 0
		.amdhsa_exception_fp_denorm_src 0
		.amdhsa_exception_fp_ieee_div_zero 0
		.amdhsa_exception_fp_ieee_overflow 0
		.amdhsa_exception_fp_ieee_underflow 0
		.amdhsa_exception_fp_ieee_inexact 0
		.amdhsa_exception_int_div_zero 0
	.end_amdhsa_kernel
	.section	.text._ZN4vllm3moe10topkGatingILi8ELi32ELi4ELi16ELi32Ei6__halfLNS0_11ScoringFuncE1EEEvPKT5_PKbPfiPT4_PiiiibPKf,"axG",@progbits,_ZN4vllm3moe10topkGatingILi8ELi32ELi4ELi16ELi32Ei6__halfLNS0_11ScoringFuncE1EEEvPKT5_PKbPfiPT4_PiiiibPKf,comdat
.Lfunc_end260:
	.size	_ZN4vllm3moe10topkGatingILi8ELi32ELi4ELi16ELi32Ei6__halfLNS0_11ScoringFuncE1EEEvPKT5_PKbPfiPT4_PiiiibPKf, .Lfunc_end260-_ZN4vllm3moe10topkGatingILi8ELi32ELi4ELi16ELi32Ei6__halfLNS0_11ScoringFuncE1EEEvPKT5_PKbPfiPT4_PiiiibPKf
                                        ; -- End function
	.section	.AMDGPU.csdata,"",@progbits
; Kernel info:
; codeLenInByte = 2716
; NumSgprs: 30
; NumVgprs: 34
; NumAgprs: 0
; TotalNumVgprs: 34
; ScratchSize: 0
; MemoryBound: 0
; FloatMode: 240
; IeeeMode: 1
; LDSByteSize: 0 bytes/workgroup (compile time only)
; SGPRBlocks: 3
; VGPRBlocks: 4
; NumSGPRsForWavesPerEU: 30
; NumVGPRsForWavesPerEU: 34
; AccumOffset: 36
; Occupancy: 8
; WaveLimiterHint : 0
; COMPUTE_PGM_RSRC2:SCRATCH_EN: 0
; COMPUTE_PGM_RSRC2:USER_SGPR: 6
; COMPUTE_PGM_RSRC2:TRAP_HANDLER: 0
; COMPUTE_PGM_RSRC2:TGID_X_EN: 1
; COMPUTE_PGM_RSRC2:TGID_Y_EN: 0
; COMPUTE_PGM_RSRC2:TGID_Z_EN: 0
; COMPUTE_PGM_RSRC2:TIDIG_COMP_CNT: 1
; COMPUTE_PGM_RSRC3_GFX90A:ACCUM_OFFSET: 8
; COMPUTE_PGM_RSRC3_GFX90A:TG_SPLIT: 0
	.section	.text._ZN4vllm3moe10topkGatingILi8ELi64ELi4ELi16ELi64Ei6__halfLNS0_11ScoringFuncE1EEEvPKT5_PKbPfiPT4_PiiiibPKf,"axG",@progbits,_ZN4vllm3moe10topkGatingILi8ELi64ELi4ELi16ELi64Ei6__halfLNS0_11ScoringFuncE1EEEvPKT5_PKbPfiPT4_PiiiibPKf,comdat
	.protected	_ZN4vllm3moe10topkGatingILi8ELi64ELi4ELi16ELi64Ei6__halfLNS0_11ScoringFuncE1EEEvPKT5_PKbPfiPT4_PiiiibPKf ; -- Begin function _ZN4vllm3moe10topkGatingILi8ELi64ELi4ELi16ELi64Ei6__halfLNS0_11ScoringFuncE1EEEvPKT5_PKbPfiPT4_PiiiibPKf
	.globl	_ZN4vllm3moe10topkGatingILi8ELi64ELi4ELi16ELi64Ei6__halfLNS0_11ScoringFuncE1EEEvPKT5_PKbPfiPT4_PiiiibPKf
	.p2align	8
	.type	_ZN4vllm3moe10topkGatingILi8ELi64ELi4ELi16ELi64Ei6__halfLNS0_11ScoringFuncE1EEEvPKT5_PKbPfiPT4_PiiiibPKf,@function
_ZN4vllm3moe10topkGatingILi8ELi64ELi4ELi16ELi64Ei6__halfLNS0_11ScoringFuncE1EEEvPKT5_PKbPfiPT4_PiiiibPKf: ; @_ZN4vllm3moe10topkGatingILi8ELi64ELi4ELi16ELi64Ei6__halfLNS0_11ScoringFuncE1EEEvPKT5_PKbPfiPT4_PiiiibPKf
; %bb.0:
	s_load_dword s24, s[4:5], 0x18
	v_bfe_u32 v1, v0, 10, 10
	v_and_b32_e32 v0, 0x3ff, v0
	s_lshl_b32 s0, s6, 5
	v_lshlrev_b32_e32 v1, 3, v1
	v_lshrrev_b32_e32 v2, 3, v0
	v_add3_u32 v16, s0, v1, v2
	s_waitcnt lgkmcnt(0)
	v_cmp_gt_i32_e32 vcc, s24, v16
	s_and_saveexec_b64 s[0:1], vcc
	s_cbranch_execz .LBB261_38
; %bb.1:
	s_load_dwordx4 s[0:3], s[4:5], 0x0
	s_load_dwordx2 s[16:17], s[4:5], 0x10
	s_mov_b64 s[8:9], -1
	s_mov_b64 s[18:19], -1
	s_waitcnt lgkmcnt(0)
	s_cmp_eq_u64 s[2:3], 0
	s_cbranch_scc1 .LBB261_3
; %bb.2:
	v_ashrrev_i32_e32 v1, 31, v16
	v_mov_b32_e32 v3, s3
	v_add_co_u32_e32 v2, vcc, s2, v16
	v_addc_co_u32_e32 v3, vcc, v3, v1, vcc
	global_load_ubyte v1, v[2:3], off
	s_waitcnt vmcnt(0)
	v_and_b32_e32 v1, 1, v1
	v_cmp_eq_u32_e32 vcc, 1, v1
	s_xor_b64 s[2:3], vcc, -1
	s_orn2_b64 s[18:19], s[2:3], exec
.LBB261_3:
	v_lshlrev_b32_e32 v2, 6, v16
	v_ashrrev_i32_e32 v3, 31, v2
	v_lshlrev_b64 v[2:3], 1, v[2:3]
	v_mov_b32_e32 v1, s1
	v_add_co_u32_e32 v2, vcc, s0, v2
	v_and_b32_e32 v17, 7, v0
	v_addc_co_u32_e32 v1, vcc, v1, v3, vcc
	v_lshlrev_b32_e32 v0, 4, v17
	v_add_co_u32_e32 v0, vcc, v2, v0
	v_addc_co_u32_e32 v1, vcc, 0, v1, vcc
	global_load_dwordx4 v[0:3], v[0:1], off
	v_mov_b32_e32 v8, 0x207
	s_load_dwordx2 s[10:11], s[4:5], 0x40
	v_lshlrev_b32_e32 v18, 3, v17
	s_waitcnt lgkmcnt(0)
	s_cmp_eq_u64 s[10:11], 0
	s_waitcnt vmcnt(0)
	v_cvt_f32_f16_e32 v4, v0
	v_cvt_f32_f16_sdwa v0, v0 dst_sel:DWORD dst_unused:UNUSED_PAD src0_sel:WORD_1
	v_cvt_f32_f16_e32 v5, v1
	v_cvt_f32_f16_sdwa v1, v1 dst_sel:DWORD dst_unused:UNUSED_PAD src0_sel:WORD_1
	v_mul_f32_e32 v4, 0xbfb8aa3b, v4
	v_mul_f32_e32 v9, 0xbfb8aa3b, v0
	v_cvt_f32_f16_e32 v6, v2
	v_cvt_f32_f16_sdwa v2, v2 dst_sel:DWORD dst_unused:UNUSED_PAD src0_sel:WORD_1
	v_cvt_f32_f16_e32 v7, v3
	v_cvt_f32_f16_sdwa v3, v3 dst_sel:DWORD dst_unused:UNUSED_PAD src0_sel:WORD_1
	v_mul_f32_e32 v10, 0xbfb8aa3b, v1
	v_exp_f32_e32 v0, v4
	v_exp_f32_e32 v1, v9
	v_mul_f32_e32 v5, 0xbfb8aa3b, v5
	v_mul_f32_e32 v11, 0xbfb8aa3b, v2
	;; [unrolled: 1-line block ×3, first 2 shown]
	v_exp_f32_e32 v2, v5
	v_exp_f32_e32 v3, v10
	v_pk_add_f32 v[0:1], v[0:1], 1.0 op_sel_hi:[1,0]
	v_div_scale_f32 v9, s[0:1], v1, v1, 1.0
	v_rcp_f32_e32 v21, v9
	v_exp_f32_e32 v5, v11
	v_div_scale_f32 v11, s[0:1], v0, v0, 1.0
	v_pk_add_f32 v[2:3], v[2:3], 1.0 op_sel_hi:[1,0]
	v_rcp_f32_e32 v22, v11
	v_div_scale_f32 v13, s[2:3], v3, v3, 1.0
	v_rcp_f32_e32 v23, v13
	v_fma_f32 v26, -v9, v21, 1.0
	v_div_scale_f32 v10, vcc, 1.0, v1, 1.0
	v_div_scale_f32 v15, s[6:7], v2, v2, 1.0
	v_fmac_f32_e32 v21, v26, v21
	v_mul_f32_e32 v6, 0xbfb8aa3b, v6
	v_mul_f32_e32 v7, 0xbfb8aa3b, v7
	v_rcp_f32_e32 v24, v15
	v_fma_f32 v27, -v11, v22, 1.0
	v_mul_f32_e32 v26, v10, v21
	v_exp_f32_e32 v4, v6
	v_exp_f32_e32 v6, v7
	;; [unrolled: 1-line block ×3, first 2 shown]
	v_div_scale_f32 v12, s[0:1], 1.0, v0, 1.0
	v_fmac_f32_e32 v22, v27, v22
	v_fma_f32 v30, -v9, v26, v10
	v_fma_f32 v28, -v13, v23, 1.0
	v_mul_f32_e32 v27, v12, v22
	v_fmac_f32_e32 v26, v30, v21
	v_div_scale_f32 v14, s[2:3], 1.0, v3, 1.0
	v_fmac_f32_e32 v23, v28, v23
	v_fma_f32 v31, -v11, v27, v12
	v_fma_f32 v9, -v9, v26, v10
	v_fma_f32 v29, -v15, v24, 1.0
	v_mul_f32_e32 v28, v14, v23
	v_fmac_f32_e32 v27, v31, v22
	v_div_fmas_f32 v9, v9, v21, v26
	v_div_scale_f32 v19, s[6:7], 1.0, v2, 1.0
	v_fmac_f32_e32 v24, v29, v24
	v_fma_f32 v32, -v13, v28, v14
	v_fma_f32 v10, -v11, v27, v12
	v_div_fixup_f32 v1, v9, v1, 1.0
	s_mov_b64 vcc, s[0:1]
	v_pk_add_f32 v[4:5], v[4:5], 1.0 op_sel_hi:[1,0]
	v_mul_f32_e32 v29, v19, v24
	v_fmac_f32_e32 v28, v32, v23
	v_div_fmas_f32 v9, v10, v22, v27
	v_cmp_class_f32_e32 vcc, v1, v8
	v_div_scale_f32 v20, s[12:13], v5, v5, 1.0
	v_fma_f32 v33, -v15, v29, v19
	v_fma_f32 v11, -v13, v28, v14
	v_div_fixup_f32 v0, v9, v0, 1.0
	v_cndmask_b32_e64 v1, v1, 0, vcc
	s_mov_b64 vcc, s[2:3]
	v_rcp_f32_e32 v25, v20
	v_fmac_f32_e32 v29, v33, v24
	v_div_fmas_f32 v9, v11, v23, v28
	v_cmp_class_f32_e32 vcc, v0, v8
	v_fma_f32 v12, -v15, v29, v19
	v_cndmask_b32_e64 v0, v0, 0, vcc
	s_mov_b64 vcc, s[6:7]
	v_div_fixup_f32 v3, v9, v3, 1.0
	v_div_fmas_f32 v9, v12, v24, v29
	v_div_fixup_f32 v2, v9, v2, 1.0
	v_cmp_class_f32_e32 vcc, v3, v8
	v_cndmask_b32_e64 v3, v3, 0, vcc
	v_cmp_class_f32_e32 vcc, v2, v8
	v_fma_f32 v9, -v20, v25, 1.0
	v_cndmask_b32_e64 v2, v2, 0, vcc
	v_fmac_f32_e32 v25, v9, v25
	v_div_scale_f32 v9, vcc, 1.0, v5, 1.0
	v_mul_f32_e32 v10, v9, v25
	v_fma_f32 v11, -v20, v10, v9
	v_fmac_f32_e32 v10, v11, v25
	v_div_scale_f32 v11, s[0:1], v4, v4, 1.0
	v_rcp_f32_e32 v12, v11
	v_fma_f32 v9, -v20, v10, v9
	v_div_fmas_f32 v9, v9, v25, v10
	v_div_fixup_f32 v5, v9, v5, 1.0
	v_fma_f32 v9, -v11, v12, 1.0
	v_fmac_f32_e32 v12, v9, v12
	v_div_scale_f32 v9, vcc, 1.0, v4, 1.0
	v_mul_f32_e32 v10, v9, v12
	v_fma_f32 v13, -v11, v10, v9
	v_fmac_f32_e32 v10, v13, v12
	v_fma_f32 v9, -v11, v10, v9
	v_div_fmas_f32 v9, v9, v12, v10
	v_pk_add_f32 v[6:7], v[6:7], 1.0 op_sel_hi:[1,0]
	v_div_fixup_f32 v4, v9, v4, 1.0
	v_div_scale_f32 v9, s[0:1], v7, v7, 1.0
	v_rcp_f32_e32 v10, v9
	v_cmp_class_f32_e32 vcc, v5, v8
	v_cndmask_b32_e64 v5, v5, 0, vcc
	v_cmp_class_f32_e32 vcc, v4, v8
	v_fma_f32 v11, -v9, v10, 1.0
	v_cndmask_b32_e64 v4, v4, 0, vcc
	v_fmac_f32_e32 v10, v11, v10
	v_div_scale_f32 v11, vcc, 1.0, v7, 1.0
	v_mul_f32_e32 v12, v11, v10
	v_fma_f32 v13, -v9, v12, v11
	v_fmac_f32_e32 v12, v13, v10
	v_fma_f32 v9, -v9, v12, v11
	v_div_scale_f32 v11, s[0:1], v6, v6, 1.0
	v_rcp_f32_e32 v13, v11
	v_div_fmas_f32 v9, v9, v10, v12
	v_div_fixup_f32 v7, v9, v7, 1.0
	v_fma_f32 v9, -v11, v13, 1.0
	v_fmac_f32_e32 v13, v9, v13
	v_div_scale_f32 v9, vcc, 1.0, v6, 1.0
	v_mul_f32_e32 v10, v9, v13
	v_fma_f32 v12, -v11, v10, v9
	v_fmac_f32_e32 v10, v12, v13
	v_fma_f32 v9, -v11, v10, v9
	v_div_fmas_f32 v9, v9, v13, v10
	v_div_fixup_f32 v6, v9, v6, 1.0
	v_cmp_class_f32_e32 vcc, v7, v8
	v_cndmask_b32_e64 v7, v7, 0, vcc
	v_cmp_class_f32_e32 vcc, v6, v8
	v_cndmask_b32_e64 v6, v6, 0, vcc
	s_cbranch_scc1 .LBB261_27
; %bb.4:
	v_lshlrev_b32_e32 v19, 2, v18
	global_load_dwordx4 v[8:11], v19, s[10:11]
	global_load_dwordx4 v[12:15], v19, s[10:11] offset:16
	s_waitcnt vmcnt(1)
	v_pk_add_f32 v[8:9], v[8:9], v[0:1]
	v_pk_add_f32 v[10:11], v[10:11], v[2:3]
	s_waitcnt vmcnt(0)
	v_pk_add_f32 v[12:13], v[12:13], v[4:5]
	v_pk_add_f32 v[14:15], v[14:15], v[6:7]
	s_cbranch_execnz .LBB261_6
.LBB261_5:
	v_pk_mov_b32 v[14:15], v[6:7], v[6:7] op_sel:[0,1]
	v_pk_mov_b32 v[12:13], v[4:5], v[4:5] op_sel:[0,1]
	;; [unrolled: 1-line block ×4, first 2 shown]
.LBB261_6:
	s_load_dwordx4 s[8:11], s[4:5], 0x30
	s_mov_b32 s25, 0
	v_cmp_eq_u32_e64 s[0:1], 0, v17
	s_waitcnt lgkmcnt(0)
	s_bitcmp1_b32 s11, 0
	s_cselect_b64 vcc, -1, 0
	s_cmp_gt_i32 s8, 0
	s_cselect_b64 s[6:7], -1, 0
	s_cmp_lt_i32 s8, 1
	s_cbranch_scc1 .LBB261_28
; %bb.7:
	v_mbcnt_lo_u32_b32 v19, -1, 0
	v_mbcnt_hi_u32_b32 v19, -1, v19
	v_and_b32_e32 v20, 0x78, v19
	v_add_u32_e32 v23, 8, v20
	v_xor_b32_e32 v21, 4, v19
	s_load_dwordx4 s[12:15], s[4:5], 0x20
	v_cmp_lt_i32_e64 s[2:3], v21, v23
	v_xor_b32_e32 v22, 2, v19
	v_cndmask_b32_e64 v21, v19, v21, s[2:3]
	v_cmp_lt_i32_e64 s[2:3], v22, v23
	v_xor_b32_e32 v24, 1, v19
	v_cndmask_b32_e64 v22, v19, v22, s[2:3]
	v_cmp_lt_i32_e64 s[2:3], v24, v23
	v_cndmask_b32_e64 v19, v19, v24, s[2:3]
	v_mul_lo_u32 v20, v16, s8
	v_lshlrev_b32_e32 v21, 2, v21
	v_lshlrev_b32_e32 v22, 2, v22
	;; [unrolled: 1-line block ×3, first 2 shown]
	v_mov_b32_e32 v19, 0
	v_mov_b32_e32 v24, 0xc61c4000
	;; [unrolled: 1-line block ×3, first 2 shown]
	s_branch .LBB261_10
.LBB261_8:                              ;   in Loop: Header=BB261_10 Depth=1
	s_or_b64 exec, exec, s[4:5]
.LBB261_9:                              ;   in Loop: Header=BB261_10 Depth=1
	s_cmp_eq_u32 s8, s25
	v_add_u32_e32 v25, s24, v25
	s_cbranch_scc1 .LBB261_29
.LBB261_10:                             ; =>This Inner Loop Header: Depth=1
	v_cmp_gt_f32_e64 s[2:3], v9, v8
	v_cndmask_b32_e64 v28, v8, v9, s[2:3]
	v_cndmask_b32_e64 v26, 0, 1, s[2:3]
	v_cndmask_b32_e64 v27, v0, v1, s[2:3]
	v_cmp_gt_f32_e64 s[2:3], v10, v28
	v_cndmask_b32_e64 v28, v28, v10, s[2:3]
	v_cndmask_b32_e64 v26, v26, 2, s[2:3]
	v_cndmask_b32_e64 v27, v27, v2, s[2:3]
	;; [unrolled: 4-line block ×6, first 2 shown]
	v_cmp_gt_f32_e64 s[2:3], v15, v28
	v_cndmask_b32_e64 v26, v26, 7, s[2:3]
	v_cndmask_b32_e64 v28, v28, v15, s[2:3]
	v_or_b32_e32 v26, v18, v26
	v_cndmask_b32_e64 v27, v27, v7, s[2:3]
	s_waitcnt lgkmcnt(0)
	ds_bpermute_b32 v29, v21, v28
	ds_bpermute_b32 v31, v21, v27
	;; [unrolled: 1-line block ×3, first 2 shown]
	s_waitcnt lgkmcnt(0)
	v_cmp_lt_f32_e64 s[20:21], v28, v29
	v_cmp_nlt_f32_e64 s[2:3], v28, v29
	s_and_saveexec_b64 s[22:23], s[2:3]
; %bb.11:                               ;   in Loop: Header=BB261_10 Depth=1
	v_cmp_eq_f32_e64 s[2:3], v28, v29
	v_cmp_lt_i32_e64 s[4:5], v30, v26
	s_and_b64 s[2:3], s[2:3], s[4:5]
	s_andn2_b64 s[4:5], s[20:21], exec
	s_and_b64 s[2:3], s[2:3], exec
	s_or_b64 s[20:21], s[4:5], s[2:3]
; %bb.12:                               ;   in Loop: Header=BB261_10 Depth=1
	s_or_b64 exec, exec, s[22:23]
	s_and_saveexec_b64 s[2:3], s[20:21]
; %bb.13:                               ;   in Loop: Header=BB261_10 Depth=1
	v_mov_b32_e32 v27, v31
	v_mov_b32_e32 v28, v29
	;; [unrolled: 1-line block ×3, first 2 shown]
; %bb.14:                               ;   in Loop: Header=BB261_10 Depth=1
	s_or_b64 exec, exec, s[2:3]
	ds_bpermute_b32 v29, v22, v28
	ds_bpermute_b32 v31, v22, v27
	ds_bpermute_b32 v30, v22, v26
	s_waitcnt lgkmcnt(2)
	v_cmp_lt_f32_e64 s[20:21], v28, v29
	v_cmp_nlt_f32_e64 s[2:3], v28, v29
	s_and_saveexec_b64 s[22:23], s[2:3]
	s_cbranch_execz .LBB261_16
; %bb.15:                               ;   in Loop: Header=BB261_10 Depth=1
	v_cmp_eq_f32_e64 s[2:3], v28, v29
	s_waitcnt lgkmcnt(0)
	v_cmp_lt_i32_e64 s[4:5], v30, v26
	s_and_b64 s[2:3], s[2:3], s[4:5]
	s_andn2_b64 s[4:5], s[20:21], exec
	s_and_b64 s[2:3], s[2:3], exec
	s_or_b64 s[20:21], s[4:5], s[2:3]
.LBB261_16:                             ;   in Loop: Header=BB261_10 Depth=1
	s_or_b64 exec, exec, s[22:23]
	s_and_saveexec_b64 s[2:3], s[20:21]
	s_cbranch_execz .LBB261_18
; %bb.17:                               ;   in Loop: Header=BB261_10 Depth=1
	s_waitcnt lgkmcnt(1)
	v_mov_b32_e32 v27, v31
	v_mov_b32_e32 v28, v29
	s_waitcnt lgkmcnt(0)
	v_mov_b32_e32 v26, v30
.LBB261_18:                             ;   in Loop: Header=BB261_10 Depth=1
	s_or_b64 exec, exec, s[2:3]
	s_waitcnt lgkmcnt(1)
	ds_bpermute_b32 v31, v23, v28
	ds_bpermute_b32 v29, v23, v27
	s_waitcnt lgkmcnt(2)
	ds_bpermute_b32 v30, v23, v26
	s_waitcnt lgkmcnt(2)
	v_cmp_lt_f32_e64 s[20:21], v28, v31
	v_cmp_nlt_f32_e64 s[2:3], v28, v31
	s_and_saveexec_b64 s[22:23], s[2:3]
	s_cbranch_execnz .LBB261_22
; %bb.19:                               ;   in Loop: Header=BB261_10 Depth=1
	s_or_b64 exec, exec, s[22:23]
	s_and_saveexec_b64 s[2:3], s[20:21]
	s_cbranch_execnz .LBB261_23
.LBB261_20:                             ;   in Loop: Header=BB261_10 Depth=1
	s_or_b64 exec, exec, s[2:3]
	s_and_saveexec_b64 s[20:21], s[0:1]
	s_cbranch_execnz .LBB261_24
.LBB261_21:                             ;   in Loop: Header=BB261_10 Depth=1
	s_or_b64 exec, exec, s[20:21]
	s_add_i32 s25, s25, 1
	s_cmp_ge_i32 s25, s8
	s_cbranch_scc1 .LBB261_9
	s_branch .LBB261_25
.LBB261_22:                             ;   in Loop: Header=BB261_10 Depth=1
	v_cmp_eq_f32_e64 s[2:3], v28, v31
	s_waitcnt lgkmcnt(0)
	v_cmp_lt_i32_e64 s[4:5], v30, v26
	s_and_b64 s[2:3], s[2:3], s[4:5]
	s_andn2_b64 s[4:5], s[20:21], exec
	s_and_b64 s[2:3], s[2:3], exec
	s_or_b64 s[20:21], s[4:5], s[2:3]
	s_or_b64 exec, exec, s[22:23]
	s_and_saveexec_b64 s[2:3], s[20:21]
	s_cbranch_execz .LBB261_20
.LBB261_23:                             ;   in Loop: Header=BB261_10 Depth=1
	s_waitcnt lgkmcnt(0)
	v_mov_b32_e32 v26, v30
	v_mov_b32_e32 v27, v29
	s_or_b64 exec, exec, s[2:3]
	s_and_saveexec_b64 s[20:21], s[0:1]
	s_cbranch_execz .LBB261_21
.LBB261_24:                             ;   in Loop: Header=BB261_10 Depth=1
	v_add_u32_e32 v28, s25, v20
	s_waitcnt lgkmcnt(1)
	v_ashrrev_i32_e32 v29, 31, v28
	v_cmp_le_i32_e64 s[2:3], s9, v26
	v_cmp_gt_i32_e64 s[4:5], s10, v26
	v_lshlrev_b64 v[28:29], 2, v[28:29]
	s_and_b64 s[4:5], s[2:3], s[4:5]
	v_mov_b32_e32 v31, s17
	s_waitcnt lgkmcnt(0)
	v_add_co_u32_e64 v30, s[2:3], s16, v28
	v_addc_co_u32_e64 v31, s[2:3], v31, v29, s[2:3]
	global_store_dword v[30:31], v27, off
	v_subrev_u32_e32 v30, s9, v26
	s_and_b64 s[2:3], s[18:19], s[4:5]
	v_cndmask_b32_e64 v32, 64, v30, s[2:3]
	v_mov_b32_e32 v31, s13
	v_add_co_u32_e64 v30, s[2:3], s12, v28
	v_addc_co_u32_e64 v31, s[2:3], v31, v29, s[2:3]
	global_store_dword v[30:31], v32, off
	v_mov_b32_e32 v30, s15
	v_add_co_u32_e64 v28, s[2:3], s14, v28
	v_add_f32_e32 v27, v19, v27
	v_addc_co_u32_e64 v29, s[2:3], v30, v29, s[2:3]
	v_cndmask_b32_e32 v19, v19, v27, vcc
	global_store_dword v[28:29], v25, off
	s_or_b64 exec, exec, s[20:21]
	s_add_i32 s25, s25, 1
	s_cmp_ge_i32 s25, s8
	s_cbranch_scc1 .LBB261_9
.LBB261_25:                             ;   in Loop: Header=BB261_10 Depth=1
	v_ashrrev_i32_e32 v28, 31, v26
	v_lshrrev_b32_e32 v27, 29, v28
	v_add_u32_e32 v27, v26, v27
	v_ashrrev_i32_e32 v27, 3, v27
	s_waitcnt lgkmcnt(1)
	v_lshrrev_b32_e32 v29, 29, v27
	v_add_u32_e32 v29, v27, v29
	v_and_b32_e32 v29, -8, v29
	v_sub_u32_e32 v29, v27, v29
	v_cmp_eq_u32_e64 s[2:3], v17, v29
	s_and_saveexec_b64 s[4:5], s[2:3]
	s_cbranch_execz .LBB261_8
; %bb.26:                               ;   in Loop: Header=BB261_10 Depth=1
	v_lshrrev_b32_e32 v28, 26, v28
	v_add_u32_e32 v28, v26, v28
	v_lshlrev_b32_e32 v27, 3, v27
	v_ashrrev_i32_e32 v28, 6, v28
	v_sub_u32_e32 v26, v26, v27
	v_lshl_add_u32 v26, v28, 3, v26
	v_cmp_ne_u32_e64 s[2:3], 7, v26
	v_cndmask_b32_e64 v15, v24, v15, s[2:3]
	v_cmp_ne_u32_e64 s[2:3], 6, v26
	v_cndmask_b32_e64 v14, v24, v14, s[2:3]
	;; [unrolled: 2-line block ×8, first 2 shown]
	s_branch .LBB261_8
.LBB261_27:
                                        ; implicit-def: $vgpr8_vgpr9_vgpr10_vgpr11_vgpr12_vgpr13_vgpr14_vgpr15
	s_andn2_b64 vcc, exec, s[8:9]
	s_cbranch_vccz .LBB261_5
	s_branch .LBB261_6
.LBB261_28:
	v_mov_b32_e32 v19, 0
.LBB261_29:
	v_cmp_eq_u32_e64 s[0:1], 0, v17
	s_and_b64 s[0:1], s[0:1], vcc
	s_and_b64 exec, exec, s[0:1]
	s_cbranch_execz .LBB261_38
; %bb.30:
	s_andn2_b64 vcc, exec, s[6:7]
	s_cbranch_vccnz .LBB261_38
; %bb.31:
	v_cmp_lt_f32_e32 vcc, 0, v19
	s_mov_b32 s2, 0
	v_cndmask_b32_e32 v0, 1.0, v19, vcc
	v_mul_lo_u32 v4, v16, s8
	s_cmp_eq_u32 s8, 1
	s_mov_b64 s[0:1], -1
	s_cbranch_scc1 .LBB261_35
; %bb.32:
	s_and_b32 s2, s8, 0x7ffffffe
	v_mov_b32_e32 v1, v0
	v_mov_b32_e32 v5, s17
	s_mov_b32 s3, s2
	v_mov_b32_e32 v2, v4
.LBB261_33:                             ; =>This Inner Loop Header: Depth=1
	v_ashrrev_i32_e32 v3, 31, v2
	v_lshlrev_b64 v[6:7], 2, v[2:3]
	v_add_co_u32_e32 v6, vcc, s16, v6
	v_addc_co_u32_e32 v7, vcc, v5, v7, vcc
	global_load_dwordx2 v[8:9], v[6:7], off
	s_add_i32 s3, s3, -2
	s_cmp_lg_u32 s3, 0
	v_add_u32_e32 v2, 2, v2
	s_waitcnt vmcnt(0)
	v_div_scale_f32 v3, s[0:1], v1, v1, v9
	v_div_scale_f32 v11, s[0:1], v0, v0, v8
	v_rcp_f32_e32 v12, v3
	v_rcp_f32_e32 v13, v11
	v_div_scale_f32 v10, vcc, v9, v1, v9
	v_fma_f32 v15, -v3, v12, 1.0
	v_fma_f32 v16, -v11, v13, 1.0
	v_fmac_f32_e32 v12, v15, v12
	v_div_scale_f32 v14, s[0:1], v8, v0, v8
	v_fmac_f32_e32 v13, v16, v13
	v_mul_f32_e32 v15, v10, v12
	v_mul_f32_e32 v16, v14, v13
	v_fma_f32 v17, -v3, v15, v10
	v_fma_f32 v18, -v11, v16, v14
	v_fmac_f32_e32 v15, v17, v12
	v_fmac_f32_e32 v16, v18, v13
	v_fma_f32 v3, -v3, v15, v10
	v_fma_f32 v10, -v11, v16, v14
	v_div_fmas_f32 v3, v3, v12, v15
	s_mov_b64 vcc, s[0:1]
	v_div_fixup_f32 v9, v3, v1, v9
	v_div_fmas_f32 v3, v10, v13, v16
	v_div_fixup_f32 v8, v3, v0, v8
	global_store_dwordx2 v[6:7], v[8:9], off
	s_cbranch_scc1 .LBB261_33
; %bb.34:
	s_cmp_lg_u32 s2, s8
	s_cselect_b64 s[0:1], -1, 0
.LBB261_35:
	s_and_b64 vcc, exec, s[0:1]
	s_cbranch_vccz .LBB261_38
; %bb.36:
	v_ashrrev_i32_e32 v1, 31, v4
	v_add_co_u32_e32 v2, vcc, s2, v4
	v_addc_co_u32_e32 v3, vcc, 0, v1, vcc
	v_lshlrev_b64 v[2:3], 2, v[2:3]
	v_mov_b32_e32 v1, s17
	v_add_co_u32_e32 v2, vcc, s16, v2
	s_sub_i32 s0, s8, s2
	v_addc_co_u32_e32 v3, vcc, v1, v3, vcc
.LBB261_37:                             ; =>This Inner Loop Header: Depth=1
	global_load_dword v1, v[2:3], off
	s_add_i32 s0, s0, -1
	s_cmp_lg_u32 s0, 0
	s_waitcnt vmcnt(0)
	v_div_scale_f32 v4, s[2:3], v0, v0, v1
	v_rcp_f32_e32 v5, v4
	v_div_scale_f32 v6, vcc, v1, v0, v1
	v_fma_f32 v7, -v4, v5, 1.0
	v_fmac_f32_e32 v5, v7, v5
	v_mul_f32_e32 v7, v6, v5
	v_fma_f32 v8, -v4, v7, v6
	v_fmac_f32_e32 v7, v8, v5
	v_fma_f32 v4, -v4, v7, v6
	v_div_fmas_f32 v4, v4, v5, v7
	v_div_fixup_f32 v1, v4, v0, v1
	global_store_dword v[2:3], v1, off
	v_add_co_u32_e32 v2, vcc, 4, v2
	v_addc_co_u32_e32 v3, vcc, 0, v3, vcc
	s_cbranch_scc1 .LBB261_37
.LBB261_38:
	s_endpgm
	.section	.rodata,"a",@progbits
	.p2align	6, 0x0
	.amdhsa_kernel _ZN4vllm3moe10topkGatingILi8ELi64ELi4ELi16ELi64Ei6__halfLNS0_11ScoringFuncE1EEEvPKT5_PKbPfiPT4_PiiiibPKf
		.amdhsa_group_segment_fixed_size 0
		.amdhsa_private_segment_fixed_size 0
		.amdhsa_kernarg_size 72
		.amdhsa_user_sgpr_count 6
		.amdhsa_user_sgpr_private_segment_buffer 1
		.amdhsa_user_sgpr_dispatch_ptr 0
		.amdhsa_user_sgpr_queue_ptr 0
		.amdhsa_user_sgpr_kernarg_segment_ptr 1
		.amdhsa_user_sgpr_dispatch_id 0
		.amdhsa_user_sgpr_flat_scratch_init 0
		.amdhsa_user_sgpr_kernarg_preload_length 0
		.amdhsa_user_sgpr_kernarg_preload_offset 0
		.amdhsa_user_sgpr_private_segment_size 0
		.amdhsa_uses_dynamic_stack 0
		.amdhsa_system_sgpr_private_segment_wavefront_offset 0
		.amdhsa_system_sgpr_workgroup_id_x 1
		.amdhsa_system_sgpr_workgroup_id_y 0
		.amdhsa_system_sgpr_workgroup_id_z 0
		.amdhsa_system_sgpr_workgroup_info 0
		.amdhsa_system_vgpr_workitem_id 1
		.amdhsa_next_free_vgpr 34
		.amdhsa_next_free_sgpr 26
		.amdhsa_accum_offset 36
		.amdhsa_reserve_vcc 1
		.amdhsa_reserve_flat_scratch 0
		.amdhsa_float_round_mode_32 0
		.amdhsa_float_round_mode_16_64 0
		.amdhsa_float_denorm_mode_32 3
		.amdhsa_float_denorm_mode_16_64 3
		.amdhsa_dx10_clamp 1
		.amdhsa_ieee_mode 1
		.amdhsa_fp16_overflow 0
		.amdhsa_tg_split 0
		.amdhsa_exception_fp_ieee_invalid_op 0
		.amdhsa_exception_fp_denorm_src 0
		.amdhsa_exception_fp_ieee_div_zero 0
		.amdhsa_exception_fp_ieee_overflow 0
		.amdhsa_exception_fp_ieee_underflow 0
		.amdhsa_exception_fp_ieee_inexact 0
		.amdhsa_exception_int_div_zero 0
	.end_amdhsa_kernel
	.section	.text._ZN4vllm3moe10topkGatingILi8ELi64ELi4ELi16ELi64Ei6__halfLNS0_11ScoringFuncE1EEEvPKT5_PKbPfiPT4_PiiiibPKf,"axG",@progbits,_ZN4vllm3moe10topkGatingILi8ELi64ELi4ELi16ELi64Ei6__halfLNS0_11ScoringFuncE1EEEvPKT5_PKbPfiPT4_PiiiibPKf,comdat
.Lfunc_end261:
	.size	_ZN4vllm3moe10topkGatingILi8ELi64ELi4ELi16ELi64Ei6__halfLNS0_11ScoringFuncE1EEEvPKT5_PKbPfiPT4_PiiiibPKf, .Lfunc_end261-_ZN4vllm3moe10topkGatingILi8ELi64ELi4ELi16ELi64Ei6__halfLNS0_11ScoringFuncE1EEEvPKT5_PKbPfiPT4_PiiiibPKf
                                        ; -- End function
	.section	.AMDGPU.csdata,"",@progbits
; Kernel info:
; codeLenInByte = 2872
; NumSgprs: 30
; NumVgprs: 34
; NumAgprs: 0
; TotalNumVgprs: 34
; ScratchSize: 0
; MemoryBound: 0
; FloatMode: 240
; IeeeMode: 1
; LDSByteSize: 0 bytes/workgroup (compile time only)
; SGPRBlocks: 3
; VGPRBlocks: 4
; NumSGPRsForWavesPerEU: 30
; NumVGPRsForWavesPerEU: 34
; AccumOffset: 36
; Occupancy: 8
; WaveLimiterHint : 0
; COMPUTE_PGM_RSRC2:SCRATCH_EN: 0
; COMPUTE_PGM_RSRC2:USER_SGPR: 6
; COMPUTE_PGM_RSRC2:TRAP_HANDLER: 0
; COMPUTE_PGM_RSRC2:TGID_X_EN: 1
; COMPUTE_PGM_RSRC2:TGID_Y_EN: 0
; COMPUTE_PGM_RSRC2:TGID_Z_EN: 0
; COMPUTE_PGM_RSRC2:TIDIG_COMP_CNT: 1
; COMPUTE_PGM_RSRC3_GFX90A:ACCUM_OFFSET: 8
; COMPUTE_PGM_RSRC3_GFX90A:TG_SPLIT: 0
	.section	.text._ZN4vllm3moe10topkGatingILi8ELi64ELi4ELi16ELi32Ei6__halfLNS0_11ScoringFuncE1EEEvPKT5_PKbPfiPT4_PiiiibPKf,"axG",@progbits,_ZN4vllm3moe10topkGatingILi8ELi64ELi4ELi16ELi32Ei6__halfLNS0_11ScoringFuncE1EEEvPKT5_PKbPfiPT4_PiiiibPKf,comdat
	.protected	_ZN4vllm3moe10topkGatingILi8ELi64ELi4ELi16ELi32Ei6__halfLNS0_11ScoringFuncE1EEEvPKT5_PKbPfiPT4_PiiiibPKf ; -- Begin function _ZN4vllm3moe10topkGatingILi8ELi64ELi4ELi16ELi32Ei6__halfLNS0_11ScoringFuncE1EEEvPKT5_PKbPfiPT4_PiiiibPKf
	.globl	_ZN4vllm3moe10topkGatingILi8ELi64ELi4ELi16ELi32Ei6__halfLNS0_11ScoringFuncE1EEEvPKT5_PKbPfiPT4_PiiiibPKf
	.p2align	8
	.type	_ZN4vllm3moe10topkGatingILi8ELi64ELi4ELi16ELi32Ei6__halfLNS0_11ScoringFuncE1EEEvPKT5_PKbPfiPT4_PiiiibPKf,@function
_ZN4vllm3moe10topkGatingILi8ELi64ELi4ELi16ELi32Ei6__halfLNS0_11ScoringFuncE1EEEvPKT5_PKbPfiPT4_PiiiibPKf: ; @_ZN4vllm3moe10topkGatingILi8ELi64ELi4ELi16ELi32Ei6__halfLNS0_11ScoringFuncE1EEEvPKT5_PKbPfiPT4_PiiiibPKf
; %bb.0:
	s_load_dword s24, s[4:5], 0x18
	v_bfe_u32 v1, v0, 10, 10
	v_and_b32_e32 v0, 0x3ff, v0
	s_lshl_b32 s0, s6, 4
	v_lshlrev_b32_e32 v1, 2, v1
	v_lshrrev_b32_e32 v2, 3, v0
	v_add3_u32 v16, s0, v1, v2
	s_waitcnt lgkmcnt(0)
	v_cmp_gt_i32_e32 vcc, s24, v16
	s_and_saveexec_b64 s[0:1], vcc
	s_cbranch_execz .LBB262_38
; %bb.1:
	s_load_dwordx4 s[0:3], s[4:5], 0x0
	s_load_dwordx2 s[16:17], s[4:5], 0x10
	s_mov_b64 s[8:9], -1
	s_mov_b64 s[18:19], -1
	s_waitcnt lgkmcnt(0)
	s_cmp_eq_u64 s[2:3], 0
	s_cbranch_scc1 .LBB262_3
; %bb.2:
	v_ashrrev_i32_e32 v1, 31, v16
	v_mov_b32_e32 v3, s3
	v_add_co_u32_e32 v2, vcc, s2, v16
	v_addc_co_u32_e32 v3, vcc, v3, v1, vcc
	global_load_ubyte v1, v[2:3], off
	s_waitcnt vmcnt(0)
	v_and_b32_e32 v1, 1, v1
	v_cmp_eq_u32_e32 vcc, 1, v1
	s_xor_b64 s[2:3], vcc, -1
	s_orn2_b64 s[18:19], s[2:3], exec
.LBB262_3:
	v_lshlrev_b32_e32 v2, 6, v16
	v_ashrrev_i32_e32 v3, 31, v2
	v_lshlrev_b64 v[2:3], 1, v[2:3]
	v_mov_b32_e32 v1, s1
	v_add_co_u32_e32 v2, vcc, s0, v2
	v_and_b32_e32 v17, 7, v0
	v_addc_co_u32_e32 v1, vcc, v1, v3, vcc
	v_lshlrev_b32_e32 v0, 4, v17
	v_add_co_u32_e32 v0, vcc, v2, v0
	v_addc_co_u32_e32 v1, vcc, 0, v1, vcc
	global_load_dwordx4 v[0:3], v[0:1], off
	v_mov_b32_e32 v8, 0x207
	s_load_dwordx2 s[10:11], s[4:5], 0x40
	v_lshlrev_b32_e32 v18, 3, v17
	s_waitcnt lgkmcnt(0)
	s_cmp_eq_u64 s[10:11], 0
	s_waitcnt vmcnt(0)
	v_cvt_f32_f16_e32 v4, v0
	v_cvt_f32_f16_sdwa v0, v0 dst_sel:DWORD dst_unused:UNUSED_PAD src0_sel:WORD_1
	v_cvt_f32_f16_e32 v5, v1
	v_cvt_f32_f16_sdwa v1, v1 dst_sel:DWORD dst_unused:UNUSED_PAD src0_sel:WORD_1
	v_mul_f32_e32 v4, 0xbfb8aa3b, v4
	v_mul_f32_e32 v9, 0xbfb8aa3b, v0
	v_cvt_f32_f16_e32 v6, v2
	v_cvt_f32_f16_sdwa v2, v2 dst_sel:DWORD dst_unused:UNUSED_PAD src0_sel:WORD_1
	v_cvt_f32_f16_e32 v7, v3
	v_cvt_f32_f16_sdwa v3, v3 dst_sel:DWORD dst_unused:UNUSED_PAD src0_sel:WORD_1
	v_mul_f32_e32 v10, 0xbfb8aa3b, v1
	v_exp_f32_e32 v0, v4
	v_exp_f32_e32 v1, v9
	v_mul_f32_e32 v5, 0xbfb8aa3b, v5
	v_mul_f32_e32 v11, 0xbfb8aa3b, v2
	;; [unrolled: 1-line block ×3, first 2 shown]
	v_exp_f32_e32 v2, v5
	v_exp_f32_e32 v3, v10
	v_pk_add_f32 v[0:1], v[0:1], 1.0 op_sel_hi:[1,0]
	v_div_scale_f32 v9, s[0:1], v1, v1, 1.0
	v_rcp_f32_e32 v21, v9
	v_exp_f32_e32 v5, v11
	v_div_scale_f32 v11, s[0:1], v0, v0, 1.0
	v_pk_add_f32 v[2:3], v[2:3], 1.0 op_sel_hi:[1,0]
	v_rcp_f32_e32 v22, v11
	v_div_scale_f32 v13, s[2:3], v3, v3, 1.0
	v_rcp_f32_e32 v23, v13
	v_fma_f32 v26, -v9, v21, 1.0
	v_div_scale_f32 v10, vcc, 1.0, v1, 1.0
	v_div_scale_f32 v15, s[6:7], v2, v2, 1.0
	v_fmac_f32_e32 v21, v26, v21
	v_mul_f32_e32 v6, 0xbfb8aa3b, v6
	v_mul_f32_e32 v7, 0xbfb8aa3b, v7
	v_rcp_f32_e32 v24, v15
	v_fma_f32 v27, -v11, v22, 1.0
	v_mul_f32_e32 v26, v10, v21
	v_exp_f32_e32 v4, v6
	v_exp_f32_e32 v6, v7
	;; [unrolled: 1-line block ×3, first 2 shown]
	v_div_scale_f32 v12, s[0:1], 1.0, v0, 1.0
	v_fmac_f32_e32 v22, v27, v22
	v_fma_f32 v30, -v9, v26, v10
	v_fma_f32 v28, -v13, v23, 1.0
	v_mul_f32_e32 v27, v12, v22
	v_fmac_f32_e32 v26, v30, v21
	v_div_scale_f32 v14, s[2:3], 1.0, v3, 1.0
	v_fmac_f32_e32 v23, v28, v23
	v_fma_f32 v31, -v11, v27, v12
	v_fma_f32 v9, -v9, v26, v10
	v_fma_f32 v29, -v15, v24, 1.0
	v_mul_f32_e32 v28, v14, v23
	v_fmac_f32_e32 v27, v31, v22
	v_div_fmas_f32 v9, v9, v21, v26
	v_div_scale_f32 v19, s[6:7], 1.0, v2, 1.0
	v_fmac_f32_e32 v24, v29, v24
	v_fma_f32 v32, -v13, v28, v14
	v_fma_f32 v10, -v11, v27, v12
	v_div_fixup_f32 v1, v9, v1, 1.0
	s_mov_b64 vcc, s[0:1]
	v_pk_add_f32 v[4:5], v[4:5], 1.0 op_sel_hi:[1,0]
	v_mul_f32_e32 v29, v19, v24
	v_fmac_f32_e32 v28, v32, v23
	v_div_fmas_f32 v9, v10, v22, v27
	v_cmp_class_f32_e32 vcc, v1, v8
	v_div_scale_f32 v20, s[12:13], v5, v5, 1.0
	v_fma_f32 v33, -v15, v29, v19
	v_fma_f32 v11, -v13, v28, v14
	v_div_fixup_f32 v0, v9, v0, 1.0
	v_cndmask_b32_e64 v1, v1, 0, vcc
	s_mov_b64 vcc, s[2:3]
	v_rcp_f32_e32 v25, v20
	v_fmac_f32_e32 v29, v33, v24
	v_div_fmas_f32 v9, v11, v23, v28
	v_cmp_class_f32_e32 vcc, v0, v8
	v_fma_f32 v12, -v15, v29, v19
	v_cndmask_b32_e64 v0, v0, 0, vcc
	s_mov_b64 vcc, s[6:7]
	v_div_fixup_f32 v3, v9, v3, 1.0
	v_div_fmas_f32 v9, v12, v24, v29
	v_div_fixup_f32 v2, v9, v2, 1.0
	v_cmp_class_f32_e32 vcc, v3, v8
	v_cndmask_b32_e64 v3, v3, 0, vcc
	v_cmp_class_f32_e32 vcc, v2, v8
	v_fma_f32 v9, -v20, v25, 1.0
	v_cndmask_b32_e64 v2, v2, 0, vcc
	v_fmac_f32_e32 v25, v9, v25
	v_div_scale_f32 v9, vcc, 1.0, v5, 1.0
	v_mul_f32_e32 v10, v9, v25
	v_fma_f32 v11, -v20, v10, v9
	v_fmac_f32_e32 v10, v11, v25
	v_div_scale_f32 v11, s[0:1], v4, v4, 1.0
	v_rcp_f32_e32 v12, v11
	v_fma_f32 v9, -v20, v10, v9
	v_div_fmas_f32 v9, v9, v25, v10
	v_div_fixup_f32 v5, v9, v5, 1.0
	v_fma_f32 v9, -v11, v12, 1.0
	v_fmac_f32_e32 v12, v9, v12
	v_div_scale_f32 v9, vcc, 1.0, v4, 1.0
	v_mul_f32_e32 v10, v9, v12
	v_fma_f32 v13, -v11, v10, v9
	v_fmac_f32_e32 v10, v13, v12
	v_fma_f32 v9, -v11, v10, v9
	v_div_fmas_f32 v9, v9, v12, v10
	v_pk_add_f32 v[6:7], v[6:7], 1.0 op_sel_hi:[1,0]
	v_div_fixup_f32 v4, v9, v4, 1.0
	v_div_scale_f32 v9, s[0:1], v7, v7, 1.0
	v_rcp_f32_e32 v10, v9
	v_cmp_class_f32_e32 vcc, v5, v8
	v_cndmask_b32_e64 v5, v5, 0, vcc
	v_cmp_class_f32_e32 vcc, v4, v8
	v_fma_f32 v11, -v9, v10, 1.0
	v_cndmask_b32_e64 v4, v4, 0, vcc
	v_fmac_f32_e32 v10, v11, v10
	v_div_scale_f32 v11, vcc, 1.0, v7, 1.0
	v_mul_f32_e32 v12, v11, v10
	v_fma_f32 v13, -v9, v12, v11
	v_fmac_f32_e32 v12, v13, v10
	v_fma_f32 v9, -v9, v12, v11
	v_div_scale_f32 v11, s[0:1], v6, v6, 1.0
	v_rcp_f32_e32 v13, v11
	v_div_fmas_f32 v9, v9, v10, v12
	v_div_fixup_f32 v7, v9, v7, 1.0
	v_fma_f32 v9, -v11, v13, 1.0
	v_fmac_f32_e32 v13, v9, v13
	v_div_scale_f32 v9, vcc, 1.0, v6, 1.0
	v_mul_f32_e32 v10, v9, v13
	v_fma_f32 v12, -v11, v10, v9
	v_fmac_f32_e32 v10, v12, v13
	v_fma_f32 v9, -v11, v10, v9
	v_div_fmas_f32 v9, v9, v13, v10
	v_div_fixup_f32 v6, v9, v6, 1.0
	v_cmp_class_f32_e32 vcc, v7, v8
	v_cndmask_b32_e64 v7, v7, 0, vcc
	v_cmp_class_f32_e32 vcc, v6, v8
	v_cndmask_b32_e64 v6, v6, 0, vcc
	s_cbranch_scc1 .LBB262_27
; %bb.4:
	v_lshlrev_b32_e32 v19, 2, v18
	global_load_dwordx4 v[8:11], v19, s[10:11]
	global_load_dwordx4 v[12:15], v19, s[10:11] offset:16
	s_waitcnt vmcnt(1)
	v_pk_add_f32 v[8:9], v[8:9], v[0:1]
	v_pk_add_f32 v[10:11], v[10:11], v[2:3]
	s_waitcnt vmcnt(0)
	v_pk_add_f32 v[12:13], v[12:13], v[4:5]
	v_pk_add_f32 v[14:15], v[14:15], v[6:7]
	s_cbranch_execnz .LBB262_6
.LBB262_5:
	v_pk_mov_b32 v[14:15], v[6:7], v[6:7] op_sel:[0,1]
	v_pk_mov_b32 v[12:13], v[4:5], v[4:5] op_sel:[0,1]
	;; [unrolled: 1-line block ×4, first 2 shown]
.LBB262_6:
	s_load_dwordx4 s[8:11], s[4:5], 0x30
	s_mov_b32 s25, 0
	v_cmp_eq_u32_e64 s[0:1], 0, v17
	s_waitcnt lgkmcnt(0)
	s_bitcmp1_b32 s11, 0
	s_cselect_b64 vcc, -1, 0
	s_cmp_gt_i32 s8, 0
	s_cselect_b64 s[6:7], -1, 0
	s_cmp_lt_i32 s8, 1
	s_cbranch_scc1 .LBB262_28
; %bb.7:
	v_mbcnt_lo_u32_b32 v19, -1, 0
	v_mbcnt_hi_u32_b32 v19, -1, v19
	v_and_b32_e32 v20, 0x78, v19
	v_add_u32_e32 v23, 8, v20
	v_xor_b32_e32 v21, 4, v19
	s_load_dwordx4 s[12:15], s[4:5], 0x20
	v_cmp_lt_i32_e64 s[2:3], v21, v23
	v_xor_b32_e32 v22, 2, v19
	v_cndmask_b32_e64 v21, v19, v21, s[2:3]
	v_cmp_lt_i32_e64 s[2:3], v22, v23
	v_xor_b32_e32 v24, 1, v19
	v_cndmask_b32_e64 v22, v19, v22, s[2:3]
	v_cmp_lt_i32_e64 s[2:3], v24, v23
	v_cndmask_b32_e64 v19, v19, v24, s[2:3]
	v_mul_lo_u32 v20, v16, s8
	v_lshlrev_b32_e32 v21, 2, v21
	v_lshlrev_b32_e32 v22, 2, v22
	;; [unrolled: 1-line block ×3, first 2 shown]
	v_mov_b32_e32 v19, 0
	v_mov_b32_e32 v24, 0xc61c4000
	;; [unrolled: 1-line block ×3, first 2 shown]
	s_branch .LBB262_10
.LBB262_8:                              ;   in Loop: Header=BB262_10 Depth=1
	s_or_b64 exec, exec, s[4:5]
.LBB262_9:                              ;   in Loop: Header=BB262_10 Depth=1
	s_cmp_eq_u32 s8, s25
	v_add_u32_e32 v25, s24, v25
	s_cbranch_scc1 .LBB262_29
.LBB262_10:                             ; =>This Inner Loop Header: Depth=1
	v_cmp_gt_f32_e64 s[2:3], v9, v8
	v_cndmask_b32_e64 v28, v8, v9, s[2:3]
	v_cndmask_b32_e64 v26, 0, 1, s[2:3]
	v_cndmask_b32_e64 v27, v0, v1, s[2:3]
	v_cmp_gt_f32_e64 s[2:3], v10, v28
	v_cndmask_b32_e64 v28, v28, v10, s[2:3]
	v_cndmask_b32_e64 v26, v26, 2, s[2:3]
	v_cndmask_b32_e64 v27, v27, v2, s[2:3]
	;; [unrolled: 4-line block ×6, first 2 shown]
	v_cmp_gt_f32_e64 s[2:3], v15, v28
	v_cndmask_b32_e64 v26, v26, 7, s[2:3]
	v_cndmask_b32_e64 v28, v28, v15, s[2:3]
	v_or_b32_e32 v26, v18, v26
	v_cndmask_b32_e64 v27, v27, v7, s[2:3]
	s_waitcnt lgkmcnt(0)
	ds_bpermute_b32 v29, v21, v28
	ds_bpermute_b32 v31, v21, v27
	;; [unrolled: 1-line block ×3, first 2 shown]
	s_waitcnt lgkmcnt(0)
	v_cmp_lt_f32_e64 s[20:21], v28, v29
	v_cmp_nlt_f32_e64 s[2:3], v28, v29
	s_and_saveexec_b64 s[22:23], s[2:3]
; %bb.11:                               ;   in Loop: Header=BB262_10 Depth=1
	v_cmp_eq_f32_e64 s[2:3], v28, v29
	v_cmp_lt_i32_e64 s[4:5], v30, v26
	s_and_b64 s[2:3], s[2:3], s[4:5]
	s_andn2_b64 s[4:5], s[20:21], exec
	s_and_b64 s[2:3], s[2:3], exec
	s_or_b64 s[20:21], s[4:5], s[2:3]
; %bb.12:                               ;   in Loop: Header=BB262_10 Depth=1
	s_or_b64 exec, exec, s[22:23]
	s_and_saveexec_b64 s[2:3], s[20:21]
; %bb.13:                               ;   in Loop: Header=BB262_10 Depth=1
	v_mov_b32_e32 v27, v31
	v_mov_b32_e32 v28, v29
	;; [unrolled: 1-line block ×3, first 2 shown]
; %bb.14:                               ;   in Loop: Header=BB262_10 Depth=1
	s_or_b64 exec, exec, s[2:3]
	ds_bpermute_b32 v29, v22, v28
	ds_bpermute_b32 v31, v22, v27
	;; [unrolled: 1-line block ×3, first 2 shown]
	s_waitcnt lgkmcnt(2)
	v_cmp_lt_f32_e64 s[20:21], v28, v29
	v_cmp_nlt_f32_e64 s[2:3], v28, v29
	s_and_saveexec_b64 s[22:23], s[2:3]
	s_cbranch_execz .LBB262_16
; %bb.15:                               ;   in Loop: Header=BB262_10 Depth=1
	v_cmp_eq_f32_e64 s[2:3], v28, v29
	s_waitcnt lgkmcnt(0)
	v_cmp_lt_i32_e64 s[4:5], v30, v26
	s_and_b64 s[2:3], s[2:3], s[4:5]
	s_andn2_b64 s[4:5], s[20:21], exec
	s_and_b64 s[2:3], s[2:3], exec
	s_or_b64 s[20:21], s[4:5], s[2:3]
.LBB262_16:                             ;   in Loop: Header=BB262_10 Depth=1
	s_or_b64 exec, exec, s[22:23]
	s_and_saveexec_b64 s[2:3], s[20:21]
	s_cbranch_execz .LBB262_18
; %bb.17:                               ;   in Loop: Header=BB262_10 Depth=1
	s_waitcnt lgkmcnt(1)
	v_mov_b32_e32 v27, v31
	v_mov_b32_e32 v28, v29
	s_waitcnt lgkmcnt(0)
	v_mov_b32_e32 v26, v30
.LBB262_18:                             ;   in Loop: Header=BB262_10 Depth=1
	s_or_b64 exec, exec, s[2:3]
	s_waitcnt lgkmcnt(1)
	ds_bpermute_b32 v31, v23, v28
	ds_bpermute_b32 v29, v23, v27
	s_waitcnt lgkmcnt(2)
	ds_bpermute_b32 v30, v23, v26
	s_waitcnt lgkmcnt(2)
	v_cmp_lt_f32_e64 s[20:21], v28, v31
	v_cmp_nlt_f32_e64 s[2:3], v28, v31
	s_and_saveexec_b64 s[22:23], s[2:3]
	s_cbranch_execnz .LBB262_22
; %bb.19:                               ;   in Loop: Header=BB262_10 Depth=1
	s_or_b64 exec, exec, s[22:23]
	s_and_saveexec_b64 s[2:3], s[20:21]
	s_cbranch_execnz .LBB262_23
.LBB262_20:                             ;   in Loop: Header=BB262_10 Depth=1
	s_or_b64 exec, exec, s[2:3]
	s_and_saveexec_b64 s[20:21], s[0:1]
	s_cbranch_execnz .LBB262_24
.LBB262_21:                             ;   in Loop: Header=BB262_10 Depth=1
	s_or_b64 exec, exec, s[20:21]
	s_add_i32 s25, s25, 1
	s_cmp_ge_i32 s25, s8
	s_cbranch_scc1 .LBB262_9
	s_branch .LBB262_25
.LBB262_22:                             ;   in Loop: Header=BB262_10 Depth=1
	v_cmp_eq_f32_e64 s[2:3], v28, v31
	s_waitcnt lgkmcnt(0)
	v_cmp_lt_i32_e64 s[4:5], v30, v26
	s_and_b64 s[2:3], s[2:3], s[4:5]
	s_andn2_b64 s[4:5], s[20:21], exec
	s_and_b64 s[2:3], s[2:3], exec
	s_or_b64 s[20:21], s[4:5], s[2:3]
	s_or_b64 exec, exec, s[22:23]
	s_and_saveexec_b64 s[2:3], s[20:21]
	s_cbranch_execz .LBB262_20
.LBB262_23:                             ;   in Loop: Header=BB262_10 Depth=1
	s_waitcnt lgkmcnt(0)
	v_mov_b32_e32 v26, v30
	v_mov_b32_e32 v27, v29
	s_or_b64 exec, exec, s[2:3]
	s_and_saveexec_b64 s[20:21], s[0:1]
	s_cbranch_execz .LBB262_21
.LBB262_24:                             ;   in Loop: Header=BB262_10 Depth=1
	v_add_u32_e32 v28, s25, v20
	s_waitcnt lgkmcnt(1)
	v_ashrrev_i32_e32 v29, 31, v28
	v_cmp_le_i32_e64 s[2:3], s9, v26
	v_cmp_gt_i32_e64 s[4:5], s10, v26
	v_lshlrev_b64 v[28:29], 2, v[28:29]
	s_and_b64 s[4:5], s[2:3], s[4:5]
	v_mov_b32_e32 v31, s17
	s_waitcnt lgkmcnt(0)
	v_add_co_u32_e64 v30, s[2:3], s16, v28
	v_addc_co_u32_e64 v31, s[2:3], v31, v29, s[2:3]
	global_store_dword v[30:31], v27, off
	v_subrev_u32_e32 v30, s9, v26
	s_and_b64 s[2:3], s[18:19], s[4:5]
	v_cndmask_b32_e64 v32, 64, v30, s[2:3]
	v_mov_b32_e32 v31, s13
	v_add_co_u32_e64 v30, s[2:3], s12, v28
	v_addc_co_u32_e64 v31, s[2:3], v31, v29, s[2:3]
	global_store_dword v[30:31], v32, off
	v_mov_b32_e32 v30, s15
	v_add_co_u32_e64 v28, s[2:3], s14, v28
	v_add_f32_e32 v27, v19, v27
	v_addc_co_u32_e64 v29, s[2:3], v30, v29, s[2:3]
	v_cndmask_b32_e32 v19, v19, v27, vcc
	global_store_dword v[28:29], v25, off
	s_or_b64 exec, exec, s[20:21]
	s_add_i32 s25, s25, 1
	s_cmp_ge_i32 s25, s8
	s_cbranch_scc1 .LBB262_9
.LBB262_25:                             ;   in Loop: Header=BB262_10 Depth=1
	v_ashrrev_i32_e32 v28, 31, v26
	v_lshrrev_b32_e32 v27, 29, v28
	v_add_u32_e32 v27, v26, v27
	v_ashrrev_i32_e32 v27, 3, v27
	s_waitcnt lgkmcnt(1)
	v_lshrrev_b32_e32 v29, 29, v27
	v_add_u32_e32 v29, v27, v29
	v_and_b32_e32 v29, -8, v29
	v_sub_u32_e32 v29, v27, v29
	v_cmp_eq_u32_e64 s[2:3], v17, v29
	s_and_saveexec_b64 s[4:5], s[2:3]
	s_cbranch_execz .LBB262_8
; %bb.26:                               ;   in Loop: Header=BB262_10 Depth=1
	v_lshrrev_b32_e32 v28, 26, v28
	v_add_u32_e32 v28, v26, v28
	v_lshlrev_b32_e32 v27, 3, v27
	v_ashrrev_i32_e32 v28, 6, v28
	v_sub_u32_e32 v26, v26, v27
	v_lshl_add_u32 v26, v28, 3, v26
	v_cmp_ne_u32_e64 s[2:3], 7, v26
	v_cndmask_b32_e64 v15, v24, v15, s[2:3]
	v_cmp_ne_u32_e64 s[2:3], 6, v26
	v_cndmask_b32_e64 v14, v24, v14, s[2:3]
	v_cmp_ne_u32_e64 s[2:3], 5, v26
	v_cndmask_b32_e64 v13, v24, v13, s[2:3]
	v_cmp_ne_u32_e64 s[2:3], 4, v26
	v_cndmask_b32_e64 v12, v24, v12, s[2:3]
	v_cmp_ne_u32_e64 s[2:3], 3, v26
	v_cndmask_b32_e64 v11, v24, v11, s[2:3]
	v_cmp_ne_u32_e64 s[2:3], 2, v26
	v_cndmask_b32_e64 v10, v24, v10, s[2:3]
	v_cmp_ne_u32_e64 s[2:3], 1, v26
	v_cndmask_b32_e64 v9, v24, v9, s[2:3]
	v_cmp_ne_u32_e64 s[2:3], 0, v26
	v_cndmask_b32_e64 v8, v24, v8, s[2:3]
	s_branch .LBB262_8
.LBB262_27:
                                        ; implicit-def: $vgpr8_vgpr9_vgpr10_vgpr11_vgpr12_vgpr13_vgpr14_vgpr15
	s_andn2_b64 vcc, exec, s[8:9]
	s_cbranch_vccz .LBB262_5
	s_branch .LBB262_6
.LBB262_28:
	v_mov_b32_e32 v19, 0
.LBB262_29:
	v_cmp_eq_u32_e64 s[0:1], 0, v17
	s_and_b64 s[0:1], s[0:1], vcc
	s_and_b64 exec, exec, s[0:1]
	s_cbranch_execz .LBB262_38
; %bb.30:
	s_andn2_b64 vcc, exec, s[6:7]
	s_cbranch_vccnz .LBB262_38
; %bb.31:
	v_cmp_lt_f32_e32 vcc, 0, v19
	s_mov_b32 s2, 0
	v_cndmask_b32_e32 v0, 1.0, v19, vcc
	v_mul_lo_u32 v4, v16, s8
	s_cmp_eq_u32 s8, 1
	s_mov_b64 s[0:1], -1
	s_cbranch_scc1 .LBB262_35
; %bb.32:
	s_and_b32 s2, s8, 0x7ffffffe
	v_mov_b32_e32 v1, v0
	v_mov_b32_e32 v5, s17
	s_mov_b32 s3, s2
	v_mov_b32_e32 v2, v4
.LBB262_33:                             ; =>This Inner Loop Header: Depth=1
	v_ashrrev_i32_e32 v3, 31, v2
	v_lshlrev_b64 v[6:7], 2, v[2:3]
	v_add_co_u32_e32 v6, vcc, s16, v6
	v_addc_co_u32_e32 v7, vcc, v5, v7, vcc
	global_load_dwordx2 v[8:9], v[6:7], off
	s_add_i32 s3, s3, -2
	s_cmp_lg_u32 s3, 0
	v_add_u32_e32 v2, 2, v2
	s_waitcnt vmcnt(0)
	v_div_scale_f32 v3, s[0:1], v1, v1, v9
	v_div_scale_f32 v11, s[0:1], v0, v0, v8
	v_rcp_f32_e32 v12, v3
	v_rcp_f32_e32 v13, v11
	v_div_scale_f32 v10, vcc, v9, v1, v9
	v_fma_f32 v15, -v3, v12, 1.0
	v_fma_f32 v16, -v11, v13, 1.0
	v_fmac_f32_e32 v12, v15, v12
	v_div_scale_f32 v14, s[0:1], v8, v0, v8
	v_fmac_f32_e32 v13, v16, v13
	v_mul_f32_e32 v15, v10, v12
	v_mul_f32_e32 v16, v14, v13
	v_fma_f32 v17, -v3, v15, v10
	v_fma_f32 v18, -v11, v16, v14
	v_fmac_f32_e32 v15, v17, v12
	v_fmac_f32_e32 v16, v18, v13
	v_fma_f32 v3, -v3, v15, v10
	v_fma_f32 v10, -v11, v16, v14
	v_div_fmas_f32 v3, v3, v12, v15
	s_mov_b64 vcc, s[0:1]
	v_div_fixup_f32 v9, v3, v1, v9
	v_div_fmas_f32 v3, v10, v13, v16
	v_div_fixup_f32 v8, v3, v0, v8
	global_store_dwordx2 v[6:7], v[8:9], off
	s_cbranch_scc1 .LBB262_33
; %bb.34:
	s_cmp_lg_u32 s2, s8
	s_cselect_b64 s[0:1], -1, 0
.LBB262_35:
	s_and_b64 vcc, exec, s[0:1]
	s_cbranch_vccz .LBB262_38
; %bb.36:
	v_ashrrev_i32_e32 v1, 31, v4
	v_add_co_u32_e32 v2, vcc, s2, v4
	v_addc_co_u32_e32 v3, vcc, 0, v1, vcc
	v_lshlrev_b64 v[2:3], 2, v[2:3]
	v_mov_b32_e32 v1, s17
	v_add_co_u32_e32 v2, vcc, s16, v2
	s_sub_i32 s0, s8, s2
	v_addc_co_u32_e32 v3, vcc, v1, v3, vcc
.LBB262_37:                             ; =>This Inner Loop Header: Depth=1
	global_load_dword v1, v[2:3], off
	s_add_i32 s0, s0, -1
	s_cmp_lg_u32 s0, 0
	s_waitcnt vmcnt(0)
	v_div_scale_f32 v4, s[2:3], v0, v0, v1
	v_rcp_f32_e32 v5, v4
	v_div_scale_f32 v6, vcc, v1, v0, v1
	v_fma_f32 v7, -v4, v5, 1.0
	v_fmac_f32_e32 v5, v7, v5
	v_mul_f32_e32 v7, v6, v5
	v_fma_f32 v8, -v4, v7, v6
	v_fmac_f32_e32 v7, v8, v5
	v_fma_f32 v4, -v4, v7, v6
	v_div_fmas_f32 v4, v4, v5, v7
	v_div_fixup_f32 v1, v4, v0, v1
	global_store_dword v[2:3], v1, off
	v_add_co_u32_e32 v2, vcc, 4, v2
	v_addc_co_u32_e32 v3, vcc, 0, v3, vcc
	s_cbranch_scc1 .LBB262_37
.LBB262_38:
	s_endpgm
	.section	.rodata,"a",@progbits
	.p2align	6, 0x0
	.amdhsa_kernel _ZN4vllm3moe10topkGatingILi8ELi64ELi4ELi16ELi32Ei6__halfLNS0_11ScoringFuncE1EEEvPKT5_PKbPfiPT4_PiiiibPKf
		.amdhsa_group_segment_fixed_size 0
		.amdhsa_private_segment_fixed_size 0
		.amdhsa_kernarg_size 72
		.amdhsa_user_sgpr_count 6
		.amdhsa_user_sgpr_private_segment_buffer 1
		.amdhsa_user_sgpr_dispatch_ptr 0
		.amdhsa_user_sgpr_queue_ptr 0
		.amdhsa_user_sgpr_kernarg_segment_ptr 1
		.amdhsa_user_sgpr_dispatch_id 0
		.amdhsa_user_sgpr_flat_scratch_init 0
		.amdhsa_user_sgpr_kernarg_preload_length 0
		.amdhsa_user_sgpr_kernarg_preload_offset 0
		.amdhsa_user_sgpr_private_segment_size 0
		.amdhsa_uses_dynamic_stack 0
		.amdhsa_system_sgpr_private_segment_wavefront_offset 0
		.amdhsa_system_sgpr_workgroup_id_x 1
		.amdhsa_system_sgpr_workgroup_id_y 0
		.amdhsa_system_sgpr_workgroup_id_z 0
		.amdhsa_system_sgpr_workgroup_info 0
		.amdhsa_system_vgpr_workitem_id 1
		.amdhsa_next_free_vgpr 34
		.amdhsa_next_free_sgpr 26
		.amdhsa_accum_offset 36
		.amdhsa_reserve_vcc 1
		.amdhsa_reserve_flat_scratch 0
		.amdhsa_float_round_mode_32 0
		.amdhsa_float_round_mode_16_64 0
		.amdhsa_float_denorm_mode_32 3
		.amdhsa_float_denorm_mode_16_64 3
		.amdhsa_dx10_clamp 1
		.amdhsa_ieee_mode 1
		.amdhsa_fp16_overflow 0
		.amdhsa_tg_split 0
		.amdhsa_exception_fp_ieee_invalid_op 0
		.amdhsa_exception_fp_denorm_src 0
		.amdhsa_exception_fp_ieee_div_zero 0
		.amdhsa_exception_fp_ieee_overflow 0
		.amdhsa_exception_fp_ieee_underflow 0
		.amdhsa_exception_fp_ieee_inexact 0
		.amdhsa_exception_int_div_zero 0
	.end_amdhsa_kernel
	.section	.text._ZN4vllm3moe10topkGatingILi8ELi64ELi4ELi16ELi32Ei6__halfLNS0_11ScoringFuncE1EEEvPKT5_PKbPfiPT4_PiiiibPKf,"axG",@progbits,_ZN4vllm3moe10topkGatingILi8ELi64ELi4ELi16ELi32Ei6__halfLNS0_11ScoringFuncE1EEEvPKT5_PKbPfiPT4_PiiiibPKf,comdat
.Lfunc_end262:
	.size	_ZN4vllm3moe10topkGatingILi8ELi64ELi4ELi16ELi32Ei6__halfLNS0_11ScoringFuncE1EEEvPKT5_PKbPfiPT4_PiiiibPKf, .Lfunc_end262-_ZN4vllm3moe10topkGatingILi8ELi64ELi4ELi16ELi32Ei6__halfLNS0_11ScoringFuncE1EEEvPKT5_PKbPfiPT4_PiiiibPKf
                                        ; -- End function
	.section	.AMDGPU.csdata,"",@progbits
; Kernel info:
; codeLenInByte = 2872
; NumSgprs: 30
; NumVgprs: 34
; NumAgprs: 0
; TotalNumVgprs: 34
; ScratchSize: 0
; MemoryBound: 0
; FloatMode: 240
; IeeeMode: 1
; LDSByteSize: 0 bytes/workgroup (compile time only)
; SGPRBlocks: 3
; VGPRBlocks: 4
; NumSGPRsForWavesPerEU: 30
; NumVGPRsForWavesPerEU: 34
; AccumOffset: 36
; Occupancy: 8
; WaveLimiterHint : 0
; COMPUTE_PGM_RSRC2:SCRATCH_EN: 0
; COMPUTE_PGM_RSRC2:USER_SGPR: 6
; COMPUTE_PGM_RSRC2:TRAP_HANDLER: 0
; COMPUTE_PGM_RSRC2:TGID_X_EN: 1
; COMPUTE_PGM_RSRC2:TGID_Y_EN: 0
; COMPUTE_PGM_RSRC2:TGID_Z_EN: 0
; COMPUTE_PGM_RSRC2:TIDIG_COMP_CNT: 1
; COMPUTE_PGM_RSRC3_GFX90A:ACCUM_OFFSET: 8
; COMPUTE_PGM_RSRC3_GFX90A:TG_SPLIT: 0
	.section	.text._ZN4vllm3moe10topkGatingILi8ELi128ELi4ELi16ELi64Ei6__halfLNS0_11ScoringFuncE1EEEvPKT5_PKbPfiPT4_PiiiibPKf,"axG",@progbits,_ZN4vllm3moe10topkGatingILi8ELi128ELi4ELi16ELi64Ei6__halfLNS0_11ScoringFuncE1EEEvPKT5_PKbPfiPT4_PiiiibPKf,comdat
	.protected	_ZN4vllm3moe10topkGatingILi8ELi128ELi4ELi16ELi64Ei6__halfLNS0_11ScoringFuncE1EEEvPKT5_PKbPfiPT4_PiiiibPKf ; -- Begin function _ZN4vllm3moe10topkGatingILi8ELi128ELi4ELi16ELi64Ei6__halfLNS0_11ScoringFuncE1EEEvPKT5_PKbPfiPT4_PiiiibPKf
	.globl	_ZN4vllm3moe10topkGatingILi8ELi128ELi4ELi16ELi64Ei6__halfLNS0_11ScoringFuncE1EEEvPKT5_PKbPfiPT4_PiiiibPKf
	.p2align	8
	.type	_ZN4vllm3moe10topkGatingILi8ELi128ELi4ELi16ELi64Ei6__halfLNS0_11ScoringFuncE1EEEvPKT5_PKbPfiPT4_PiiiibPKf,@function
_ZN4vllm3moe10topkGatingILi8ELi128ELi4ELi16ELi64Ei6__halfLNS0_11ScoringFuncE1EEEvPKT5_PKbPfiPT4_PiiiibPKf: ; @_ZN4vllm3moe10topkGatingILi8ELi128ELi4ELi16ELi64Ei6__halfLNS0_11ScoringFuncE1EEEvPKT5_PKbPfiPT4_PiiiibPKf
; %bb.0:
	s_load_dword s24, s[4:5], 0x18
	v_bfe_u32 v1, v0, 10, 10
	v_and_b32_e32 v0, 0x3ff, v0
	s_lshl_b32 s0, s6, 4
	v_lshlrev_b32_e32 v1, 2, v1
	v_lshrrev_b32_e32 v2, 4, v0
	v_add3_u32 v17, s0, v1, v2
	s_waitcnt lgkmcnt(0)
	v_cmp_gt_i32_e32 vcc, s24, v17
	s_and_saveexec_b64 s[0:1], vcc
	s_cbranch_execz .LBB263_38
; %bb.1:
	s_load_dwordx4 s[0:3], s[4:5], 0x0
	s_load_dwordx2 s[16:17], s[4:5], 0x10
	s_mov_b64 s[8:9], -1
	s_mov_b64 s[18:19], -1
	s_waitcnt lgkmcnt(0)
	s_cmp_eq_u64 s[2:3], 0
	s_cbranch_scc1 .LBB263_3
; %bb.2:
	v_ashrrev_i32_e32 v1, 31, v17
	v_mov_b32_e32 v3, s3
	v_add_co_u32_e32 v2, vcc, s2, v17
	v_addc_co_u32_e32 v3, vcc, v3, v1, vcc
	global_load_ubyte v1, v[2:3], off
	s_waitcnt vmcnt(0)
	v_and_b32_e32 v1, 1, v1
	v_cmp_eq_u32_e32 vcc, 1, v1
	s_xor_b64 s[2:3], vcc, -1
	s_orn2_b64 s[18:19], s[2:3], exec
.LBB263_3:
	v_lshlrev_b32_e32 v2, 7, v17
	v_ashrrev_i32_e32 v3, 31, v2
	v_lshlrev_b64 v[2:3], 1, v[2:3]
	v_mov_b32_e32 v1, s1
	v_add_co_u32_e32 v2, vcc, s0, v2
	v_and_b32_e32 v21, 15, v0
	v_addc_co_u32_e32 v1, vcc, v1, v3, vcc
	v_lshlrev_b32_e32 v0, 4, v21
	v_add_co_u32_e32 v0, vcc, v2, v0
	v_addc_co_u32_e32 v1, vcc, 0, v1, vcc
	global_load_dwordx4 v[0:3], v[0:1], off
	v_mov_b32_e32 v8, 0x207
	s_load_dwordx2 s[10:11], s[4:5], 0x40
	v_lshlrev_b32_e32 v22, 3, v21
	s_waitcnt lgkmcnt(0)
	s_cmp_eq_u64 s[10:11], 0
	s_waitcnt vmcnt(0)
	v_cvt_f32_f16_e32 v4, v0
	v_cvt_f32_f16_sdwa v0, v0 dst_sel:DWORD dst_unused:UNUSED_PAD src0_sel:WORD_1
	v_cvt_f32_f16_e32 v5, v1
	v_cvt_f32_f16_sdwa v1, v1 dst_sel:DWORD dst_unused:UNUSED_PAD src0_sel:WORD_1
	v_mul_f32_e32 v4, 0xbfb8aa3b, v4
	v_mul_f32_e32 v9, 0xbfb8aa3b, v0
	v_cvt_f32_f16_e32 v6, v2
	v_cvt_f32_f16_sdwa v2, v2 dst_sel:DWORD dst_unused:UNUSED_PAD src0_sel:WORD_1
	v_cvt_f32_f16_e32 v7, v3
	v_cvt_f32_f16_sdwa v3, v3 dst_sel:DWORD dst_unused:UNUSED_PAD src0_sel:WORD_1
	v_mul_f32_e32 v10, 0xbfb8aa3b, v1
	v_exp_f32_e32 v0, v4
	v_exp_f32_e32 v1, v9
	v_mul_f32_e32 v5, 0xbfb8aa3b, v5
	v_mul_f32_e32 v11, 0xbfb8aa3b, v2
	;; [unrolled: 1-line block ×3, first 2 shown]
	v_exp_f32_e32 v2, v5
	v_exp_f32_e32 v3, v10
	v_pk_add_f32 v[0:1], v[0:1], 1.0 op_sel_hi:[1,0]
	v_div_scale_f32 v9, s[0:1], v1, v1, 1.0
	v_rcp_f32_e32 v19, v9
	v_exp_f32_e32 v5, v11
	v_div_scale_f32 v11, s[0:1], v0, v0, 1.0
	v_pk_add_f32 v[2:3], v[2:3], 1.0 op_sel_hi:[1,0]
	v_rcp_f32_e32 v20, v11
	v_div_scale_f32 v13, s[2:3], v3, v3, 1.0
	v_rcp_f32_e32 v23, v13
	v_fma_f32 v26, -v9, v19, 1.0
	v_div_scale_f32 v10, vcc, 1.0, v1, 1.0
	v_div_scale_f32 v15, s[6:7], v2, v2, 1.0
	v_fmac_f32_e32 v19, v26, v19
	v_mul_f32_e32 v6, 0xbfb8aa3b, v6
	v_mul_f32_e32 v7, 0xbfb8aa3b, v7
	v_rcp_f32_e32 v24, v15
	v_fma_f32 v27, -v11, v20, 1.0
	v_mul_f32_e32 v26, v10, v19
	v_exp_f32_e32 v4, v6
	v_exp_f32_e32 v6, v7
	;; [unrolled: 1-line block ×3, first 2 shown]
	v_div_scale_f32 v12, s[0:1], 1.0, v0, 1.0
	v_fmac_f32_e32 v20, v27, v20
	v_fma_f32 v30, -v9, v26, v10
	v_fma_f32 v28, -v13, v23, 1.0
	v_mul_f32_e32 v27, v12, v20
	v_fmac_f32_e32 v26, v30, v19
	v_div_scale_f32 v14, s[2:3], 1.0, v3, 1.0
	v_fmac_f32_e32 v23, v28, v23
	v_fma_f32 v31, -v11, v27, v12
	v_fma_f32 v9, -v9, v26, v10
	v_fma_f32 v29, -v15, v24, 1.0
	v_mul_f32_e32 v28, v14, v23
	v_fmac_f32_e32 v27, v31, v20
	v_div_fmas_f32 v9, v9, v19, v26
	v_div_scale_f32 v16, s[6:7], 1.0, v2, 1.0
	v_fmac_f32_e32 v24, v29, v24
	v_fma_f32 v32, -v13, v28, v14
	v_fma_f32 v10, -v11, v27, v12
	v_div_fixup_f32 v1, v9, v1, 1.0
	s_mov_b64 vcc, s[0:1]
	v_pk_add_f32 v[4:5], v[4:5], 1.0 op_sel_hi:[1,0]
	v_mul_f32_e32 v29, v16, v24
	v_fmac_f32_e32 v28, v32, v23
	v_div_fmas_f32 v9, v10, v20, v27
	v_cmp_class_f32_e32 vcc, v1, v8
	v_div_scale_f32 v18, s[12:13], v5, v5, 1.0
	v_fma_f32 v33, -v15, v29, v16
	v_fma_f32 v11, -v13, v28, v14
	v_div_fixup_f32 v0, v9, v0, 1.0
	v_cndmask_b32_e64 v1, v1, 0, vcc
	s_mov_b64 vcc, s[2:3]
	v_rcp_f32_e32 v25, v18
	v_fmac_f32_e32 v29, v33, v24
	v_div_fmas_f32 v9, v11, v23, v28
	v_cmp_class_f32_e32 vcc, v0, v8
	v_fma_f32 v12, -v15, v29, v16
	v_cndmask_b32_e64 v0, v0, 0, vcc
	s_mov_b64 vcc, s[6:7]
	v_div_fixup_f32 v3, v9, v3, 1.0
	v_div_fmas_f32 v9, v12, v24, v29
	v_div_fixup_f32 v2, v9, v2, 1.0
	v_cmp_class_f32_e32 vcc, v3, v8
	v_cndmask_b32_e64 v3, v3, 0, vcc
	v_cmp_class_f32_e32 vcc, v2, v8
	v_fma_f32 v9, -v18, v25, 1.0
	v_cndmask_b32_e64 v2, v2, 0, vcc
	v_fmac_f32_e32 v25, v9, v25
	v_div_scale_f32 v9, vcc, 1.0, v5, 1.0
	v_mul_f32_e32 v10, v9, v25
	v_fma_f32 v11, -v18, v10, v9
	v_fmac_f32_e32 v10, v11, v25
	v_div_scale_f32 v11, s[0:1], v4, v4, 1.0
	v_rcp_f32_e32 v12, v11
	v_fma_f32 v9, -v18, v10, v9
	v_div_fmas_f32 v9, v9, v25, v10
	v_div_fixup_f32 v5, v9, v5, 1.0
	v_fma_f32 v9, -v11, v12, 1.0
	v_fmac_f32_e32 v12, v9, v12
	v_div_scale_f32 v9, vcc, 1.0, v4, 1.0
	v_mul_f32_e32 v10, v9, v12
	v_fma_f32 v13, -v11, v10, v9
	v_fmac_f32_e32 v10, v13, v12
	v_fma_f32 v9, -v11, v10, v9
	v_div_fmas_f32 v9, v9, v12, v10
	v_pk_add_f32 v[6:7], v[6:7], 1.0 op_sel_hi:[1,0]
	v_div_fixup_f32 v4, v9, v4, 1.0
	v_div_scale_f32 v9, s[0:1], v7, v7, 1.0
	v_rcp_f32_e32 v10, v9
	v_cmp_class_f32_e32 vcc, v5, v8
	v_cndmask_b32_e64 v5, v5, 0, vcc
	v_cmp_class_f32_e32 vcc, v4, v8
	v_fma_f32 v11, -v9, v10, 1.0
	v_cndmask_b32_e64 v4, v4, 0, vcc
	v_fmac_f32_e32 v10, v11, v10
	v_div_scale_f32 v11, vcc, 1.0, v7, 1.0
	v_mul_f32_e32 v12, v11, v10
	v_fma_f32 v13, -v9, v12, v11
	v_fmac_f32_e32 v12, v13, v10
	v_fma_f32 v9, -v9, v12, v11
	v_div_scale_f32 v11, s[0:1], v6, v6, 1.0
	v_rcp_f32_e32 v13, v11
	v_div_fmas_f32 v9, v9, v10, v12
	v_div_fixup_f32 v7, v9, v7, 1.0
	v_fma_f32 v9, -v11, v13, 1.0
	v_fmac_f32_e32 v13, v9, v13
	v_div_scale_f32 v9, vcc, 1.0, v6, 1.0
	v_mul_f32_e32 v10, v9, v13
	v_fma_f32 v12, -v11, v10, v9
	v_fmac_f32_e32 v10, v12, v13
	v_fma_f32 v9, -v11, v10, v9
	v_div_fmas_f32 v9, v9, v13, v10
	v_div_fixup_f32 v6, v9, v6, 1.0
	v_cmp_class_f32_e32 vcc, v7, v8
	v_cndmask_b32_e64 v7, v7, 0, vcc
	v_cmp_class_f32_e32 vcc, v6, v8
	v_cndmask_b32_e64 v6, v6, 0, vcc
	s_cbranch_scc1 .LBB263_27
; %bb.4:
	v_lshlrev_b32_e32 v16, 2, v22
	global_load_dwordx4 v[8:11], v16, s[10:11]
	global_load_dwordx4 v[12:15], v16, s[10:11] offset:16
	s_waitcnt vmcnt(1)
	v_pk_add_f32 v[8:9], v[8:9], v[0:1]
	v_pk_add_f32 v[10:11], v[10:11], v[2:3]
	s_waitcnt vmcnt(0)
	v_pk_add_f32 v[12:13], v[12:13], v[4:5]
	v_pk_add_f32 v[14:15], v[14:15], v[6:7]
	s_cbranch_execnz .LBB263_6
.LBB263_5:
	v_pk_mov_b32 v[14:15], v[6:7], v[6:7] op_sel:[0,1]
	v_pk_mov_b32 v[12:13], v[4:5], v[4:5] op_sel:[0,1]
	v_pk_mov_b32 v[10:11], v[2:3], v[2:3] op_sel:[0,1]
	v_pk_mov_b32 v[8:9], v[0:1], v[0:1] op_sel:[0,1]
.LBB263_6:
	s_load_dwordx4 s[8:11], s[4:5], 0x30
	s_mov_b32 s25, 0
	v_cmp_eq_u32_e64 s[0:1], 0, v21
	s_waitcnt lgkmcnt(0)
	s_bitcmp1_b32 s11, 0
	s_cselect_b64 vcc, -1, 0
	s_cmp_gt_i32 s8, 0
	s_cselect_b64 s[20:21], -1, 0
	s_cmp_lt_i32 s8, 1
	s_cbranch_scc1 .LBB263_28
; %bb.7:
	v_mbcnt_lo_u32_b32 v16, -1, 0
	v_mbcnt_hi_u32_b32 v16, -1, v16
	v_and_b32_e32 v18, 0x70, v16
	v_add_u32_e32 v18, 16, v18
	v_xor_b32_e32 v19, 8, v16
	v_cmp_lt_i32_e64 s[2:3], v19, v18
	v_cndmask_b32_e64 v19, v16, v19, s[2:3]
	v_lshlrev_b32_e32 v25, 2, v19
	v_xor_b32_e32 v19, 4, v16
	v_cmp_lt_i32_e64 s[2:3], v19, v18
	v_cndmask_b32_e64 v19, v16, v19, s[2:3]
	v_lshlrev_b32_e32 v26, 2, v19
	v_xor_b32_e32 v19, 2, v16
	v_cmp_lt_i32_e64 s[2:3], v19, v18
	s_load_dwordx4 s[12:15], s[4:5], 0x20
	v_cndmask_b32_e64 v19, v16, v19, s[2:3]
	v_lshlrev_b32_e32 v27, 2, v19
	v_xor_b32_e32 v19, 1, v16
	v_cmp_lt_i32_e64 s[2:3], v19, v18
	v_cndmask_b32_e64 v16, v16, v19, s[2:3]
	v_mul_lo_u32 v24, v17, s8
	v_lshlrev_b32_e32 v28, 2, v16
	v_mov_b32_e32 v23, 0
	v_mov_b32_e32 v29, 0x80
	;; [unrolled: 1-line block ×4, first 2 shown]
	s_branch .LBB263_10
.LBB263_8:                              ;   in Loop: Header=BB263_10 Depth=1
	s_or_b64 exec, exec, s[4:5]
.LBB263_9:                              ;   in Loop: Header=BB263_10 Depth=1
	s_cmp_eq_u32 s8, s25
	v_add_u32_e32 v31, s24, v31
	s_cbranch_scc1 .LBB263_29
.LBB263_10:                             ; =>This Inner Loop Header: Depth=1
	v_cmp_gt_f32_e64 s[2:3], v9, v8
	s_waitcnt lgkmcnt(0)
	v_cndmask_b32_e64 v19, v8, v9, s[2:3]
	v_cndmask_b32_e64 v16, 0, 1, s[2:3]
	v_cndmask_b32_e64 v18, v0, v1, s[2:3]
	v_cmp_gt_f32_e64 s[2:3], v10, v19
	v_cndmask_b32_e64 v19, v19, v10, s[2:3]
	v_cndmask_b32_e64 v16, v16, 2, s[2:3]
	v_cndmask_b32_e64 v18, v18, v2, s[2:3]
	v_cmp_gt_f32_e64 s[2:3], v11, v19
	;; [unrolled: 4-line block ×6, first 2 shown]
	v_cndmask_b32_e64 v16, v16, 7, s[2:3]
	v_cndmask_b32_e64 v32, v19, v15, s[2:3]
	v_or_b32_e32 v33, v22, v16
	v_cndmask_b32_e64 v16, v18, v7, s[2:3]
	ds_bpermute_b32 v35, v25, v32
	ds_bpermute_b32 v20, v25, v16
	ds_bpermute_b32 v34, v25, v33
                                        ; implicit-def: $vgpr18_vgpr19
	s_waitcnt lgkmcnt(0)
	v_cmp_lt_f32_e64 s[6:7], v32, v35
	v_cmp_nlt_f32_e64 s[2:3], v32, v35
	s_and_saveexec_b64 s[22:23], s[2:3]
; %bb.11:                               ;   in Loop: Header=BB263_10 Depth=1
	v_cmp_eq_f32_e64 s[2:3], v32, v35
	v_cmp_lt_i32_e64 s[4:5], v34, v33
	s_and_b64 s[2:3], s[2:3], s[4:5]
	s_andn2_b64 s[4:5], s[6:7], exec
	s_and_b64 s[2:3], s[2:3], exec
	s_or_b64 s[6:7], s[4:5], s[2:3]
	v_pk_mov_b32 v[18:19], v[16:17], v[16:17] op_sel:[0,1]
; %bb.12:                               ;   in Loop: Header=BB263_10 Depth=1
	s_or_b64 exec, exec, s[22:23]
	s_and_saveexec_b64 s[2:3], s[6:7]
; %bb.13:                               ;   in Loop: Header=BB263_10 Depth=1
	v_mov_b32_e32 v32, v35
	v_mov_b32_e32 v16, v20
	;; [unrolled: 1-line block ×3, first 2 shown]
	v_pk_mov_b32 v[18:19], v[20:21], v[20:21] op_sel:[0,1]
; %bb.14:                               ;   in Loop: Header=BB263_10 Depth=1
	s_or_b64 exec, exec, s[2:3]
	ds_bpermute_b32 v34, v26, v32
	ds_bpermute_b32 v20, v26, v16
	;; [unrolled: 1-line block ×3, first 2 shown]
	s_waitcnt lgkmcnt(2)
	v_cmp_lt_f32_e64 s[6:7], v32, v34
	v_cmp_nlt_f32_e64 s[2:3], v32, v34
	s_and_saveexec_b64 s[22:23], s[2:3]
	s_cbranch_execz .LBB263_16
; %bb.15:                               ;   in Loop: Header=BB263_10 Depth=1
	v_cmp_eq_f32_e64 s[2:3], v32, v34
	s_waitcnt lgkmcnt(0)
	v_cmp_lt_i32_e64 s[4:5], v19, v33
	s_and_b64 s[2:3], s[2:3], s[4:5]
	s_andn2_b64 s[4:5], s[6:7], exec
	s_and_b64 s[2:3], s[2:3], exec
	s_or_b64 s[6:7], s[4:5], s[2:3]
.LBB263_16:                             ;   in Loop: Header=BB263_10 Depth=1
	s_or_b64 exec, exec, s[22:23]
	s_and_saveexec_b64 s[2:3], s[6:7]
	s_cbranch_execz .LBB263_18
; %bb.17:                               ;   in Loop: Header=BB263_10 Depth=1
	v_mov_b32_e32 v32, v34
	s_waitcnt lgkmcnt(1)
	v_mov_b32_e32 v16, v20
	s_waitcnt lgkmcnt(0)
	v_mov_b32_e32 v33, v19
	v_pk_mov_b32 v[18:19], v[20:21], v[20:21] op_sel:[0,1]
.LBB263_18:                             ;   in Loop: Header=BB263_10 Depth=1
	s_or_b64 exec, exec, s[2:3]
	ds_bpermute_b32 v34, v27, v32
	s_waitcnt lgkmcnt(2)
	ds_bpermute_b32 v20, v27, v16
	s_waitcnt lgkmcnt(2)
	;; [unrolled: 2-line block ×3, first 2 shown]
	v_cmp_lt_f32_e64 s[6:7], v32, v34
	v_cmp_nlt_f32_e64 s[2:3], v32, v34
	s_and_saveexec_b64 s[22:23], s[2:3]
	s_cbranch_execz .LBB263_20
; %bb.19:                               ;   in Loop: Header=BB263_10 Depth=1
	v_cmp_eq_f32_e64 s[2:3], v32, v34
	s_waitcnt lgkmcnt(0)
	v_cmp_lt_i32_e64 s[4:5], v19, v33
	s_and_b64 s[2:3], s[2:3], s[4:5]
	s_andn2_b64 s[4:5], s[6:7], exec
	s_and_b64 s[2:3], s[2:3], exec
	s_or_b64 s[6:7], s[4:5], s[2:3]
.LBB263_20:                             ;   in Loop: Header=BB263_10 Depth=1
	s_or_b64 exec, exec, s[22:23]
	s_and_saveexec_b64 s[2:3], s[6:7]
	s_cbranch_execz .LBB263_22
; %bb.21:                               ;   in Loop: Header=BB263_10 Depth=1
	v_mov_b32_e32 v32, v34
	s_waitcnt lgkmcnt(1)
	v_mov_b32_e32 v16, v20
	s_waitcnt lgkmcnt(0)
	v_mov_b32_e32 v33, v19
	v_pk_mov_b32 v[18:19], v[20:21], v[20:21] op_sel:[0,1]
.LBB263_22:                             ;   in Loop: Header=BB263_10 Depth=1
	s_or_b64 exec, exec, s[2:3]
	s_waitcnt lgkmcnt(1)
	ds_bpermute_b32 v20, v28, v32
	ds_bpermute_b32 v34, v28, v33
	s_waitcnt lgkmcnt(2)
	ds_bpermute_b32 v19, v28, v16
	s_waitcnt lgkmcnt(2)
	v_cmp_eq_f32_e64 s[4:5], v32, v20
	s_waitcnt lgkmcnt(1)
	v_cmp_lt_i32_e64 s[6:7], v34, v33
	v_cmp_lt_f32_e64 s[2:3], v32, v20
	s_and_b64 s[4:5], s[4:5], s[6:7]
	s_or_b64 s[2:3], s[2:3], s[4:5]
	v_cndmask_b32_e64 v16, v33, v34, s[2:3]
	s_and_saveexec_b64 s[6:7], s[0:1]
	s_cbranch_execnz .LBB263_24
; %bb.23:                               ;   in Loop: Header=BB263_10 Depth=1
	s_or_b64 exec, exec, s[6:7]
	s_add_i32 s25, s25, 1
	s_cmp_ge_i32 s25, s8
	s_cbranch_scc1 .LBB263_9
	s_branch .LBB263_25
.LBB263_24:                             ;   in Loop: Header=BB263_10 Depth=1
	s_waitcnt lgkmcnt(0)
	v_cndmask_b32_e64 v20, v18, v19, s[2:3]
	v_add_u32_e32 v18, s25, v24
	v_ashrrev_i32_e32 v19, 31, v18
	v_cmp_le_i32_e64 s[2:3], s9, v16
	v_cmp_gt_i32_e64 s[4:5], s10, v16
	v_lshlrev_b64 v[18:19], 2, v[18:19]
	s_and_b64 s[4:5], s[2:3], s[4:5]
	v_mov_b32_e32 v33, s17
	v_add_co_u32_e64 v32, s[2:3], s16, v18
	v_addc_co_u32_e64 v33, s[2:3], v33, v19, s[2:3]
	global_store_dword v[32:33], v20, off
	v_subrev_u32_e32 v32, s9, v16
	s_and_b64 s[2:3], s[18:19], s[4:5]
	v_cndmask_b32_e64 v34, v29, v32, s[2:3]
	v_mov_b32_e32 v33, s13
	v_add_co_u32_e64 v32, s[2:3], s12, v18
	v_addc_co_u32_e64 v33, s[2:3], v33, v19, s[2:3]
	global_store_dword v[32:33], v34, off
	v_mov_b32_e32 v32, s15
	v_add_co_u32_e64 v18, s[2:3], s14, v18
	v_addc_co_u32_e64 v19, s[2:3], v32, v19, s[2:3]
	global_store_dword v[18:19], v31, off
	v_add_f32_e32 v18, v23, v20
	v_cndmask_b32_e32 v23, v23, v18, vcc
	s_or_b64 exec, exec, s[6:7]
	s_add_i32 s25, s25, 1
	s_cmp_ge_i32 s25, s8
	s_cbranch_scc1 .LBB263_9
.LBB263_25:                             ;   in Loop: Header=BB263_10 Depth=1
	s_waitcnt lgkmcnt(0)
	v_ashrrev_i32_e32 v19, 31, v16
	v_lshrrev_b32_e32 v18, 29, v19
	v_add_u32_e32 v18, v16, v18
	v_ashrrev_i32_e32 v18, 3, v18
	v_lshrrev_b32_e32 v20, 28, v18
	v_add_u32_e32 v20, v18, v20
	v_and_b32_e32 v20, -16, v20
	v_sub_u32_e32 v20, v18, v20
	v_cmp_eq_u32_e64 s[2:3], v21, v20
	s_and_saveexec_b64 s[4:5], s[2:3]
	s_cbranch_execz .LBB263_8
; %bb.26:                               ;   in Loop: Header=BB263_10 Depth=1
	v_lshrrev_b32_e32 v19, 25, v19
	v_add_u32_e32 v19, v16, v19
	v_lshlrev_b32_e32 v18, 3, v18
	v_ashrrev_i32_e32 v19, 7, v19
	v_sub_u32_e32 v16, v16, v18
	v_lshl_add_u32 v16, v19, 3, v16
	v_cmp_ne_u32_e64 s[2:3], 7, v16
	v_cndmask_b32_e64 v15, v30, v15, s[2:3]
	v_cmp_ne_u32_e64 s[2:3], 6, v16
	v_cndmask_b32_e64 v14, v30, v14, s[2:3]
	;; [unrolled: 2-line block ×8, first 2 shown]
	s_branch .LBB263_8
.LBB263_27:
                                        ; implicit-def: $vgpr8_vgpr9_vgpr10_vgpr11_vgpr12_vgpr13_vgpr14_vgpr15
	s_andn2_b64 vcc, exec, s[8:9]
	s_cbranch_vccz .LBB263_5
	s_branch .LBB263_6
.LBB263_28:
	v_mov_b32_e32 v23, 0
.LBB263_29:
	v_cmp_eq_u32_e64 s[0:1], 0, v21
	s_and_b64 s[0:1], s[0:1], vcc
	s_and_b64 exec, exec, s[0:1]
	s_cbranch_execz .LBB263_38
; %bb.30:
	s_andn2_b64 vcc, exec, s[20:21]
	s_cbranch_vccnz .LBB263_38
; %bb.31:
	v_cmp_lt_f32_e32 vcc, 0, v23
	s_mov_b32 s2, 0
	v_cndmask_b32_e32 v0, 1.0, v23, vcc
	v_mul_lo_u32 v4, v17, s8
	s_cmp_eq_u32 s8, 1
	s_mov_b64 s[0:1], -1
	s_cbranch_scc1 .LBB263_35
; %bb.32:
	s_and_b32 s2, s8, 0x7ffffffe
	v_mov_b32_e32 v1, v0
	v_mov_b32_e32 v5, s17
	s_mov_b32 s3, s2
	v_mov_b32_e32 v2, v4
.LBB263_33:                             ; =>This Inner Loop Header: Depth=1
	v_ashrrev_i32_e32 v3, 31, v2
	v_lshlrev_b64 v[6:7], 2, v[2:3]
	v_add_co_u32_e32 v6, vcc, s16, v6
	v_addc_co_u32_e32 v7, vcc, v5, v7, vcc
	global_load_dwordx2 v[8:9], v[6:7], off
	s_add_i32 s3, s3, -2
	s_cmp_lg_u32 s3, 0
	v_add_u32_e32 v2, 2, v2
	s_waitcnt vmcnt(0)
	v_div_scale_f32 v3, s[0:1], v1, v1, v9
	v_div_scale_f32 v11, s[0:1], v0, v0, v8
	v_rcp_f32_e32 v12, v3
	v_rcp_f32_e32 v13, v11
	v_div_scale_f32 v10, vcc, v9, v1, v9
	v_fma_f32 v15, -v3, v12, 1.0
	v_fma_f32 v16, -v11, v13, 1.0
	v_fmac_f32_e32 v12, v15, v12
	v_div_scale_f32 v14, s[0:1], v8, v0, v8
	v_fmac_f32_e32 v13, v16, v13
	v_mul_f32_e32 v15, v10, v12
	v_mul_f32_e32 v16, v14, v13
	v_fma_f32 v17, -v3, v15, v10
	v_fma_f32 v18, -v11, v16, v14
	v_fmac_f32_e32 v15, v17, v12
	v_fmac_f32_e32 v16, v18, v13
	v_fma_f32 v3, -v3, v15, v10
	v_fma_f32 v10, -v11, v16, v14
	v_div_fmas_f32 v3, v3, v12, v15
	s_mov_b64 vcc, s[0:1]
	v_div_fixup_f32 v9, v3, v1, v9
	v_div_fmas_f32 v3, v10, v13, v16
	v_div_fixup_f32 v8, v3, v0, v8
	global_store_dwordx2 v[6:7], v[8:9], off
	s_cbranch_scc1 .LBB263_33
; %bb.34:
	s_cmp_lg_u32 s2, s8
	s_cselect_b64 s[0:1], -1, 0
.LBB263_35:
	s_and_b64 vcc, exec, s[0:1]
	s_cbranch_vccz .LBB263_38
; %bb.36:
	v_ashrrev_i32_e32 v1, 31, v4
	v_add_co_u32_e32 v2, vcc, s2, v4
	v_addc_co_u32_e32 v3, vcc, 0, v1, vcc
	v_lshlrev_b64 v[2:3], 2, v[2:3]
	v_mov_b32_e32 v1, s17
	v_add_co_u32_e32 v2, vcc, s16, v2
	s_sub_i32 s0, s8, s2
	v_addc_co_u32_e32 v3, vcc, v1, v3, vcc
.LBB263_37:                             ; =>This Inner Loop Header: Depth=1
	global_load_dword v1, v[2:3], off
	s_add_i32 s0, s0, -1
	s_cmp_lg_u32 s0, 0
	s_waitcnt vmcnt(0)
	v_div_scale_f32 v4, s[2:3], v0, v0, v1
	v_rcp_f32_e32 v5, v4
	v_div_scale_f32 v6, vcc, v1, v0, v1
	v_fma_f32 v7, -v4, v5, 1.0
	v_fmac_f32_e32 v5, v7, v5
	v_mul_f32_e32 v7, v6, v5
	v_fma_f32 v8, -v4, v7, v6
	v_fmac_f32_e32 v7, v8, v5
	v_fma_f32 v4, -v4, v7, v6
	v_div_fmas_f32 v4, v4, v5, v7
	v_div_fixup_f32 v1, v4, v0, v1
	global_store_dword v[2:3], v1, off
	v_add_co_u32_e32 v2, vcc, 4, v2
	v_addc_co_u32_e32 v3, vcc, 0, v3, vcc
	s_cbranch_scc1 .LBB263_37
.LBB263_38:
	s_endpgm
	.section	.rodata,"a",@progbits
	.p2align	6, 0x0
	.amdhsa_kernel _ZN4vllm3moe10topkGatingILi8ELi128ELi4ELi16ELi64Ei6__halfLNS0_11ScoringFuncE1EEEvPKT5_PKbPfiPT4_PiiiibPKf
		.amdhsa_group_segment_fixed_size 0
		.amdhsa_private_segment_fixed_size 0
		.amdhsa_kernarg_size 72
		.amdhsa_user_sgpr_count 6
		.amdhsa_user_sgpr_private_segment_buffer 1
		.amdhsa_user_sgpr_dispatch_ptr 0
		.amdhsa_user_sgpr_queue_ptr 0
		.amdhsa_user_sgpr_kernarg_segment_ptr 1
		.amdhsa_user_sgpr_dispatch_id 0
		.amdhsa_user_sgpr_flat_scratch_init 0
		.amdhsa_user_sgpr_kernarg_preload_length 0
		.amdhsa_user_sgpr_kernarg_preload_offset 0
		.amdhsa_user_sgpr_private_segment_size 0
		.amdhsa_uses_dynamic_stack 0
		.amdhsa_system_sgpr_private_segment_wavefront_offset 0
		.amdhsa_system_sgpr_workgroup_id_x 1
		.amdhsa_system_sgpr_workgroup_id_y 0
		.amdhsa_system_sgpr_workgroup_id_z 0
		.amdhsa_system_sgpr_workgroup_info 0
		.amdhsa_system_vgpr_workitem_id 1
		.amdhsa_next_free_vgpr 36
		.amdhsa_next_free_sgpr 26
		.amdhsa_accum_offset 36
		.amdhsa_reserve_vcc 1
		.amdhsa_reserve_flat_scratch 0
		.amdhsa_float_round_mode_32 0
		.amdhsa_float_round_mode_16_64 0
		.amdhsa_float_denorm_mode_32 3
		.amdhsa_float_denorm_mode_16_64 3
		.amdhsa_dx10_clamp 1
		.amdhsa_ieee_mode 1
		.amdhsa_fp16_overflow 0
		.amdhsa_tg_split 0
		.amdhsa_exception_fp_ieee_invalid_op 0
		.amdhsa_exception_fp_denorm_src 0
		.amdhsa_exception_fp_ieee_div_zero 0
		.amdhsa_exception_fp_ieee_overflow 0
		.amdhsa_exception_fp_ieee_underflow 0
		.amdhsa_exception_fp_ieee_inexact 0
		.amdhsa_exception_int_div_zero 0
	.end_amdhsa_kernel
	.section	.text._ZN4vllm3moe10topkGatingILi8ELi128ELi4ELi16ELi64Ei6__halfLNS0_11ScoringFuncE1EEEvPKT5_PKbPfiPT4_PiiiibPKf,"axG",@progbits,_ZN4vllm3moe10topkGatingILi8ELi128ELi4ELi16ELi64Ei6__halfLNS0_11ScoringFuncE1EEEvPKT5_PKbPfiPT4_PiiiibPKf,comdat
.Lfunc_end263:
	.size	_ZN4vllm3moe10topkGatingILi8ELi128ELi4ELi16ELi64Ei6__halfLNS0_11ScoringFuncE1EEEvPKT5_PKbPfiPT4_PiiiibPKf, .Lfunc_end263-_ZN4vllm3moe10topkGatingILi8ELi128ELi4ELi16ELi64Ei6__halfLNS0_11ScoringFuncE1EEEvPKT5_PKbPfiPT4_PiiiibPKf
                                        ; -- End function
	.section	.AMDGPU.csdata,"",@progbits
; Kernel info:
; codeLenInByte = 3004
; NumSgprs: 30
; NumVgprs: 36
; NumAgprs: 0
; TotalNumVgprs: 36
; ScratchSize: 0
; MemoryBound: 0
; FloatMode: 240
; IeeeMode: 1
; LDSByteSize: 0 bytes/workgroup (compile time only)
; SGPRBlocks: 3
; VGPRBlocks: 4
; NumSGPRsForWavesPerEU: 30
; NumVGPRsForWavesPerEU: 36
; AccumOffset: 36
; Occupancy: 8
; WaveLimiterHint : 0
; COMPUTE_PGM_RSRC2:SCRATCH_EN: 0
; COMPUTE_PGM_RSRC2:USER_SGPR: 6
; COMPUTE_PGM_RSRC2:TRAP_HANDLER: 0
; COMPUTE_PGM_RSRC2:TGID_X_EN: 1
; COMPUTE_PGM_RSRC2:TGID_Y_EN: 0
; COMPUTE_PGM_RSRC2:TGID_Z_EN: 0
; COMPUTE_PGM_RSRC2:TIDIG_COMP_CNT: 1
; COMPUTE_PGM_RSRC3_GFX90A:ACCUM_OFFSET: 8
; COMPUTE_PGM_RSRC3_GFX90A:TG_SPLIT: 0
	.section	.text._ZN4vllm3moe10topkGatingILi8ELi128ELi4ELi16ELi32Ei6__halfLNS0_11ScoringFuncE1EEEvPKT5_PKbPfiPT4_PiiiibPKf,"axG",@progbits,_ZN4vllm3moe10topkGatingILi8ELi128ELi4ELi16ELi32Ei6__halfLNS0_11ScoringFuncE1EEEvPKT5_PKbPfiPT4_PiiiibPKf,comdat
	.protected	_ZN4vllm3moe10topkGatingILi8ELi128ELi4ELi16ELi32Ei6__halfLNS0_11ScoringFuncE1EEEvPKT5_PKbPfiPT4_PiiiibPKf ; -- Begin function _ZN4vllm3moe10topkGatingILi8ELi128ELi4ELi16ELi32Ei6__halfLNS0_11ScoringFuncE1EEEvPKT5_PKbPfiPT4_PiiiibPKf
	.globl	_ZN4vllm3moe10topkGatingILi8ELi128ELi4ELi16ELi32Ei6__halfLNS0_11ScoringFuncE1EEEvPKT5_PKbPfiPT4_PiiiibPKf
	.p2align	8
	.type	_ZN4vllm3moe10topkGatingILi8ELi128ELi4ELi16ELi32Ei6__halfLNS0_11ScoringFuncE1EEEvPKT5_PKbPfiPT4_PiiiibPKf,@function
_ZN4vllm3moe10topkGatingILi8ELi128ELi4ELi16ELi32Ei6__halfLNS0_11ScoringFuncE1EEEvPKT5_PKbPfiPT4_PiiiibPKf: ; @_ZN4vllm3moe10topkGatingILi8ELi128ELi4ELi16ELi32Ei6__halfLNS0_11ScoringFuncE1EEEvPKT5_PKbPfiPT4_PiiiibPKf
; %bb.0:
	s_load_dword s24, s[4:5], 0x18
	v_bfe_u32 v1, v0, 10, 10
	v_and_b32_e32 v0, 0x3ff, v0
	s_lshl_b32 s0, s6, 3
	v_lshlrev_b32_e32 v1, 1, v1
	v_lshrrev_b32_e32 v2, 4, v0
	v_add3_u32 v17, s0, v1, v2
	s_waitcnt lgkmcnt(0)
	v_cmp_gt_i32_e32 vcc, s24, v17
	s_and_saveexec_b64 s[0:1], vcc
	s_cbranch_execz .LBB264_38
; %bb.1:
	s_load_dwordx4 s[0:3], s[4:5], 0x0
	s_load_dwordx2 s[16:17], s[4:5], 0x10
	s_mov_b64 s[8:9], -1
	s_mov_b64 s[18:19], -1
	s_waitcnt lgkmcnt(0)
	s_cmp_eq_u64 s[2:3], 0
	s_cbranch_scc1 .LBB264_3
; %bb.2:
	v_ashrrev_i32_e32 v1, 31, v17
	v_mov_b32_e32 v3, s3
	v_add_co_u32_e32 v2, vcc, s2, v17
	v_addc_co_u32_e32 v3, vcc, v3, v1, vcc
	global_load_ubyte v1, v[2:3], off
	s_waitcnt vmcnt(0)
	v_and_b32_e32 v1, 1, v1
	v_cmp_eq_u32_e32 vcc, 1, v1
	s_xor_b64 s[2:3], vcc, -1
	s_orn2_b64 s[18:19], s[2:3], exec
.LBB264_3:
	v_lshlrev_b32_e32 v2, 7, v17
	v_ashrrev_i32_e32 v3, 31, v2
	v_lshlrev_b64 v[2:3], 1, v[2:3]
	v_mov_b32_e32 v1, s1
	v_add_co_u32_e32 v2, vcc, s0, v2
	v_and_b32_e32 v21, 15, v0
	v_addc_co_u32_e32 v1, vcc, v1, v3, vcc
	v_lshlrev_b32_e32 v0, 4, v21
	v_add_co_u32_e32 v0, vcc, v2, v0
	v_addc_co_u32_e32 v1, vcc, 0, v1, vcc
	global_load_dwordx4 v[0:3], v[0:1], off
	v_mov_b32_e32 v8, 0x207
	s_load_dwordx2 s[10:11], s[4:5], 0x40
	v_lshlrev_b32_e32 v22, 3, v21
	s_waitcnt lgkmcnt(0)
	s_cmp_eq_u64 s[10:11], 0
	s_waitcnt vmcnt(0)
	v_cvt_f32_f16_e32 v4, v0
	v_cvt_f32_f16_sdwa v0, v0 dst_sel:DWORD dst_unused:UNUSED_PAD src0_sel:WORD_1
	v_cvt_f32_f16_e32 v5, v1
	v_cvt_f32_f16_sdwa v1, v1 dst_sel:DWORD dst_unused:UNUSED_PAD src0_sel:WORD_1
	v_mul_f32_e32 v4, 0xbfb8aa3b, v4
	v_mul_f32_e32 v9, 0xbfb8aa3b, v0
	v_cvt_f32_f16_e32 v6, v2
	v_cvt_f32_f16_sdwa v2, v2 dst_sel:DWORD dst_unused:UNUSED_PAD src0_sel:WORD_1
	v_cvt_f32_f16_e32 v7, v3
	v_cvt_f32_f16_sdwa v3, v3 dst_sel:DWORD dst_unused:UNUSED_PAD src0_sel:WORD_1
	v_mul_f32_e32 v10, 0xbfb8aa3b, v1
	v_exp_f32_e32 v0, v4
	v_exp_f32_e32 v1, v9
	v_mul_f32_e32 v5, 0xbfb8aa3b, v5
	v_mul_f32_e32 v11, 0xbfb8aa3b, v2
	;; [unrolled: 1-line block ×3, first 2 shown]
	v_exp_f32_e32 v2, v5
	v_exp_f32_e32 v3, v10
	v_pk_add_f32 v[0:1], v[0:1], 1.0 op_sel_hi:[1,0]
	v_div_scale_f32 v9, s[0:1], v1, v1, 1.0
	v_rcp_f32_e32 v19, v9
	v_exp_f32_e32 v5, v11
	v_div_scale_f32 v11, s[0:1], v0, v0, 1.0
	v_pk_add_f32 v[2:3], v[2:3], 1.0 op_sel_hi:[1,0]
	v_rcp_f32_e32 v20, v11
	v_div_scale_f32 v13, s[2:3], v3, v3, 1.0
	v_rcp_f32_e32 v23, v13
	v_fma_f32 v26, -v9, v19, 1.0
	v_div_scale_f32 v10, vcc, 1.0, v1, 1.0
	v_div_scale_f32 v15, s[6:7], v2, v2, 1.0
	v_fmac_f32_e32 v19, v26, v19
	v_mul_f32_e32 v6, 0xbfb8aa3b, v6
	v_mul_f32_e32 v7, 0xbfb8aa3b, v7
	v_rcp_f32_e32 v24, v15
	v_fma_f32 v27, -v11, v20, 1.0
	v_mul_f32_e32 v26, v10, v19
	v_exp_f32_e32 v4, v6
	v_exp_f32_e32 v6, v7
	;; [unrolled: 1-line block ×3, first 2 shown]
	v_div_scale_f32 v12, s[0:1], 1.0, v0, 1.0
	v_fmac_f32_e32 v20, v27, v20
	v_fma_f32 v30, -v9, v26, v10
	v_fma_f32 v28, -v13, v23, 1.0
	v_mul_f32_e32 v27, v12, v20
	v_fmac_f32_e32 v26, v30, v19
	v_div_scale_f32 v14, s[2:3], 1.0, v3, 1.0
	v_fmac_f32_e32 v23, v28, v23
	v_fma_f32 v31, -v11, v27, v12
	v_fma_f32 v9, -v9, v26, v10
	v_fma_f32 v29, -v15, v24, 1.0
	v_mul_f32_e32 v28, v14, v23
	v_fmac_f32_e32 v27, v31, v20
	v_div_fmas_f32 v9, v9, v19, v26
	v_div_scale_f32 v16, s[6:7], 1.0, v2, 1.0
	v_fmac_f32_e32 v24, v29, v24
	v_fma_f32 v32, -v13, v28, v14
	v_fma_f32 v10, -v11, v27, v12
	v_div_fixup_f32 v1, v9, v1, 1.0
	s_mov_b64 vcc, s[0:1]
	v_pk_add_f32 v[4:5], v[4:5], 1.0 op_sel_hi:[1,0]
	v_mul_f32_e32 v29, v16, v24
	v_fmac_f32_e32 v28, v32, v23
	v_div_fmas_f32 v9, v10, v20, v27
	v_cmp_class_f32_e32 vcc, v1, v8
	v_div_scale_f32 v18, s[12:13], v5, v5, 1.0
	v_fma_f32 v33, -v15, v29, v16
	v_fma_f32 v11, -v13, v28, v14
	v_div_fixup_f32 v0, v9, v0, 1.0
	v_cndmask_b32_e64 v1, v1, 0, vcc
	s_mov_b64 vcc, s[2:3]
	v_rcp_f32_e32 v25, v18
	v_fmac_f32_e32 v29, v33, v24
	v_div_fmas_f32 v9, v11, v23, v28
	v_cmp_class_f32_e32 vcc, v0, v8
	v_fma_f32 v12, -v15, v29, v16
	v_cndmask_b32_e64 v0, v0, 0, vcc
	s_mov_b64 vcc, s[6:7]
	v_div_fixup_f32 v3, v9, v3, 1.0
	v_div_fmas_f32 v9, v12, v24, v29
	v_div_fixup_f32 v2, v9, v2, 1.0
	v_cmp_class_f32_e32 vcc, v3, v8
	v_cndmask_b32_e64 v3, v3, 0, vcc
	v_cmp_class_f32_e32 vcc, v2, v8
	v_fma_f32 v9, -v18, v25, 1.0
	v_cndmask_b32_e64 v2, v2, 0, vcc
	v_fmac_f32_e32 v25, v9, v25
	v_div_scale_f32 v9, vcc, 1.0, v5, 1.0
	v_mul_f32_e32 v10, v9, v25
	v_fma_f32 v11, -v18, v10, v9
	v_fmac_f32_e32 v10, v11, v25
	v_div_scale_f32 v11, s[0:1], v4, v4, 1.0
	v_rcp_f32_e32 v12, v11
	v_fma_f32 v9, -v18, v10, v9
	v_div_fmas_f32 v9, v9, v25, v10
	v_div_fixup_f32 v5, v9, v5, 1.0
	v_fma_f32 v9, -v11, v12, 1.0
	v_fmac_f32_e32 v12, v9, v12
	v_div_scale_f32 v9, vcc, 1.0, v4, 1.0
	v_mul_f32_e32 v10, v9, v12
	v_fma_f32 v13, -v11, v10, v9
	v_fmac_f32_e32 v10, v13, v12
	v_fma_f32 v9, -v11, v10, v9
	v_div_fmas_f32 v9, v9, v12, v10
	v_pk_add_f32 v[6:7], v[6:7], 1.0 op_sel_hi:[1,0]
	v_div_fixup_f32 v4, v9, v4, 1.0
	v_div_scale_f32 v9, s[0:1], v7, v7, 1.0
	v_rcp_f32_e32 v10, v9
	v_cmp_class_f32_e32 vcc, v5, v8
	v_cndmask_b32_e64 v5, v5, 0, vcc
	v_cmp_class_f32_e32 vcc, v4, v8
	v_fma_f32 v11, -v9, v10, 1.0
	v_cndmask_b32_e64 v4, v4, 0, vcc
	v_fmac_f32_e32 v10, v11, v10
	v_div_scale_f32 v11, vcc, 1.0, v7, 1.0
	v_mul_f32_e32 v12, v11, v10
	v_fma_f32 v13, -v9, v12, v11
	v_fmac_f32_e32 v12, v13, v10
	v_fma_f32 v9, -v9, v12, v11
	v_div_scale_f32 v11, s[0:1], v6, v6, 1.0
	v_rcp_f32_e32 v13, v11
	v_div_fmas_f32 v9, v9, v10, v12
	v_div_fixup_f32 v7, v9, v7, 1.0
	v_fma_f32 v9, -v11, v13, 1.0
	v_fmac_f32_e32 v13, v9, v13
	v_div_scale_f32 v9, vcc, 1.0, v6, 1.0
	v_mul_f32_e32 v10, v9, v13
	v_fma_f32 v12, -v11, v10, v9
	v_fmac_f32_e32 v10, v12, v13
	v_fma_f32 v9, -v11, v10, v9
	v_div_fmas_f32 v9, v9, v13, v10
	v_div_fixup_f32 v6, v9, v6, 1.0
	v_cmp_class_f32_e32 vcc, v7, v8
	v_cndmask_b32_e64 v7, v7, 0, vcc
	v_cmp_class_f32_e32 vcc, v6, v8
	v_cndmask_b32_e64 v6, v6, 0, vcc
	s_cbranch_scc1 .LBB264_27
; %bb.4:
	v_lshlrev_b32_e32 v16, 2, v22
	global_load_dwordx4 v[8:11], v16, s[10:11]
	global_load_dwordx4 v[12:15], v16, s[10:11] offset:16
	s_waitcnt vmcnt(1)
	v_pk_add_f32 v[8:9], v[8:9], v[0:1]
	v_pk_add_f32 v[10:11], v[10:11], v[2:3]
	s_waitcnt vmcnt(0)
	v_pk_add_f32 v[12:13], v[12:13], v[4:5]
	v_pk_add_f32 v[14:15], v[14:15], v[6:7]
	s_cbranch_execnz .LBB264_6
.LBB264_5:
	v_pk_mov_b32 v[14:15], v[6:7], v[6:7] op_sel:[0,1]
	v_pk_mov_b32 v[12:13], v[4:5], v[4:5] op_sel:[0,1]
	;; [unrolled: 1-line block ×4, first 2 shown]
.LBB264_6:
	s_load_dwordx4 s[8:11], s[4:5], 0x30
	s_mov_b32 s25, 0
	v_cmp_eq_u32_e64 s[0:1], 0, v21
	s_waitcnt lgkmcnt(0)
	s_bitcmp1_b32 s11, 0
	s_cselect_b64 vcc, -1, 0
	s_cmp_gt_i32 s8, 0
	s_cselect_b64 s[20:21], -1, 0
	s_cmp_lt_i32 s8, 1
	s_cbranch_scc1 .LBB264_28
; %bb.7:
	v_mbcnt_lo_u32_b32 v16, -1, 0
	v_mbcnt_hi_u32_b32 v16, -1, v16
	v_and_b32_e32 v18, 0x70, v16
	v_add_u32_e32 v18, 16, v18
	v_xor_b32_e32 v19, 8, v16
	v_cmp_lt_i32_e64 s[2:3], v19, v18
	v_cndmask_b32_e64 v19, v16, v19, s[2:3]
	v_lshlrev_b32_e32 v25, 2, v19
	v_xor_b32_e32 v19, 4, v16
	v_cmp_lt_i32_e64 s[2:3], v19, v18
	v_cndmask_b32_e64 v19, v16, v19, s[2:3]
	v_lshlrev_b32_e32 v26, 2, v19
	v_xor_b32_e32 v19, 2, v16
	v_cmp_lt_i32_e64 s[2:3], v19, v18
	s_load_dwordx4 s[12:15], s[4:5], 0x20
	v_cndmask_b32_e64 v19, v16, v19, s[2:3]
	v_lshlrev_b32_e32 v27, 2, v19
	v_xor_b32_e32 v19, 1, v16
	v_cmp_lt_i32_e64 s[2:3], v19, v18
	v_cndmask_b32_e64 v16, v16, v19, s[2:3]
	v_mul_lo_u32 v24, v17, s8
	v_lshlrev_b32_e32 v28, 2, v16
	v_mov_b32_e32 v23, 0
	v_mov_b32_e32 v29, 0x80
	;; [unrolled: 1-line block ×4, first 2 shown]
	s_branch .LBB264_10
.LBB264_8:                              ;   in Loop: Header=BB264_10 Depth=1
	s_or_b64 exec, exec, s[4:5]
.LBB264_9:                              ;   in Loop: Header=BB264_10 Depth=1
	s_cmp_eq_u32 s8, s25
	v_add_u32_e32 v31, s24, v31
	s_cbranch_scc1 .LBB264_29
.LBB264_10:                             ; =>This Inner Loop Header: Depth=1
	v_cmp_gt_f32_e64 s[2:3], v9, v8
	s_waitcnt lgkmcnt(0)
	v_cndmask_b32_e64 v19, v8, v9, s[2:3]
	v_cndmask_b32_e64 v16, 0, 1, s[2:3]
	v_cndmask_b32_e64 v18, v0, v1, s[2:3]
	v_cmp_gt_f32_e64 s[2:3], v10, v19
	v_cndmask_b32_e64 v19, v19, v10, s[2:3]
	v_cndmask_b32_e64 v16, v16, 2, s[2:3]
	v_cndmask_b32_e64 v18, v18, v2, s[2:3]
	v_cmp_gt_f32_e64 s[2:3], v11, v19
	v_cndmask_b32_e64 v19, v19, v11, s[2:3]
	v_cndmask_b32_e64 v16, v16, 3, s[2:3]
	v_cndmask_b32_e64 v18, v18, v3, s[2:3]
	v_cmp_gt_f32_e64 s[2:3], v12, v19
	v_cndmask_b32_e64 v19, v19, v12, s[2:3]
	v_cndmask_b32_e64 v16, v16, 4, s[2:3]
	v_cndmask_b32_e64 v18, v18, v4, s[2:3]
	v_cmp_gt_f32_e64 s[2:3], v13, v19
	v_cndmask_b32_e64 v19, v19, v13, s[2:3]
	v_cndmask_b32_e64 v16, v16, 5, s[2:3]
	v_cndmask_b32_e64 v18, v18, v5, s[2:3]
	v_cmp_gt_f32_e64 s[2:3], v14, v19
	v_cndmask_b32_e64 v19, v19, v14, s[2:3]
	v_cndmask_b32_e64 v16, v16, 6, s[2:3]
	v_cndmask_b32_e64 v18, v18, v6, s[2:3]
	v_cmp_gt_f32_e64 s[2:3], v15, v19
	v_cndmask_b32_e64 v16, v16, 7, s[2:3]
	v_cndmask_b32_e64 v32, v19, v15, s[2:3]
	v_or_b32_e32 v33, v22, v16
	v_cndmask_b32_e64 v16, v18, v7, s[2:3]
	ds_bpermute_b32 v35, v25, v32
	ds_bpermute_b32 v20, v25, v16
	;; [unrolled: 1-line block ×3, first 2 shown]
                                        ; implicit-def: $vgpr18_vgpr19
	s_waitcnt lgkmcnt(0)
	v_cmp_lt_f32_e64 s[6:7], v32, v35
	v_cmp_nlt_f32_e64 s[2:3], v32, v35
	s_and_saveexec_b64 s[22:23], s[2:3]
; %bb.11:                               ;   in Loop: Header=BB264_10 Depth=1
	v_cmp_eq_f32_e64 s[2:3], v32, v35
	v_cmp_lt_i32_e64 s[4:5], v34, v33
	s_and_b64 s[2:3], s[2:3], s[4:5]
	s_andn2_b64 s[4:5], s[6:7], exec
	s_and_b64 s[2:3], s[2:3], exec
	s_or_b64 s[6:7], s[4:5], s[2:3]
	v_pk_mov_b32 v[18:19], v[16:17], v[16:17] op_sel:[0,1]
; %bb.12:                               ;   in Loop: Header=BB264_10 Depth=1
	s_or_b64 exec, exec, s[22:23]
	s_and_saveexec_b64 s[2:3], s[6:7]
; %bb.13:                               ;   in Loop: Header=BB264_10 Depth=1
	v_mov_b32_e32 v32, v35
	v_mov_b32_e32 v16, v20
	;; [unrolled: 1-line block ×3, first 2 shown]
	v_pk_mov_b32 v[18:19], v[20:21], v[20:21] op_sel:[0,1]
; %bb.14:                               ;   in Loop: Header=BB264_10 Depth=1
	s_or_b64 exec, exec, s[2:3]
	ds_bpermute_b32 v34, v26, v32
	ds_bpermute_b32 v20, v26, v16
	;; [unrolled: 1-line block ×3, first 2 shown]
	s_waitcnt lgkmcnt(2)
	v_cmp_lt_f32_e64 s[6:7], v32, v34
	v_cmp_nlt_f32_e64 s[2:3], v32, v34
	s_and_saveexec_b64 s[22:23], s[2:3]
	s_cbranch_execz .LBB264_16
; %bb.15:                               ;   in Loop: Header=BB264_10 Depth=1
	v_cmp_eq_f32_e64 s[2:3], v32, v34
	s_waitcnt lgkmcnt(0)
	v_cmp_lt_i32_e64 s[4:5], v19, v33
	s_and_b64 s[2:3], s[2:3], s[4:5]
	s_andn2_b64 s[4:5], s[6:7], exec
	s_and_b64 s[2:3], s[2:3], exec
	s_or_b64 s[6:7], s[4:5], s[2:3]
.LBB264_16:                             ;   in Loop: Header=BB264_10 Depth=1
	s_or_b64 exec, exec, s[22:23]
	s_and_saveexec_b64 s[2:3], s[6:7]
	s_cbranch_execz .LBB264_18
; %bb.17:                               ;   in Loop: Header=BB264_10 Depth=1
	v_mov_b32_e32 v32, v34
	s_waitcnt lgkmcnt(1)
	v_mov_b32_e32 v16, v20
	s_waitcnt lgkmcnt(0)
	v_mov_b32_e32 v33, v19
	v_pk_mov_b32 v[18:19], v[20:21], v[20:21] op_sel:[0,1]
.LBB264_18:                             ;   in Loop: Header=BB264_10 Depth=1
	s_or_b64 exec, exec, s[2:3]
	ds_bpermute_b32 v34, v27, v32
	s_waitcnt lgkmcnt(2)
	ds_bpermute_b32 v20, v27, v16
	s_waitcnt lgkmcnt(2)
	;; [unrolled: 2-line block ×3, first 2 shown]
	v_cmp_lt_f32_e64 s[6:7], v32, v34
	v_cmp_nlt_f32_e64 s[2:3], v32, v34
	s_and_saveexec_b64 s[22:23], s[2:3]
	s_cbranch_execz .LBB264_20
; %bb.19:                               ;   in Loop: Header=BB264_10 Depth=1
	v_cmp_eq_f32_e64 s[2:3], v32, v34
	s_waitcnt lgkmcnt(0)
	v_cmp_lt_i32_e64 s[4:5], v19, v33
	s_and_b64 s[2:3], s[2:3], s[4:5]
	s_andn2_b64 s[4:5], s[6:7], exec
	s_and_b64 s[2:3], s[2:3], exec
	s_or_b64 s[6:7], s[4:5], s[2:3]
.LBB264_20:                             ;   in Loop: Header=BB264_10 Depth=1
	s_or_b64 exec, exec, s[22:23]
	s_and_saveexec_b64 s[2:3], s[6:7]
	s_cbranch_execz .LBB264_22
; %bb.21:                               ;   in Loop: Header=BB264_10 Depth=1
	v_mov_b32_e32 v32, v34
	s_waitcnt lgkmcnt(1)
	v_mov_b32_e32 v16, v20
	s_waitcnt lgkmcnt(0)
	v_mov_b32_e32 v33, v19
	v_pk_mov_b32 v[18:19], v[20:21], v[20:21] op_sel:[0,1]
.LBB264_22:                             ;   in Loop: Header=BB264_10 Depth=1
	s_or_b64 exec, exec, s[2:3]
	s_waitcnt lgkmcnt(1)
	ds_bpermute_b32 v20, v28, v32
	ds_bpermute_b32 v34, v28, v33
	s_waitcnt lgkmcnt(2)
	ds_bpermute_b32 v19, v28, v16
	s_waitcnt lgkmcnt(2)
	v_cmp_eq_f32_e64 s[4:5], v32, v20
	s_waitcnt lgkmcnt(1)
	v_cmp_lt_i32_e64 s[6:7], v34, v33
	v_cmp_lt_f32_e64 s[2:3], v32, v20
	s_and_b64 s[4:5], s[4:5], s[6:7]
	s_or_b64 s[2:3], s[2:3], s[4:5]
	v_cndmask_b32_e64 v16, v33, v34, s[2:3]
	s_and_saveexec_b64 s[6:7], s[0:1]
	s_cbranch_execnz .LBB264_24
; %bb.23:                               ;   in Loop: Header=BB264_10 Depth=1
	s_or_b64 exec, exec, s[6:7]
	s_add_i32 s25, s25, 1
	s_cmp_ge_i32 s25, s8
	s_cbranch_scc1 .LBB264_9
	s_branch .LBB264_25
.LBB264_24:                             ;   in Loop: Header=BB264_10 Depth=1
	s_waitcnt lgkmcnt(0)
	v_cndmask_b32_e64 v20, v18, v19, s[2:3]
	v_add_u32_e32 v18, s25, v24
	v_ashrrev_i32_e32 v19, 31, v18
	v_cmp_le_i32_e64 s[2:3], s9, v16
	v_cmp_gt_i32_e64 s[4:5], s10, v16
	v_lshlrev_b64 v[18:19], 2, v[18:19]
	s_and_b64 s[4:5], s[2:3], s[4:5]
	v_mov_b32_e32 v33, s17
	v_add_co_u32_e64 v32, s[2:3], s16, v18
	v_addc_co_u32_e64 v33, s[2:3], v33, v19, s[2:3]
	global_store_dword v[32:33], v20, off
	v_subrev_u32_e32 v32, s9, v16
	s_and_b64 s[2:3], s[18:19], s[4:5]
	v_cndmask_b32_e64 v34, v29, v32, s[2:3]
	v_mov_b32_e32 v33, s13
	v_add_co_u32_e64 v32, s[2:3], s12, v18
	v_addc_co_u32_e64 v33, s[2:3], v33, v19, s[2:3]
	global_store_dword v[32:33], v34, off
	v_mov_b32_e32 v32, s15
	v_add_co_u32_e64 v18, s[2:3], s14, v18
	v_addc_co_u32_e64 v19, s[2:3], v32, v19, s[2:3]
	global_store_dword v[18:19], v31, off
	v_add_f32_e32 v18, v23, v20
	v_cndmask_b32_e32 v23, v23, v18, vcc
	s_or_b64 exec, exec, s[6:7]
	s_add_i32 s25, s25, 1
	s_cmp_ge_i32 s25, s8
	s_cbranch_scc1 .LBB264_9
.LBB264_25:                             ;   in Loop: Header=BB264_10 Depth=1
	s_waitcnt lgkmcnt(0)
	v_ashrrev_i32_e32 v19, 31, v16
	v_lshrrev_b32_e32 v18, 29, v19
	v_add_u32_e32 v18, v16, v18
	v_ashrrev_i32_e32 v18, 3, v18
	v_lshrrev_b32_e32 v20, 28, v18
	v_add_u32_e32 v20, v18, v20
	v_and_b32_e32 v20, -16, v20
	v_sub_u32_e32 v20, v18, v20
	v_cmp_eq_u32_e64 s[2:3], v21, v20
	s_and_saveexec_b64 s[4:5], s[2:3]
	s_cbranch_execz .LBB264_8
; %bb.26:                               ;   in Loop: Header=BB264_10 Depth=1
	v_lshrrev_b32_e32 v19, 25, v19
	v_add_u32_e32 v19, v16, v19
	v_lshlrev_b32_e32 v18, 3, v18
	v_ashrrev_i32_e32 v19, 7, v19
	v_sub_u32_e32 v16, v16, v18
	v_lshl_add_u32 v16, v19, 3, v16
	v_cmp_ne_u32_e64 s[2:3], 7, v16
	v_cndmask_b32_e64 v15, v30, v15, s[2:3]
	v_cmp_ne_u32_e64 s[2:3], 6, v16
	v_cndmask_b32_e64 v14, v30, v14, s[2:3]
	;; [unrolled: 2-line block ×8, first 2 shown]
	s_branch .LBB264_8
.LBB264_27:
                                        ; implicit-def: $vgpr8_vgpr9_vgpr10_vgpr11_vgpr12_vgpr13_vgpr14_vgpr15
	s_andn2_b64 vcc, exec, s[8:9]
	s_cbranch_vccz .LBB264_5
	s_branch .LBB264_6
.LBB264_28:
	v_mov_b32_e32 v23, 0
.LBB264_29:
	v_cmp_eq_u32_e64 s[0:1], 0, v21
	s_and_b64 s[0:1], s[0:1], vcc
	s_and_b64 exec, exec, s[0:1]
	s_cbranch_execz .LBB264_38
; %bb.30:
	s_andn2_b64 vcc, exec, s[20:21]
	s_cbranch_vccnz .LBB264_38
; %bb.31:
	v_cmp_lt_f32_e32 vcc, 0, v23
	s_mov_b32 s2, 0
	v_cndmask_b32_e32 v0, 1.0, v23, vcc
	v_mul_lo_u32 v4, v17, s8
	s_cmp_eq_u32 s8, 1
	s_mov_b64 s[0:1], -1
	s_cbranch_scc1 .LBB264_35
; %bb.32:
	s_and_b32 s2, s8, 0x7ffffffe
	v_mov_b32_e32 v1, v0
	v_mov_b32_e32 v5, s17
	s_mov_b32 s3, s2
	v_mov_b32_e32 v2, v4
.LBB264_33:                             ; =>This Inner Loop Header: Depth=1
	v_ashrrev_i32_e32 v3, 31, v2
	v_lshlrev_b64 v[6:7], 2, v[2:3]
	v_add_co_u32_e32 v6, vcc, s16, v6
	v_addc_co_u32_e32 v7, vcc, v5, v7, vcc
	global_load_dwordx2 v[8:9], v[6:7], off
	s_add_i32 s3, s3, -2
	s_cmp_lg_u32 s3, 0
	v_add_u32_e32 v2, 2, v2
	s_waitcnt vmcnt(0)
	v_div_scale_f32 v3, s[0:1], v1, v1, v9
	v_div_scale_f32 v11, s[0:1], v0, v0, v8
	v_rcp_f32_e32 v12, v3
	v_rcp_f32_e32 v13, v11
	v_div_scale_f32 v10, vcc, v9, v1, v9
	v_fma_f32 v15, -v3, v12, 1.0
	v_fma_f32 v16, -v11, v13, 1.0
	v_fmac_f32_e32 v12, v15, v12
	v_div_scale_f32 v14, s[0:1], v8, v0, v8
	v_fmac_f32_e32 v13, v16, v13
	v_mul_f32_e32 v15, v10, v12
	v_mul_f32_e32 v16, v14, v13
	v_fma_f32 v17, -v3, v15, v10
	v_fma_f32 v18, -v11, v16, v14
	v_fmac_f32_e32 v15, v17, v12
	v_fmac_f32_e32 v16, v18, v13
	v_fma_f32 v3, -v3, v15, v10
	v_fma_f32 v10, -v11, v16, v14
	v_div_fmas_f32 v3, v3, v12, v15
	s_mov_b64 vcc, s[0:1]
	v_div_fixup_f32 v9, v3, v1, v9
	v_div_fmas_f32 v3, v10, v13, v16
	v_div_fixup_f32 v8, v3, v0, v8
	global_store_dwordx2 v[6:7], v[8:9], off
	s_cbranch_scc1 .LBB264_33
; %bb.34:
	s_cmp_lg_u32 s2, s8
	s_cselect_b64 s[0:1], -1, 0
.LBB264_35:
	s_and_b64 vcc, exec, s[0:1]
	s_cbranch_vccz .LBB264_38
; %bb.36:
	v_ashrrev_i32_e32 v1, 31, v4
	v_add_co_u32_e32 v2, vcc, s2, v4
	v_addc_co_u32_e32 v3, vcc, 0, v1, vcc
	v_lshlrev_b64 v[2:3], 2, v[2:3]
	v_mov_b32_e32 v1, s17
	v_add_co_u32_e32 v2, vcc, s16, v2
	s_sub_i32 s0, s8, s2
	v_addc_co_u32_e32 v3, vcc, v1, v3, vcc
.LBB264_37:                             ; =>This Inner Loop Header: Depth=1
	global_load_dword v1, v[2:3], off
	s_add_i32 s0, s0, -1
	s_cmp_lg_u32 s0, 0
	s_waitcnt vmcnt(0)
	v_div_scale_f32 v4, s[2:3], v0, v0, v1
	v_rcp_f32_e32 v5, v4
	v_div_scale_f32 v6, vcc, v1, v0, v1
	v_fma_f32 v7, -v4, v5, 1.0
	v_fmac_f32_e32 v5, v7, v5
	v_mul_f32_e32 v7, v6, v5
	v_fma_f32 v8, -v4, v7, v6
	v_fmac_f32_e32 v7, v8, v5
	v_fma_f32 v4, -v4, v7, v6
	v_div_fmas_f32 v4, v4, v5, v7
	v_div_fixup_f32 v1, v4, v0, v1
	global_store_dword v[2:3], v1, off
	v_add_co_u32_e32 v2, vcc, 4, v2
	v_addc_co_u32_e32 v3, vcc, 0, v3, vcc
	s_cbranch_scc1 .LBB264_37
.LBB264_38:
	s_endpgm
	.section	.rodata,"a",@progbits
	.p2align	6, 0x0
	.amdhsa_kernel _ZN4vllm3moe10topkGatingILi8ELi128ELi4ELi16ELi32Ei6__halfLNS0_11ScoringFuncE1EEEvPKT5_PKbPfiPT4_PiiiibPKf
		.amdhsa_group_segment_fixed_size 0
		.amdhsa_private_segment_fixed_size 0
		.amdhsa_kernarg_size 72
		.amdhsa_user_sgpr_count 6
		.amdhsa_user_sgpr_private_segment_buffer 1
		.amdhsa_user_sgpr_dispatch_ptr 0
		.amdhsa_user_sgpr_queue_ptr 0
		.amdhsa_user_sgpr_kernarg_segment_ptr 1
		.amdhsa_user_sgpr_dispatch_id 0
		.amdhsa_user_sgpr_flat_scratch_init 0
		.amdhsa_user_sgpr_kernarg_preload_length 0
		.amdhsa_user_sgpr_kernarg_preload_offset 0
		.amdhsa_user_sgpr_private_segment_size 0
		.amdhsa_uses_dynamic_stack 0
		.amdhsa_system_sgpr_private_segment_wavefront_offset 0
		.amdhsa_system_sgpr_workgroup_id_x 1
		.amdhsa_system_sgpr_workgroup_id_y 0
		.amdhsa_system_sgpr_workgroup_id_z 0
		.amdhsa_system_sgpr_workgroup_info 0
		.amdhsa_system_vgpr_workitem_id 1
		.amdhsa_next_free_vgpr 36
		.amdhsa_next_free_sgpr 26
		.amdhsa_accum_offset 36
		.amdhsa_reserve_vcc 1
		.amdhsa_reserve_flat_scratch 0
		.amdhsa_float_round_mode_32 0
		.amdhsa_float_round_mode_16_64 0
		.amdhsa_float_denorm_mode_32 3
		.amdhsa_float_denorm_mode_16_64 3
		.amdhsa_dx10_clamp 1
		.amdhsa_ieee_mode 1
		.amdhsa_fp16_overflow 0
		.amdhsa_tg_split 0
		.amdhsa_exception_fp_ieee_invalid_op 0
		.amdhsa_exception_fp_denorm_src 0
		.amdhsa_exception_fp_ieee_div_zero 0
		.amdhsa_exception_fp_ieee_overflow 0
		.amdhsa_exception_fp_ieee_underflow 0
		.amdhsa_exception_fp_ieee_inexact 0
		.amdhsa_exception_int_div_zero 0
	.end_amdhsa_kernel
	.section	.text._ZN4vllm3moe10topkGatingILi8ELi128ELi4ELi16ELi32Ei6__halfLNS0_11ScoringFuncE1EEEvPKT5_PKbPfiPT4_PiiiibPKf,"axG",@progbits,_ZN4vllm3moe10topkGatingILi8ELi128ELi4ELi16ELi32Ei6__halfLNS0_11ScoringFuncE1EEEvPKT5_PKbPfiPT4_PiiiibPKf,comdat
.Lfunc_end264:
	.size	_ZN4vllm3moe10topkGatingILi8ELi128ELi4ELi16ELi32Ei6__halfLNS0_11ScoringFuncE1EEEvPKT5_PKbPfiPT4_PiiiibPKf, .Lfunc_end264-_ZN4vllm3moe10topkGatingILi8ELi128ELi4ELi16ELi32Ei6__halfLNS0_11ScoringFuncE1EEEvPKT5_PKbPfiPT4_PiiiibPKf
                                        ; -- End function
	.section	.AMDGPU.csdata,"",@progbits
; Kernel info:
; codeLenInByte = 3004
; NumSgprs: 30
; NumVgprs: 36
; NumAgprs: 0
; TotalNumVgprs: 36
; ScratchSize: 0
; MemoryBound: 0
; FloatMode: 240
; IeeeMode: 1
; LDSByteSize: 0 bytes/workgroup (compile time only)
; SGPRBlocks: 3
; VGPRBlocks: 4
; NumSGPRsForWavesPerEU: 30
; NumVGPRsForWavesPerEU: 36
; AccumOffset: 36
; Occupancy: 8
; WaveLimiterHint : 0
; COMPUTE_PGM_RSRC2:SCRATCH_EN: 0
; COMPUTE_PGM_RSRC2:USER_SGPR: 6
; COMPUTE_PGM_RSRC2:TRAP_HANDLER: 0
; COMPUTE_PGM_RSRC2:TGID_X_EN: 1
; COMPUTE_PGM_RSRC2:TGID_Y_EN: 0
; COMPUTE_PGM_RSRC2:TGID_Z_EN: 0
; COMPUTE_PGM_RSRC2:TIDIG_COMP_CNT: 1
; COMPUTE_PGM_RSRC3_GFX90A:ACCUM_OFFSET: 8
; COMPUTE_PGM_RSRC3_GFX90A:TG_SPLIT: 0
	.section	.text._ZN4vllm3moe10topkGatingILi8ELi256ELi4ELi16ELi64Ei6__halfLNS0_11ScoringFuncE1EEEvPKT5_PKbPfiPT4_PiiiibPKf,"axG",@progbits,_ZN4vllm3moe10topkGatingILi8ELi256ELi4ELi16ELi64Ei6__halfLNS0_11ScoringFuncE1EEEvPKT5_PKbPfiPT4_PiiiibPKf,comdat
	.protected	_ZN4vllm3moe10topkGatingILi8ELi256ELi4ELi16ELi64Ei6__halfLNS0_11ScoringFuncE1EEEvPKT5_PKbPfiPT4_PiiiibPKf ; -- Begin function _ZN4vllm3moe10topkGatingILi8ELi256ELi4ELi16ELi64Ei6__halfLNS0_11ScoringFuncE1EEEvPKT5_PKbPfiPT4_PiiiibPKf
	.globl	_ZN4vllm3moe10topkGatingILi8ELi256ELi4ELi16ELi64Ei6__halfLNS0_11ScoringFuncE1EEEvPKT5_PKbPfiPT4_PiiiibPKf
	.p2align	8
	.type	_ZN4vllm3moe10topkGatingILi8ELi256ELi4ELi16ELi64Ei6__halfLNS0_11ScoringFuncE1EEEvPKT5_PKbPfiPT4_PiiiibPKf,@function
_ZN4vllm3moe10topkGatingILi8ELi256ELi4ELi16ELi64Ei6__halfLNS0_11ScoringFuncE1EEEvPKT5_PKbPfiPT4_PiiiibPKf: ; @_ZN4vllm3moe10topkGatingILi8ELi256ELi4ELi16ELi64Ei6__halfLNS0_11ScoringFuncE1EEEvPKT5_PKbPfiPT4_PiiiibPKf
; %bb.0:
	s_load_dword s24, s[4:5], 0x18
	v_bfe_u32 v1, v0, 10, 10
	v_and_b32_e32 v0, 0x3ff, v0
	s_lshl_b32 s0, s6, 3
	v_lshlrev_b32_e32 v1, 1, v1
	v_lshrrev_b32_e32 v2, 5, v0
	v_add3_u32 v17, s0, v1, v2
	s_waitcnt lgkmcnt(0)
	v_cmp_gt_i32_e32 vcc, s24, v17
	s_and_saveexec_b64 s[0:1], vcc
	s_cbranch_execz .LBB265_42
; %bb.1:
	s_load_dwordx4 s[0:3], s[4:5], 0x0
	s_load_dwordx2 s[16:17], s[4:5], 0x10
	s_mov_b64 s[8:9], -1
	s_mov_b64 s[18:19], -1
	s_waitcnt lgkmcnt(0)
	s_cmp_eq_u64 s[2:3], 0
	s_cbranch_scc1 .LBB265_3
; %bb.2:
	v_ashrrev_i32_e32 v1, 31, v17
	v_mov_b32_e32 v3, s3
	v_add_co_u32_e32 v2, vcc, s2, v17
	v_addc_co_u32_e32 v3, vcc, v3, v1, vcc
	global_load_ubyte v1, v[2:3], off
	s_waitcnt vmcnt(0)
	v_and_b32_e32 v1, 1, v1
	v_cmp_eq_u32_e32 vcc, 1, v1
	s_xor_b64 s[2:3], vcc, -1
	s_orn2_b64 s[18:19], s[2:3], exec
.LBB265_3:
	v_lshlrev_b32_e32 v2, 8, v17
	v_ashrrev_i32_e32 v3, 31, v2
	v_lshlrev_b64 v[2:3], 1, v[2:3]
	v_mov_b32_e32 v1, s1
	v_add_co_u32_e32 v2, vcc, s0, v2
	v_and_b32_e32 v21, 31, v0
	v_addc_co_u32_e32 v1, vcc, v1, v3, vcc
	v_lshlrev_b32_e32 v0, 4, v21
	v_add_co_u32_e32 v0, vcc, v2, v0
	v_addc_co_u32_e32 v1, vcc, 0, v1, vcc
	global_load_dwordx4 v[0:3], v[0:1], off
	v_mov_b32_e32 v8, 0x207
	s_load_dwordx2 s[10:11], s[4:5], 0x40
	v_lshlrev_b32_e32 v22, 3, v21
	s_waitcnt lgkmcnt(0)
	s_cmp_eq_u64 s[10:11], 0
	s_waitcnt vmcnt(0)
	v_cvt_f32_f16_e32 v4, v0
	v_cvt_f32_f16_sdwa v0, v0 dst_sel:DWORD dst_unused:UNUSED_PAD src0_sel:WORD_1
	v_cvt_f32_f16_e32 v5, v1
	v_cvt_f32_f16_sdwa v1, v1 dst_sel:DWORD dst_unused:UNUSED_PAD src0_sel:WORD_1
	v_mul_f32_e32 v4, 0xbfb8aa3b, v4
	v_mul_f32_e32 v9, 0xbfb8aa3b, v0
	v_cvt_f32_f16_e32 v6, v2
	v_cvt_f32_f16_sdwa v2, v2 dst_sel:DWORD dst_unused:UNUSED_PAD src0_sel:WORD_1
	v_cvt_f32_f16_e32 v7, v3
	v_cvt_f32_f16_sdwa v3, v3 dst_sel:DWORD dst_unused:UNUSED_PAD src0_sel:WORD_1
	v_mul_f32_e32 v10, 0xbfb8aa3b, v1
	v_exp_f32_e32 v0, v4
	v_exp_f32_e32 v1, v9
	v_mul_f32_e32 v5, 0xbfb8aa3b, v5
	v_mul_f32_e32 v11, 0xbfb8aa3b, v2
	;; [unrolled: 1-line block ×3, first 2 shown]
	v_exp_f32_e32 v2, v5
	v_exp_f32_e32 v3, v10
	v_pk_add_f32 v[0:1], v[0:1], 1.0 op_sel_hi:[1,0]
	v_div_scale_f32 v9, s[0:1], v1, v1, 1.0
	v_rcp_f32_e32 v19, v9
	v_exp_f32_e32 v5, v11
	v_div_scale_f32 v11, s[0:1], v0, v0, 1.0
	v_pk_add_f32 v[2:3], v[2:3], 1.0 op_sel_hi:[1,0]
	v_rcp_f32_e32 v20, v11
	v_div_scale_f32 v13, s[2:3], v3, v3, 1.0
	v_rcp_f32_e32 v23, v13
	v_fma_f32 v26, -v9, v19, 1.0
	v_div_scale_f32 v10, vcc, 1.0, v1, 1.0
	v_div_scale_f32 v15, s[6:7], v2, v2, 1.0
	v_fmac_f32_e32 v19, v26, v19
	v_mul_f32_e32 v6, 0xbfb8aa3b, v6
	v_mul_f32_e32 v7, 0xbfb8aa3b, v7
	v_rcp_f32_e32 v24, v15
	v_fma_f32 v27, -v11, v20, 1.0
	v_mul_f32_e32 v26, v10, v19
	v_exp_f32_e32 v4, v6
	v_exp_f32_e32 v6, v7
	;; [unrolled: 1-line block ×3, first 2 shown]
	v_div_scale_f32 v12, s[0:1], 1.0, v0, 1.0
	v_fmac_f32_e32 v20, v27, v20
	v_fma_f32 v30, -v9, v26, v10
	v_fma_f32 v28, -v13, v23, 1.0
	v_mul_f32_e32 v27, v12, v20
	v_fmac_f32_e32 v26, v30, v19
	v_div_scale_f32 v14, s[2:3], 1.0, v3, 1.0
	v_fmac_f32_e32 v23, v28, v23
	v_fma_f32 v31, -v11, v27, v12
	v_fma_f32 v9, -v9, v26, v10
	v_fma_f32 v29, -v15, v24, 1.0
	v_mul_f32_e32 v28, v14, v23
	v_fmac_f32_e32 v27, v31, v20
	v_div_fmas_f32 v9, v9, v19, v26
	v_div_scale_f32 v16, s[6:7], 1.0, v2, 1.0
	v_fmac_f32_e32 v24, v29, v24
	v_fma_f32 v32, -v13, v28, v14
	v_fma_f32 v10, -v11, v27, v12
	v_div_fixup_f32 v1, v9, v1, 1.0
	s_mov_b64 vcc, s[0:1]
	v_pk_add_f32 v[4:5], v[4:5], 1.0 op_sel_hi:[1,0]
	v_mul_f32_e32 v29, v16, v24
	v_fmac_f32_e32 v28, v32, v23
	v_div_fmas_f32 v9, v10, v20, v27
	v_cmp_class_f32_e32 vcc, v1, v8
	v_div_scale_f32 v18, s[12:13], v5, v5, 1.0
	v_fma_f32 v33, -v15, v29, v16
	v_fma_f32 v11, -v13, v28, v14
	v_div_fixup_f32 v0, v9, v0, 1.0
	v_cndmask_b32_e64 v1, v1, 0, vcc
	s_mov_b64 vcc, s[2:3]
	v_rcp_f32_e32 v25, v18
	v_fmac_f32_e32 v29, v33, v24
	v_div_fmas_f32 v9, v11, v23, v28
	v_cmp_class_f32_e32 vcc, v0, v8
	v_fma_f32 v12, -v15, v29, v16
	v_cndmask_b32_e64 v0, v0, 0, vcc
	s_mov_b64 vcc, s[6:7]
	v_div_fixup_f32 v3, v9, v3, 1.0
	v_div_fmas_f32 v9, v12, v24, v29
	v_div_fixup_f32 v2, v9, v2, 1.0
	v_cmp_class_f32_e32 vcc, v3, v8
	v_cndmask_b32_e64 v3, v3, 0, vcc
	v_cmp_class_f32_e32 vcc, v2, v8
	v_fma_f32 v9, -v18, v25, 1.0
	v_cndmask_b32_e64 v2, v2, 0, vcc
	v_fmac_f32_e32 v25, v9, v25
	v_div_scale_f32 v9, vcc, 1.0, v5, 1.0
	v_mul_f32_e32 v10, v9, v25
	v_fma_f32 v11, -v18, v10, v9
	v_fmac_f32_e32 v10, v11, v25
	v_div_scale_f32 v11, s[0:1], v4, v4, 1.0
	v_rcp_f32_e32 v12, v11
	v_fma_f32 v9, -v18, v10, v9
	v_div_fmas_f32 v9, v9, v25, v10
	v_div_fixup_f32 v5, v9, v5, 1.0
	v_fma_f32 v9, -v11, v12, 1.0
	v_fmac_f32_e32 v12, v9, v12
	v_div_scale_f32 v9, vcc, 1.0, v4, 1.0
	v_mul_f32_e32 v10, v9, v12
	v_fma_f32 v13, -v11, v10, v9
	v_fmac_f32_e32 v10, v13, v12
	v_fma_f32 v9, -v11, v10, v9
	v_div_fmas_f32 v9, v9, v12, v10
	v_pk_add_f32 v[6:7], v[6:7], 1.0 op_sel_hi:[1,0]
	v_div_fixup_f32 v4, v9, v4, 1.0
	v_div_scale_f32 v9, s[0:1], v7, v7, 1.0
	v_rcp_f32_e32 v10, v9
	v_cmp_class_f32_e32 vcc, v5, v8
	v_cndmask_b32_e64 v5, v5, 0, vcc
	v_cmp_class_f32_e32 vcc, v4, v8
	v_fma_f32 v11, -v9, v10, 1.0
	v_cndmask_b32_e64 v4, v4, 0, vcc
	v_fmac_f32_e32 v10, v11, v10
	v_div_scale_f32 v11, vcc, 1.0, v7, 1.0
	v_mul_f32_e32 v12, v11, v10
	v_fma_f32 v13, -v9, v12, v11
	v_fmac_f32_e32 v12, v13, v10
	v_fma_f32 v9, -v9, v12, v11
	v_div_scale_f32 v11, s[0:1], v6, v6, 1.0
	v_rcp_f32_e32 v13, v11
	v_div_fmas_f32 v9, v9, v10, v12
	v_div_fixup_f32 v7, v9, v7, 1.0
	v_fma_f32 v9, -v11, v13, 1.0
	v_fmac_f32_e32 v13, v9, v13
	v_div_scale_f32 v9, vcc, 1.0, v6, 1.0
	v_mul_f32_e32 v10, v9, v13
	v_fma_f32 v12, -v11, v10, v9
	v_fmac_f32_e32 v10, v12, v13
	v_fma_f32 v9, -v11, v10, v9
	v_div_fmas_f32 v9, v9, v13, v10
	v_div_fixup_f32 v6, v9, v6, 1.0
	v_cmp_class_f32_e32 vcc, v7, v8
	v_cndmask_b32_e64 v7, v7, 0, vcc
	v_cmp_class_f32_e32 vcc, v6, v8
	v_cndmask_b32_e64 v6, v6, 0, vcc
	s_cbranch_scc1 .LBB265_31
; %bb.4:
	v_lshlrev_b32_e32 v16, 2, v22
	global_load_dwordx4 v[8:11], v16, s[10:11]
	global_load_dwordx4 v[12:15], v16, s[10:11] offset:16
	s_waitcnt vmcnt(1)
	v_pk_add_f32 v[8:9], v[8:9], v[0:1]
	v_pk_add_f32 v[10:11], v[10:11], v[2:3]
	s_waitcnt vmcnt(0)
	v_pk_add_f32 v[12:13], v[12:13], v[4:5]
	v_pk_add_f32 v[14:15], v[14:15], v[6:7]
	s_cbranch_execnz .LBB265_6
.LBB265_5:
	v_pk_mov_b32 v[14:15], v[6:7], v[6:7] op_sel:[0,1]
	v_pk_mov_b32 v[12:13], v[4:5], v[4:5] op_sel:[0,1]
	;; [unrolled: 1-line block ×4, first 2 shown]
.LBB265_6:
	s_load_dwordx4 s[8:11], s[4:5], 0x30
	s_mov_b32 s25, 0
	v_cmp_eq_u32_e64 s[0:1], 0, v21
	s_waitcnt lgkmcnt(0)
	s_bitcmp1_b32 s11, 0
	s_cselect_b64 vcc, -1, 0
	s_cmp_gt_i32 s8, 0
	s_cselect_b64 s[20:21], -1, 0
	s_cmp_lt_i32 s8, 1
	s_cbranch_scc1 .LBB265_32
; %bb.7:
	v_mbcnt_lo_u32_b32 v16, -1, 0
	v_mbcnt_hi_u32_b32 v16, -1, v16
	v_and_b32_e32 v18, 0x60, v16
	v_add_u32_e32 v18, 32, v18
	v_xor_b32_e32 v19, 16, v16
	v_cmp_lt_i32_e64 s[2:3], v19, v18
	v_cndmask_b32_e64 v19, v16, v19, s[2:3]
	v_lshlrev_b32_e32 v25, 2, v19
	v_xor_b32_e32 v19, 8, v16
	v_cmp_lt_i32_e64 s[2:3], v19, v18
	v_cndmask_b32_e64 v19, v16, v19, s[2:3]
	v_lshlrev_b32_e32 v26, 2, v19
	;; [unrolled: 4-line block ×3, first 2 shown]
	v_xor_b32_e32 v19, 2, v16
	v_cmp_lt_i32_e64 s[2:3], v19, v18
	s_load_dwordx4 s[12:15], s[4:5], 0x20
	v_cndmask_b32_e64 v19, v16, v19, s[2:3]
	v_lshlrev_b32_e32 v28, 2, v19
	v_xor_b32_e32 v19, 1, v16
	v_cmp_lt_i32_e64 s[2:3], v19, v18
	v_cndmask_b32_e64 v16, v16, v19, s[2:3]
	v_mul_lo_u32 v24, v17, s8
	v_lshlrev_b32_e32 v29, 2, v16
	v_mov_b32_e32 v23, 0
	v_mov_b32_e32 v30, 0x100
	;; [unrolled: 1-line block ×4, first 2 shown]
	s_branch .LBB265_10
.LBB265_8:                              ;   in Loop: Header=BB265_10 Depth=1
	s_or_b64 exec, exec, s[4:5]
.LBB265_9:                              ;   in Loop: Header=BB265_10 Depth=1
	s_cmp_eq_u32 s8, s25
	v_add_u32_e32 v32, s24, v32
	s_cbranch_scc1 .LBB265_33
.LBB265_10:                             ; =>This Inner Loop Header: Depth=1
	v_cmp_gt_f32_e64 s[2:3], v9, v8
	s_waitcnt lgkmcnt(0)
	v_cndmask_b32_e64 v19, v8, v9, s[2:3]
	v_cndmask_b32_e64 v16, 0, 1, s[2:3]
	v_cndmask_b32_e64 v18, v0, v1, s[2:3]
	v_cmp_gt_f32_e64 s[2:3], v10, v19
	v_cndmask_b32_e64 v19, v19, v10, s[2:3]
	v_cndmask_b32_e64 v16, v16, 2, s[2:3]
	v_cndmask_b32_e64 v18, v18, v2, s[2:3]
	v_cmp_gt_f32_e64 s[2:3], v11, v19
	;; [unrolled: 4-line block ×6, first 2 shown]
	v_cndmask_b32_e64 v16, v16, 7, s[2:3]
	v_cndmask_b32_e64 v33, v19, v15, s[2:3]
	v_or_b32_e32 v34, v22, v16
	v_cndmask_b32_e64 v16, v18, v7, s[2:3]
	ds_bpermute_b32 v36, v25, v33
	ds_bpermute_b32 v20, v25, v16
	;; [unrolled: 1-line block ×3, first 2 shown]
                                        ; implicit-def: $vgpr18_vgpr19
	s_waitcnt lgkmcnt(0)
	v_cmp_lt_f32_e64 s[6:7], v33, v36
	v_cmp_nlt_f32_e64 s[2:3], v33, v36
	s_and_saveexec_b64 s[22:23], s[2:3]
; %bb.11:                               ;   in Loop: Header=BB265_10 Depth=1
	v_cmp_eq_f32_e64 s[2:3], v33, v36
	v_cmp_lt_i32_e64 s[4:5], v35, v34
	s_and_b64 s[2:3], s[2:3], s[4:5]
	s_andn2_b64 s[4:5], s[6:7], exec
	s_and_b64 s[2:3], s[2:3], exec
	s_or_b64 s[6:7], s[4:5], s[2:3]
	v_pk_mov_b32 v[18:19], v[16:17], v[16:17] op_sel:[0,1]
; %bb.12:                               ;   in Loop: Header=BB265_10 Depth=1
	s_or_b64 exec, exec, s[22:23]
	s_and_saveexec_b64 s[2:3], s[6:7]
; %bb.13:                               ;   in Loop: Header=BB265_10 Depth=1
	v_mov_b32_e32 v33, v36
	v_mov_b32_e32 v16, v20
	;; [unrolled: 1-line block ×3, first 2 shown]
	v_pk_mov_b32 v[18:19], v[20:21], v[20:21] op_sel:[0,1]
; %bb.14:                               ;   in Loop: Header=BB265_10 Depth=1
	s_or_b64 exec, exec, s[2:3]
	ds_bpermute_b32 v35, v26, v33
	ds_bpermute_b32 v20, v26, v16
	;; [unrolled: 1-line block ×3, first 2 shown]
	s_waitcnt lgkmcnt(2)
	v_cmp_lt_f32_e64 s[6:7], v33, v35
	v_cmp_nlt_f32_e64 s[2:3], v33, v35
	s_and_saveexec_b64 s[22:23], s[2:3]
	s_cbranch_execz .LBB265_16
; %bb.15:                               ;   in Loop: Header=BB265_10 Depth=1
	v_cmp_eq_f32_e64 s[2:3], v33, v35
	s_waitcnt lgkmcnt(0)
	v_cmp_lt_i32_e64 s[4:5], v19, v34
	s_and_b64 s[2:3], s[2:3], s[4:5]
	s_andn2_b64 s[4:5], s[6:7], exec
	s_and_b64 s[2:3], s[2:3], exec
	s_or_b64 s[6:7], s[4:5], s[2:3]
.LBB265_16:                             ;   in Loop: Header=BB265_10 Depth=1
	s_or_b64 exec, exec, s[22:23]
	s_and_saveexec_b64 s[2:3], s[6:7]
	s_cbranch_execz .LBB265_18
; %bb.17:                               ;   in Loop: Header=BB265_10 Depth=1
	v_mov_b32_e32 v33, v35
	s_waitcnt lgkmcnt(1)
	v_mov_b32_e32 v16, v20
	s_waitcnt lgkmcnt(0)
	v_mov_b32_e32 v34, v19
	v_pk_mov_b32 v[18:19], v[20:21], v[20:21] op_sel:[0,1]
.LBB265_18:                             ;   in Loop: Header=BB265_10 Depth=1
	s_or_b64 exec, exec, s[2:3]
	ds_bpermute_b32 v35, v27, v33
	s_waitcnt lgkmcnt(2)
	ds_bpermute_b32 v20, v27, v16
	s_waitcnt lgkmcnt(2)
	;; [unrolled: 2-line block ×3, first 2 shown]
	v_cmp_lt_f32_e64 s[6:7], v33, v35
	v_cmp_nlt_f32_e64 s[2:3], v33, v35
	s_and_saveexec_b64 s[22:23], s[2:3]
	s_cbranch_execz .LBB265_20
; %bb.19:                               ;   in Loop: Header=BB265_10 Depth=1
	v_cmp_eq_f32_e64 s[2:3], v33, v35
	s_waitcnt lgkmcnt(0)
	v_cmp_lt_i32_e64 s[4:5], v19, v34
	s_and_b64 s[2:3], s[2:3], s[4:5]
	s_andn2_b64 s[4:5], s[6:7], exec
	s_and_b64 s[2:3], s[2:3], exec
	s_or_b64 s[6:7], s[4:5], s[2:3]
.LBB265_20:                             ;   in Loop: Header=BB265_10 Depth=1
	s_or_b64 exec, exec, s[22:23]
	s_and_saveexec_b64 s[2:3], s[6:7]
	s_cbranch_execz .LBB265_22
; %bb.21:                               ;   in Loop: Header=BB265_10 Depth=1
	v_mov_b32_e32 v33, v35
	s_waitcnt lgkmcnt(1)
	v_mov_b32_e32 v16, v20
	s_waitcnt lgkmcnt(0)
	v_mov_b32_e32 v34, v19
	v_pk_mov_b32 v[18:19], v[20:21], v[20:21] op_sel:[0,1]
.LBB265_22:                             ;   in Loop: Header=BB265_10 Depth=1
	s_or_b64 exec, exec, s[2:3]
	ds_bpermute_b32 v35, v28, v33
	s_waitcnt lgkmcnt(2)
	ds_bpermute_b32 v20, v28, v16
	s_waitcnt lgkmcnt(2)
	;; [unrolled: 2-line block ×3, first 2 shown]
	v_cmp_lt_f32_e64 s[6:7], v33, v35
	v_cmp_nlt_f32_e64 s[2:3], v33, v35
	s_and_saveexec_b64 s[22:23], s[2:3]
	s_cbranch_execz .LBB265_24
; %bb.23:                               ;   in Loop: Header=BB265_10 Depth=1
	v_cmp_eq_f32_e64 s[2:3], v33, v35
	s_waitcnt lgkmcnt(0)
	v_cmp_lt_i32_e64 s[4:5], v19, v34
	s_and_b64 s[2:3], s[2:3], s[4:5]
	s_andn2_b64 s[4:5], s[6:7], exec
	s_and_b64 s[2:3], s[2:3], exec
	s_or_b64 s[6:7], s[4:5], s[2:3]
.LBB265_24:                             ;   in Loop: Header=BB265_10 Depth=1
	s_or_b64 exec, exec, s[22:23]
	s_and_saveexec_b64 s[2:3], s[6:7]
	s_cbranch_execz .LBB265_26
; %bb.25:                               ;   in Loop: Header=BB265_10 Depth=1
	v_mov_b32_e32 v33, v35
	s_waitcnt lgkmcnt(1)
	v_mov_b32_e32 v16, v20
	s_waitcnt lgkmcnt(0)
	v_mov_b32_e32 v34, v19
	v_pk_mov_b32 v[18:19], v[20:21], v[20:21] op_sel:[0,1]
.LBB265_26:                             ;   in Loop: Header=BB265_10 Depth=1
	s_or_b64 exec, exec, s[2:3]
	s_waitcnt lgkmcnt(1)
	ds_bpermute_b32 v20, v29, v33
	ds_bpermute_b32 v35, v29, v34
	s_waitcnt lgkmcnt(2)
	ds_bpermute_b32 v19, v29, v16
	s_waitcnt lgkmcnt(2)
	v_cmp_eq_f32_e64 s[4:5], v33, v20
	s_waitcnt lgkmcnt(1)
	v_cmp_lt_i32_e64 s[6:7], v35, v34
	v_cmp_lt_f32_e64 s[2:3], v33, v20
	s_and_b64 s[4:5], s[4:5], s[6:7]
	s_or_b64 s[2:3], s[2:3], s[4:5]
	v_cndmask_b32_e64 v16, v34, v35, s[2:3]
	s_and_saveexec_b64 s[6:7], s[0:1]
	s_cbranch_execnz .LBB265_28
; %bb.27:                               ;   in Loop: Header=BB265_10 Depth=1
	s_or_b64 exec, exec, s[6:7]
	s_add_i32 s25, s25, 1
	s_cmp_ge_i32 s25, s8
	s_cbranch_scc1 .LBB265_9
	s_branch .LBB265_29
.LBB265_28:                             ;   in Loop: Header=BB265_10 Depth=1
	s_waitcnt lgkmcnt(0)
	v_cndmask_b32_e64 v20, v18, v19, s[2:3]
	v_add_u32_e32 v18, s25, v24
	v_ashrrev_i32_e32 v19, 31, v18
	v_cmp_le_i32_e64 s[2:3], s9, v16
	v_cmp_gt_i32_e64 s[4:5], s10, v16
	v_lshlrev_b64 v[18:19], 2, v[18:19]
	s_and_b64 s[4:5], s[2:3], s[4:5]
	v_mov_b32_e32 v33, s17
	v_add_co_u32_e64 v34, s[2:3], s16, v18
	v_addc_co_u32_e64 v35, s[2:3], v33, v19, s[2:3]
	v_subrev_u32_e32 v33, s9, v16
	s_and_b64 s[2:3], s[18:19], s[4:5]
	global_store_dword v[34:35], v20, off
	v_cndmask_b32_e64 v33, v30, v33, s[2:3]
	v_mov_b32_e32 v35, s13
	v_add_co_u32_e64 v34, s[2:3], s12, v18
	v_addc_co_u32_e64 v35, s[2:3], v35, v19, s[2:3]
	global_store_dword v[34:35], v33, off
	v_mov_b32_e32 v33, s15
	v_add_co_u32_e64 v18, s[2:3], s14, v18
	v_addc_co_u32_e64 v19, s[2:3], v33, v19, s[2:3]
	global_store_dword v[18:19], v32, off
	v_add_f32_e32 v18, v23, v20
	v_cndmask_b32_e32 v23, v23, v18, vcc
	s_or_b64 exec, exec, s[6:7]
	s_add_i32 s25, s25, 1
	s_cmp_ge_i32 s25, s8
	s_cbranch_scc1 .LBB265_9
.LBB265_29:                             ;   in Loop: Header=BB265_10 Depth=1
	v_ashrrev_i32_e32 v18, 31, v16
	s_waitcnt lgkmcnt(0)
	v_lshrrev_b32_e32 v19, 29, v18
	v_add_u32_e32 v20, v16, v19
	v_ashrrev_i32_e32 v19, 3, v20
	v_ashrrev_i32_e32 v20, 31, v20
	v_lshrrev_b32_e32 v20, 27, v20
	v_add_u32_e32 v20, v19, v20
	v_and_b32_e32 v20, 0xffffffe0, v20
	v_sub_u32_e32 v20, v19, v20
	v_cmp_eq_u32_e64 s[2:3], v21, v20
	s_and_saveexec_b64 s[4:5], s[2:3]
	s_cbranch_execz .LBB265_8
; %bb.30:                               ;   in Loop: Header=BB265_10 Depth=1
	v_add_u32_sdwa v18, v16, v18 dst_sel:DWORD dst_unused:UNUSED_PAD src0_sel:DWORD src1_sel:BYTE_3
	v_lshlrev_b32_e32 v19, 3, v19
	v_ashrrev_i32_e32 v18, 8, v18
	v_sub_u32_e32 v16, v16, v19
	v_lshl_add_u32 v16, v18, 3, v16
	v_cmp_ne_u32_e64 s[2:3], 7, v16
	v_cndmask_b32_e64 v15, v31, v15, s[2:3]
	v_cmp_ne_u32_e64 s[2:3], 6, v16
	v_cndmask_b32_e64 v14, v31, v14, s[2:3]
	;; [unrolled: 2-line block ×8, first 2 shown]
	s_branch .LBB265_8
.LBB265_31:
                                        ; implicit-def: $vgpr8_vgpr9_vgpr10_vgpr11_vgpr12_vgpr13_vgpr14_vgpr15
	s_andn2_b64 vcc, exec, s[8:9]
	s_cbranch_vccz .LBB265_5
	s_branch .LBB265_6
.LBB265_32:
	v_mov_b32_e32 v23, 0
.LBB265_33:
	v_cmp_eq_u32_e64 s[0:1], 0, v21
	s_and_b64 s[0:1], s[0:1], vcc
	s_and_b64 exec, exec, s[0:1]
	s_cbranch_execz .LBB265_42
; %bb.34:
	s_andn2_b64 vcc, exec, s[20:21]
	s_cbranch_vccnz .LBB265_42
; %bb.35:
	v_cmp_lt_f32_e32 vcc, 0, v23
	s_mov_b32 s2, 0
	v_cndmask_b32_e32 v0, 1.0, v23, vcc
	v_mul_lo_u32 v4, v17, s8
	s_cmp_eq_u32 s8, 1
	s_mov_b64 s[0:1], -1
	s_cbranch_scc1 .LBB265_39
; %bb.36:
	s_and_b32 s2, s8, 0x7ffffffe
	v_mov_b32_e32 v1, v0
	v_mov_b32_e32 v5, s17
	s_mov_b32 s3, s2
	v_mov_b32_e32 v2, v4
.LBB265_37:                             ; =>This Inner Loop Header: Depth=1
	v_ashrrev_i32_e32 v3, 31, v2
	v_lshlrev_b64 v[6:7], 2, v[2:3]
	v_add_co_u32_e32 v6, vcc, s16, v6
	v_addc_co_u32_e32 v7, vcc, v5, v7, vcc
	global_load_dwordx2 v[8:9], v[6:7], off
	s_add_i32 s3, s3, -2
	s_cmp_lg_u32 s3, 0
	v_add_u32_e32 v2, 2, v2
	s_waitcnt vmcnt(0)
	v_div_scale_f32 v3, s[0:1], v1, v1, v9
	v_div_scale_f32 v11, s[0:1], v0, v0, v8
	v_rcp_f32_e32 v12, v3
	v_rcp_f32_e32 v13, v11
	v_div_scale_f32 v10, vcc, v9, v1, v9
	v_fma_f32 v15, -v3, v12, 1.0
	v_fma_f32 v16, -v11, v13, 1.0
	v_fmac_f32_e32 v12, v15, v12
	v_div_scale_f32 v14, s[0:1], v8, v0, v8
	v_fmac_f32_e32 v13, v16, v13
	v_mul_f32_e32 v15, v10, v12
	v_mul_f32_e32 v16, v14, v13
	v_fma_f32 v17, -v3, v15, v10
	v_fma_f32 v18, -v11, v16, v14
	v_fmac_f32_e32 v15, v17, v12
	v_fmac_f32_e32 v16, v18, v13
	v_fma_f32 v3, -v3, v15, v10
	v_fma_f32 v10, -v11, v16, v14
	v_div_fmas_f32 v3, v3, v12, v15
	s_mov_b64 vcc, s[0:1]
	v_div_fixup_f32 v9, v3, v1, v9
	v_div_fmas_f32 v3, v10, v13, v16
	v_div_fixup_f32 v8, v3, v0, v8
	global_store_dwordx2 v[6:7], v[8:9], off
	s_cbranch_scc1 .LBB265_37
; %bb.38:
	s_cmp_lg_u32 s2, s8
	s_cselect_b64 s[0:1], -1, 0
.LBB265_39:
	s_and_b64 vcc, exec, s[0:1]
	s_cbranch_vccz .LBB265_42
; %bb.40:
	v_ashrrev_i32_e32 v1, 31, v4
	v_add_co_u32_e32 v2, vcc, s2, v4
	v_addc_co_u32_e32 v3, vcc, 0, v1, vcc
	v_lshlrev_b64 v[2:3], 2, v[2:3]
	v_mov_b32_e32 v1, s17
	v_add_co_u32_e32 v2, vcc, s16, v2
	s_sub_i32 s0, s8, s2
	v_addc_co_u32_e32 v3, vcc, v1, v3, vcc
.LBB265_41:                             ; =>This Inner Loop Header: Depth=1
	global_load_dword v1, v[2:3], off
	s_add_i32 s0, s0, -1
	s_cmp_lg_u32 s0, 0
	s_waitcnt vmcnt(0)
	v_div_scale_f32 v4, s[2:3], v0, v0, v1
	v_rcp_f32_e32 v5, v4
	v_div_scale_f32 v6, vcc, v1, v0, v1
	v_fma_f32 v7, -v4, v5, 1.0
	v_fmac_f32_e32 v5, v7, v5
	v_mul_f32_e32 v7, v6, v5
	v_fma_f32 v8, -v4, v7, v6
	v_fmac_f32_e32 v7, v8, v5
	v_fma_f32 v4, -v4, v7, v6
	v_div_fmas_f32 v4, v4, v5, v7
	v_div_fixup_f32 v1, v4, v0, v1
	global_store_dword v[2:3], v1, off
	v_add_co_u32_e32 v2, vcc, 4, v2
	v_addc_co_u32_e32 v3, vcc, 0, v3, vcc
	s_cbranch_scc1 .LBB265_41
.LBB265_42:
	s_endpgm
	.section	.rodata,"a",@progbits
	.p2align	6, 0x0
	.amdhsa_kernel _ZN4vllm3moe10topkGatingILi8ELi256ELi4ELi16ELi64Ei6__halfLNS0_11ScoringFuncE1EEEvPKT5_PKbPfiPT4_PiiiibPKf
		.amdhsa_group_segment_fixed_size 0
		.amdhsa_private_segment_fixed_size 0
		.amdhsa_kernarg_size 72
		.amdhsa_user_sgpr_count 6
		.amdhsa_user_sgpr_private_segment_buffer 1
		.amdhsa_user_sgpr_dispatch_ptr 0
		.amdhsa_user_sgpr_queue_ptr 0
		.amdhsa_user_sgpr_kernarg_segment_ptr 1
		.amdhsa_user_sgpr_dispatch_id 0
		.amdhsa_user_sgpr_flat_scratch_init 0
		.amdhsa_user_sgpr_kernarg_preload_length 0
		.amdhsa_user_sgpr_kernarg_preload_offset 0
		.amdhsa_user_sgpr_private_segment_size 0
		.amdhsa_uses_dynamic_stack 0
		.amdhsa_system_sgpr_private_segment_wavefront_offset 0
		.amdhsa_system_sgpr_workgroup_id_x 1
		.amdhsa_system_sgpr_workgroup_id_y 0
		.amdhsa_system_sgpr_workgroup_id_z 0
		.amdhsa_system_sgpr_workgroup_info 0
		.amdhsa_system_vgpr_workitem_id 1
		.amdhsa_next_free_vgpr 37
		.amdhsa_next_free_sgpr 26
		.amdhsa_accum_offset 40
		.amdhsa_reserve_vcc 1
		.amdhsa_reserve_flat_scratch 0
		.amdhsa_float_round_mode_32 0
		.amdhsa_float_round_mode_16_64 0
		.amdhsa_float_denorm_mode_32 3
		.amdhsa_float_denorm_mode_16_64 3
		.amdhsa_dx10_clamp 1
		.amdhsa_ieee_mode 1
		.amdhsa_fp16_overflow 0
		.amdhsa_tg_split 0
		.amdhsa_exception_fp_ieee_invalid_op 0
		.amdhsa_exception_fp_denorm_src 0
		.amdhsa_exception_fp_ieee_div_zero 0
		.amdhsa_exception_fp_ieee_overflow 0
		.amdhsa_exception_fp_ieee_underflow 0
		.amdhsa_exception_fp_ieee_inexact 0
		.amdhsa_exception_int_div_zero 0
	.end_amdhsa_kernel
	.section	.text._ZN4vllm3moe10topkGatingILi8ELi256ELi4ELi16ELi64Ei6__halfLNS0_11ScoringFuncE1EEEvPKT5_PKbPfiPT4_PiiiibPKf,"axG",@progbits,_ZN4vllm3moe10topkGatingILi8ELi256ELi4ELi16ELi64Ei6__halfLNS0_11ScoringFuncE1EEEvPKT5_PKbPfiPT4_PiiiibPKf,comdat
.Lfunc_end265:
	.size	_ZN4vllm3moe10topkGatingILi8ELi256ELi4ELi16ELi64Ei6__halfLNS0_11ScoringFuncE1EEEvPKT5_PKbPfiPT4_PiiiibPKf, .Lfunc_end265-_ZN4vllm3moe10topkGatingILi8ELi256ELi4ELi16ELi64Ei6__halfLNS0_11ScoringFuncE1EEEvPKT5_PKbPfiPT4_PiiiibPKf
                                        ; -- End function
	.section	.AMDGPU.csdata,"",@progbits
; Kernel info:
; codeLenInByte = 3176
; NumSgprs: 30
; NumVgprs: 37
; NumAgprs: 0
; TotalNumVgprs: 37
; ScratchSize: 0
; MemoryBound: 0
; FloatMode: 240
; IeeeMode: 1
; LDSByteSize: 0 bytes/workgroup (compile time only)
; SGPRBlocks: 3
; VGPRBlocks: 4
; NumSGPRsForWavesPerEU: 30
; NumVGPRsForWavesPerEU: 37
; AccumOffset: 40
; Occupancy: 8
; WaveLimiterHint : 0
; COMPUTE_PGM_RSRC2:SCRATCH_EN: 0
; COMPUTE_PGM_RSRC2:USER_SGPR: 6
; COMPUTE_PGM_RSRC2:TRAP_HANDLER: 0
; COMPUTE_PGM_RSRC2:TGID_X_EN: 1
; COMPUTE_PGM_RSRC2:TGID_Y_EN: 0
; COMPUTE_PGM_RSRC2:TGID_Z_EN: 0
; COMPUTE_PGM_RSRC2:TIDIG_COMP_CNT: 1
; COMPUTE_PGM_RSRC3_GFX90A:ACCUM_OFFSET: 9
; COMPUTE_PGM_RSRC3_GFX90A:TG_SPLIT: 0
	.section	.text._ZN4vllm3moe10topkGatingILi8ELi256ELi4ELi16ELi32Ei6__halfLNS0_11ScoringFuncE1EEEvPKT5_PKbPfiPT4_PiiiibPKf,"axG",@progbits,_ZN4vllm3moe10topkGatingILi8ELi256ELi4ELi16ELi32Ei6__halfLNS0_11ScoringFuncE1EEEvPKT5_PKbPfiPT4_PiiiibPKf,comdat
	.protected	_ZN4vllm3moe10topkGatingILi8ELi256ELi4ELi16ELi32Ei6__halfLNS0_11ScoringFuncE1EEEvPKT5_PKbPfiPT4_PiiiibPKf ; -- Begin function _ZN4vllm3moe10topkGatingILi8ELi256ELi4ELi16ELi32Ei6__halfLNS0_11ScoringFuncE1EEEvPKT5_PKbPfiPT4_PiiiibPKf
	.globl	_ZN4vllm3moe10topkGatingILi8ELi256ELi4ELi16ELi32Ei6__halfLNS0_11ScoringFuncE1EEEvPKT5_PKbPfiPT4_PiiiibPKf
	.p2align	8
	.type	_ZN4vllm3moe10topkGatingILi8ELi256ELi4ELi16ELi32Ei6__halfLNS0_11ScoringFuncE1EEEvPKT5_PKbPfiPT4_PiiiibPKf,@function
_ZN4vllm3moe10topkGatingILi8ELi256ELi4ELi16ELi32Ei6__halfLNS0_11ScoringFuncE1EEEvPKT5_PKbPfiPT4_PiiiibPKf: ; @_ZN4vllm3moe10topkGatingILi8ELi256ELi4ELi16ELi32Ei6__halfLNS0_11ScoringFuncE1EEEvPKT5_PKbPfiPT4_PiiiibPKf
; %bb.0:
	s_load_dword s24, s[4:5], 0x18
	v_and_b32_e32 v1, 0x3ff, v0
	s_lshl_b32 s0, s6, 2
	v_lshrrev_b32_e32 v2, 5, v1
	v_bfe_u32 v0, v0, 10, 10
	v_add3_u32 v17, s0, v0, v2
	s_waitcnt lgkmcnt(0)
	v_cmp_gt_i32_e32 vcc, s24, v17
	s_and_saveexec_b64 s[0:1], vcc
	s_cbranch_execz .LBB266_42
; %bb.1:
	s_load_dwordx4 s[0:3], s[4:5], 0x0
	s_load_dwordx2 s[16:17], s[4:5], 0x10
	s_mov_b64 s[8:9], -1
	s_mov_b64 s[18:19], -1
	s_waitcnt lgkmcnt(0)
	s_cmp_eq_u64 s[2:3], 0
	s_cbranch_scc1 .LBB266_3
; %bb.2:
	v_ashrrev_i32_e32 v0, 31, v17
	v_mov_b32_e32 v3, s3
	v_add_co_u32_e32 v2, vcc, s2, v17
	v_addc_co_u32_e32 v3, vcc, v3, v0, vcc
	global_load_ubyte v0, v[2:3], off
	s_waitcnt vmcnt(0)
	v_and_b32_e32 v0, 1, v0
	v_cmp_eq_u32_e32 vcc, 1, v0
	s_xor_b64 s[2:3], vcc, -1
	s_orn2_b64 s[18:19], s[2:3], exec
.LBB266_3:
	v_lshlrev_b32_e32 v2, 8, v17
	v_ashrrev_i32_e32 v3, 31, v2
	v_lshlrev_b64 v[2:3], 1, v[2:3]
	v_mov_b32_e32 v0, s1
	v_add_co_u32_e32 v2, vcc, s0, v2
	v_and_b32_e32 v21, 31, v1
	v_addc_co_u32_e32 v3, vcc, v0, v3, vcc
	v_lshlrev_b32_e32 v0, 4, v21
	v_add_co_u32_e32 v0, vcc, v2, v0
	v_addc_co_u32_e32 v1, vcc, 0, v3, vcc
	global_load_dwordx4 v[0:3], v[0:1], off
	v_mov_b32_e32 v8, 0x207
	s_load_dwordx2 s[10:11], s[4:5], 0x40
	v_lshlrev_b32_e32 v22, 3, v21
	s_waitcnt lgkmcnt(0)
	s_cmp_eq_u64 s[10:11], 0
	s_waitcnt vmcnt(0)
	v_cvt_f32_f16_e32 v4, v0
	v_cvt_f32_f16_sdwa v0, v0 dst_sel:DWORD dst_unused:UNUSED_PAD src0_sel:WORD_1
	v_cvt_f32_f16_e32 v5, v1
	v_cvt_f32_f16_sdwa v1, v1 dst_sel:DWORD dst_unused:UNUSED_PAD src0_sel:WORD_1
	v_mul_f32_e32 v4, 0xbfb8aa3b, v4
	v_mul_f32_e32 v9, 0xbfb8aa3b, v0
	v_cvt_f32_f16_e32 v6, v2
	v_cvt_f32_f16_sdwa v2, v2 dst_sel:DWORD dst_unused:UNUSED_PAD src0_sel:WORD_1
	v_cvt_f32_f16_e32 v7, v3
	v_cvt_f32_f16_sdwa v3, v3 dst_sel:DWORD dst_unused:UNUSED_PAD src0_sel:WORD_1
	v_mul_f32_e32 v10, 0xbfb8aa3b, v1
	v_exp_f32_e32 v0, v4
	v_exp_f32_e32 v1, v9
	v_mul_f32_e32 v5, 0xbfb8aa3b, v5
	v_mul_f32_e32 v11, 0xbfb8aa3b, v2
	;; [unrolled: 1-line block ×3, first 2 shown]
	v_exp_f32_e32 v2, v5
	v_exp_f32_e32 v3, v10
	v_pk_add_f32 v[0:1], v[0:1], 1.0 op_sel_hi:[1,0]
	v_div_scale_f32 v9, s[0:1], v1, v1, 1.0
	v_rcp_f32_e32 v19, v9
	v_exp_f32_e32 v5, v11
	v_div_scale_f32 v11, s[0:1], v0, v0, 1.0
	v_pk_add_f32 v[2:3], v[2:3], 1.0 op_sel_hi:[1,0]
	v_rcp_f32_e32 v20, v11
	v_div_scale_f32 v13, s[2:3], v3, v3, 1.0
	v_rcp_f32_e32 v23, v13
	v_fma_f32 v26, -v9, v19, 1.0
	v_div_scale_f32 v10, vcc, 1.0, v1, 1.0
	v_div_scale_f32 v15, s[6:7], v2, v2, 1.0
	v_fmac_f32_e32 v19, v26, v19
	v_mul_f32_e32 v6, 0xbfb8aa3b, v6
	v_mul_f32_e32 v7, 0xbfb8aa3b, v7
	v_rcp_f32_e32 v24, v15
	v_fma_f32 v27, -v11, v20, 1.0
	v_mul_f32_e32 v26, v10, v19
	v_exp_f32_e32 v4, v6
	v_exp_f32_e32 v6, v7
	;; [unrolled: 1-line block ×3, first 2 shown]
	v_div_scale_f32 v12, s[0:1], 1.0, v0, 1.0
	v_fmac_f32_e32 v20, v27, v20
	v_fma_f32 v30, -v9, v26, v10
	v_fma_f32 v28, -v13, v23, 1.0
	v_mul_f32_e32 v27, v12, v20
	v_fmac_f32_e32 v26, v30, v19
	v_div_scale_f32 v14, s[2:3], 1.0, v3, 1.0
	v_fmac_f32_e32 v23, v28, v23
	v_fma_f32 v31, -v11, v27, v12
	v_fma_f32 v9, -v9, v26, v10
	v_fma_f32 v29, -v15, v24, 1.0
	v_mul_f32_e32 v28, v14, v23
	v_fmac_f32_e32 v27, v31, v20
	v_div_fmas_f32 v9, v9, v19, v26
	v_div_scale_f32 v16, s[6:7], 1.0, v2, 1.0
	v_fmac_f32_e32 v24, v29, v24
	v_fma_f32 v32, -v13, v28, v14
	v_fma_f32 v10, -v11, v27, v12
	v_div_fixup_f32 v1, v9, v1, 1.0
	s_mov_b64 vcc, s[0:1]
	v_pk_add_f32 v[4:5], v[4:5], 1.0 op_sel_hi:[1,0]
	v_mul_f32_e32 v29, v16, v24
	v_fmac_f32_e32 v28, v32, v23
	v_div_fmas_f32 v9, v10, v20, v27
	v_cmp_class_f32_e32 vcc, v1, v8
	v_div_scale_f32 v18, s[12:13], v5, v5, 1.0
	v_fma_f32 v33, -v15, v29, v16
	v_fma_f32 v11, -v13, v28, v14
	v_div_fixup_f32 v0, v9, v0, 1.0
	v_cndmask_b32_e64 v1, v1, 0, vcc
	s_mov_b64 vcc, s[2:3]
	v_rcp_f32_e32 v25, v18
	v_fmac_f32_e32 v29, v33, v24
	v_div_fmas_f32 v9, v11, v23, v28
	v_cmp_class_f32_e32 vcc, v0, v8
	v_fma_f32 v12, -v15, v29, v16
	v_cndmask_b32_e64 v0, v0, 0, vcc
	s_mov_b64 vcc, s[6:7]
	v_div_fixup_f32 v3, v9, v3, 1.0
	v_div_fmas_f32 v9, v12, v24, v29
	v_div_fixup_f32 v2, v9, v2, 1.0
	v_cmp_class_f32_e32 vcc, v3, v8
	v_cndmask_b32_e64 v3, v3, 0, vcc
	v_cmp_class_f32_e32 vcc, v2, v8
	v_fma_f32 v9, -v18, v25, 1.0
	v_cndmask_b32_e64 v2, v2, 0, vcc
	v_fmac_f32_e32 v25, v9, v25
	v_div_scale_f32 v9, vcc, 1.0, v5, 1.0
	v_mul_f32_e32 v10, v9, v25
	v_fma_f32 v11, -v18, v10, v9
	v_fmac_f32_e32 v10, v11, v25
	v_div_scale_f32 v11, s[0:1], v4, v4, 1.0
	v_rcp_f32_e32 v12, v11
	v_fma_f32 v9, -v18, v10, v9
	v_div_fmas_f32 v9, v9, v25, v10
	v_div_fixup_f32 v5, v9, v5, 1.0
	v_fma_f32 v9, -v11, v12, 1.0
	v_fmac_f32_e32 v12, v9, v12
	v_div_scale_f32 v9, vcc, 1.0, v4, 1.0
	v_mul_f32_e32 v10, v9, v12
	v_fma_f32 v13, -v11, v10, v9
	v_fmac_f32_e32 v10, v13, v12
	v_fma_f32 v9, -v11, v10, v9
	v_div_fmas_f32 v9, v9, v12, v10
	v_pk_add_f32 v[6:7], v[6:7], 1.0 op_sel_hi:[1,0]
	v_div_fixup_f32 v4, v9, v4, 1.0
	v_div_scale_f32 v9, s[0:1], v7, v7, 1.0
	v_rcp_f32_e32 v10, v9
	v_cmp_class_f32_e32 vcc, v5, v8
	v_cndmask_b32_e64 v5, v5, 0, vcc
	v_cmp_class_f32_e32 vcc, v4, v8
	v_fma_f32 v11, -v9, v10, 1.0
	v_cndmask_b32_e64 v4, v4, 0, vcc
	v_fmac_f32_e32 v10, v11, v10
	v_div_scale_f32 v11, vcc, 1.0, v7, 1.0
	v_mul_f32_e32 v12, v11, v10
	v_fma_f32 v13, -v9, v12, v11
	v_fmac_f32_e32 v12, v13, v10
	v_fma_f32 v9, -v9, v12, v11
	v_div_scale_f32 v11, s[0:1], v6, v6, 1.0
	v_rcp_f32_e32 v13, v11
	v_div_fmas_f32 v9, v9, v10, v12
	v_div_fixup_f32 v7, v9, v7, 1.0
	v_fma_f32 v9, -v11, v13, 1.0
	v_fmac_f32_e32 v13, v9, v13
	v_div_scale_f32 v9, vcc, 1.0, v6, 1.0
	v_mul_f32_e32 v10, v9, v13
	v_fma_f32 v12, -v11, v10, v9
	v_fmac_f32_e32 v10, v12, v13
	v_fma_f32 v9, -v11, v10, v9
	v_div_fmas_f32 v9, v9, v13, v10
	v_div_fixup_f32 v6, v9, v6, 1.0
	v_cmp_class_f32_e32 vcc, v7, v8
	v_cndmask_b32_e64 v7, v7, 0, vcc
	v_cmp_class_f32_e32 vcc, v6, v8
	v_cndmask_b32_e64 v6, v6, 0, vcc
	s_cbranch_scc1 .LBB266_31
; %bb.4:
	v_lshlrev_b32_e32 v16, 2, v22
	global_load_dwordx4 v[8:11], v16, s[10:11]
	global_load_dwordx4 v[12:15], v16, s[10:11] offset:16
	s_waitcnt vmcnt(1)
	v_pk_add_f32 v[8:9], v[8:9], v[0:1]
	v_pk_add_f32 v[10:11], v[10:11], v[2:3]
	s_waitcnt vmcnt(0)
	v_pk_add_f32 v[12:13], v[12:13], v[4:5]
	v_pk_add_f32 v[14:15], v[14:15], v[6:7]
	s_cbranch_execnz .LBB266_6
.LBB266_5:
	v_pk_mov_b32 v[14:15], v[6:7], v[6:7] op_sel:[0,1]
	v_pk_mov_b32 v[12:13], v[4:5], v[4:5] op_sel:[0,1]
	;; [unrolled: 1-line block ×4, first 2 shown]
.LBB266_6:
	s_load_dwordx4 s[8:11], s[4:5], 0x30
	s_mov_b32 s25, 0
	v_cmp_eq_u32_e64 s[0:1], 0, v21
	s_waitcnt lgkmcnt(0)
	s_bitcmp1_b32 s11, 0
	s_cselect_b64 vcc, -1, 0
	s_cmp_gt_i32 s8, 0
	s_cselect_b64 s[20:21], -1, 0
	s_cmp_lt_i32 s8, 1
	s_cbranch_scc1 .LBB266_32
; %bb.7:
	v_mbcnt_lo_u32_b32 v16, -1, 0
	v_mbcnt_hi_u32_b32 v16, -1, v16
	v_and_b32_e32 v18, 0x60, v16
	v_add_u32_e32 v18, 32, v18
	v_xor_b32_e32 v19, 16, v16
	v_cmp_lt_i32_e64 s[2:3], v19, v18
	v_cndmask_b32_e64 v19, v16, v19, s[2:3]
	v_lshlrev_b32_e32 v25, 2, v19
	v_xor_b32_e32 v19, 8, v16
	v_cmp_lt_i32_e64 s[2:3], v19, v18
	v_cndmask_b32_e64 v19, v16, v19, s[2:3]
	v_lshlrev_b32_e32 v26, 2, v19
	;; [unrolled: 4-line block ×3, first 2 shown]
	v_xor_b32_e32 v19, 2, v16
	v_cmp_lt_i32_e64 s[2:3], v19, v18
	s_load_dwordx4 s[12:15], s[4:5], 0x20
	v_cndmask_b32_e64 v19, v16, v19, s[2:3]
	v_lshlrev_b32_e32 v28, 2, v19
	v_xor_b32_e32 v19, 1, v16
	v_cmp_lt_i32_e64 s[2:3], v19, v18
	v_cndmask_b32_e64 v16, v16, v19, s[2:3]
	v_mul_lo_u32 v24, v17, s8
	v_lshlrev_b32_e32 v29, 2, v16
	v_mov_b32_e32 v23, 0
	v_mov_b32_e32 v30, 0x100
	;; [unrolled: 1-line block ×4, first 2 shown]
	s_branch .LBB266_10
.LBB266_8:                              ;   in Loop: Header=BB266_10 Depth=1
	s_or_b64 exec, exec, s[4:5]
.LBB266_9:                              ;   in Loop: Header=BB266_10 Depth=1
	s_cmp_eq_u32 s8, s25
	v_add_u32_e32 v32, s24, v32
	s_cbranch_scc1 .LBB266_33
.LBB266_10:                             ; =>This Inner Loop Header: Depth=1
	v_cmp_gt_f32_e64 s[2:3], v9, v8
	s_waitcnt lgkmcnt(0)
	v_cndmask_b32_e64 v19, v8, v9, s[2:3]
	v_cndmask_b32_e64 v16, 0, 1, s[2:3]
	v_cndmask_b32_e64 v18, v0, v1, s[2:3]
	v_cmp_gt_f32_e64 s[2:3], v10, v19
	v_cndmask_b32_e64 v19, v19, v10, s[2:3]
	v_cndmask_b32_e64 v16, v16, 2, s[2:3]
	v_cndmask_b32_e64 v18, v18, v2, s[2:3]
	v_cmp_gt_f32_e64 s[2:3], v11, v19
	;; [unrolled: 4-line block ×6, first 2 shown]
	v_cndmask_b32_e64 v16, v16, 7, s[2:3]
	v_cndmask_b32_e64 v33, v19, v15, s[2:3]
	v_or_b32_e32 v34, v22, v16
	v_cndmask_b32_e64 v16, v18, v7, s[2:3]
	ds_bpermute_b32 v36, v25, v33
	ds_bpermute_b32 v20, v25, v16
	;; [unrolled: 1-line block ×3, first 2 shown]
                                        ; implicit-def: $vgpr18_vgpr19
	s_waitcnt lgkmcnt(0)
	v_cmp_lt_f32_e64 s[6:7], v33, v36
	v_cmp_nlt_f32_e64 s[2:3], v33, v36
	s_and_saveexec_b64 s[22:23], s[2:3]
; %bb.11:                               ;   in Loop: Header=BB266_10 Depth=1
	v_cmp_eq_f32_e64 s[2:3], v33, v36
	v_cmp_lt_i32_e64 s[4:5], v35, v34
	s_and_b64 s[2:3], s[2:3], s[4:5]
	s_andn2_b64 s[4:5], s[6:7], exec
	s_and_b64 s[2:3], s[2:3], exec
	s_or_b64 s[6:7], s[4:5], s[2:3]
	v_pk_mov_b32 v[18:19], v[16:17], v[16:17] op_sel:[0,1]
; %bb.12:                               ;   in Loop: Header=BB266_10 Depth=1
	s_or_b64 exec, exec, s[22:23]
	s_and_saveexec_b64 s[2:3], s[6:7]
; %bb.13:                               ;   in Loop: Header=BB266_10 Depth=1
	v_mov_b32_e32 v33, v36
	v_mov_b32_e32 v16, v20
	;; [unrolled: 1-line block ×3, first 2 shown]
	v_pk_mov_b32 v[18:19], v[20:21], v[20:21] op_sel:[0,1]
; %bb.14:                               ;   in Loop: Header=BB266_10 Depth=1
	s_or_b64 exec, exec, s[2:3]
	ds_bpermute_b32 v35, v26, v33
	ds_bpermute_b32 v20, v26, v16
	;; [unrolled: 1-line block ×3, first 2 shown]
	s_waitcnt lgkmcnt(2)
	v_cmp_lt_f32_e64 s[6:7], v33, v35
	v_cmp_nlt_f32_e64 s[2:3], v33, v35
	s_and_saveexec_b64 s[22:23], s[2:3]
	s_cbranch_execz .LBB266_16
; %bb.15:                               ;   in Loop: Header=BB266_10 Depth=1
	v_cmp_eq_f32_e64 s[2:3], v33, v35
	s_waitcnt lgkmcnt(0)
	v_cmp_lt_i32_e64 s[4:5], v19, v34
	s_and_b64 s[2:3], s[2:3], s[4:5]
	s_andn2_b64 s[4:5], s[6:7], exec
	s_and_b64 s[2:3], s[2:3], exec
	s_or_b64 s[6:7], s[4:5], s[2:3]
.LBB266_16:                             ;   in Loop: Header=BB266_10 Depth=1
	s_or_b64 exec, exec, s[22:23]
	s_and_saveexec_b64 s[2:3], s[6:7]
	s_cbranch_execz .LBB266_18
; %bb.17:                               ;   in Loop: Header=BB266_10 Depth=1
	v_mov_b32_e32 v33, v35
	s_waitcnt lgkmcnt(1)
	v_mov_b32_e32 v16, v20
	s_waitcnt lgkmcnt(0)
	v_mov_b32_e32 v34, v19
	v_pk_mov_b32 v[18:19], v[20:21], v[20:21] op_sel:[0,1]
.LBB266_18:                             ;   in Loop: Header=BB266_10 Depth=1
	s_or_b64 exec, exec, s[2:3]
	ds_bpermute_b32 v35, v27, v33
	s_waitcnt lgkmcnt(2)
	ds_bpermute_b32 v20, v27, v16
	s_waitcnt lgkmcnt(2)
	;; [unrolled: 2-line block ×3, first 2 shown]
	v_cmp_lt_f32_e64 s[6:7], v33, v35
	v_cmp_nlt_f32_e64 s[2:3], v33, v35
	s_and_saveexec_b64 s[22:23], s[2:3]
	s_cbranch_execz .LBB266_20
; %bb.19:                               ;   in Loop: Header=BB266_10 Depth=1
	v_cmp_eq_f32_e64 s[2:3], v33, v35
	s_waitcnt lgkmcnt(0)
	v_cmp_lt_i32_e64 s[4:5], v19, v34
	s_and_b64 s[2:3], s[2:3], s[4:5]
	s_andn2_b64 s[4:5], s[6:7], exec
	s_and_b64 s[2:3], s[2:3], exec
	s_or_b64 s[6:7], s[4:5], s[2:3]
.LBB266_20:                             ;   in Loop: Header=BB266_10 Depth=1
	s_or_b64 exec, exec, s[22:23]
	s_and_saveexec_b64 s[2:3], s[6:7]
	s_cbranch_execz .LBB266_22
; %bb.21:                               ;   in Loop: Header=BB266_10 Depth=1
	v_mov_b32_e32 v33, v35
	s_waitcnt lgkmcnt(1)
	v_mov_b32_e32 v16, v20
	s_waitcnt lgkmcnt(0)
	v_mov_b32_e32 v34, v19
	v_pk_mov_b32 v[18:19], v[20:21], v[20:21] op_sel:[0,1]
.LBB266_22:                             ;   in Loop: Header=BB266_10 Depth=1
	s_or_b64 exec, exec, s[2:3]
	ds_bpermute_b32 v35, v28, v33
	s_waitcnt lgkmcnt(2)
	ds_bpermute_b32 v20, v28, v16
	s_waitcnt lgkmcnt(2)
	;; [unrolled: 2-line block ×3, first 2 shown]
	v_cmp_lt_f32_e64 s[6:7], v33, v35
	v_cmp_nlt_f32_e64 s[2:3], v33, v35
	s_and_saveexec_b64 s[22:23], s[2:3]
	s_cbranch_execz .LBB266_24
; %bb.23:                               ;   in Loop: Header=BB266_10 Depth=1
	v_cmp_eq_f32_e64 s[2:3], v33, v35
	s_waitcnt lgkmcnt(0)
	v_cmp_lt_i32_e64 s[4:5], v19, v34
	s_and_b64 s[2:3], s[2:3], s[4:5]
	s_andn2_b64 s[4:5], s[6:7], exec
	s_and_b64 s[2:3], s[2:3], exec
	s_or_b64 s[6:7], s[4:5], s[2:3]
.LBB266_24:                             ;   in Loop: Header=BB266_10 Depth=1
	s_or_b64 exec, exec, s[22:23]
	s_and_saveexec_b64 s[2:3], s[6:7]
	s_cbranch_execz .LBB266_26
; %bb.25:                               ;   in Loop: Header=BB266_10 Depth=1
	v_mov_b32_e32 v33, v35
	s_waitcnt lgkmcnt(1)
	v_mov_b32_e32 v16, v20
	s_waitcnt lgkmcnt(0)
	v_mov_b32_e32 v34, v19
	v_pk_mov_b32 v[18:19], v[20:21], v[20:21] op_sel:[0,1]
.LBB266_26:                             ;   in Loop: Header=BB266_10 Depth=1
	s_or_b64 exec, exec, s[2:3]
	s_waitcnt lgkmcnt(1)
	ds_bpermute_b32 v20, v29, v33
	ds_bpermute_b32 v35, v29, v34
	s_waitcnt lgkmcnt(2)
	ds_bpermute_b32 v19, v29, v16
	s_waitcnt lgkmcnt(2)
	v_cmp_eq_f32_e64 s[4:5], v33, v20
	s_waitcnt lgkmcnt(1)
	v_cmp_lt_i32_e64 s[6:7], v35, v34
	v_cmp_lt_f32_e64 s[2:3], v33, v20
	s_and_b64 s[4:5], s[4:5], s[6:7]
	s_or_b64 s[2:3], s[2:3], s[4:5]
	v_cndmask_b32_e64 v16, v34, v35, s[2:3]
	s_and_saveexec_b64 s[6:7], s[0:1]
	s_cbranch_execnz .LBB266_28
; %bb.27:                               ;   in Loop: Header=BB266_10 Depth=1
	s_or_b64 exec, exec, s[6:7]
	s_add_i32 s25, s25, 1
	s_cmp_ge_i32 s25, s8
	s_cbranch_scc1 .LBB266_9
	s_branch .LBB266_29
.LBB266_28:                             ;   in Loop: Header=BB266_10 Depth=1
	s_waitcnt lgkmcnt(0)
	v_cndmask_b32_e64 v20, v18, v19, s[2:3]
	v_add_u32_e32 v18, s25, v24
	v_ashrrev_i32_e32 v19, 31, v18
	v_cmp_le_i32_e64 s[2:3], s9, v16
	v_cmp_gt_i32_e64 s[4:5], s10, v16
	v_lshlrev_b64 v[18:19], 2, v[18:19]
	s_and_b64 s[4:5], s[2:3], s[4:5]
	v_mov_b32_e32 v33, s17
	v_add_co_u32_e64 v34, s[2:3], s16, v18
	v_addc_co_u32_e64 v35, s[2:3], v33, v19, s[2:3]
	v_subrev_u32_e32 v33, s9, v16
	s_and_b64 s[2:3], s[18:19], s[4:5]
	global_store_dword v[34:35], v20, off
	v_cndmask_b32_e64 v33, v30, v33, s[2:3]
	v_mov_b32_e32 v35, s13
	v_add_co_u32_e64 v34, s[2:3], s12, v18
	v_addc_co_u32_e64 v35, s[2:3], v35, v19, s[2:3]
	global_store_dword v[34:35], v33, off
	v_mov_b32_e32 v33, s15
	v_add_co_u32_e64 v18, s[2:3], s14, v18
	v_addc_co_u32_e64 v19, s[2:3], v33, v19, s[2:3]
	global_store_dword v[18:19], v32, off
	v_add_f32_e32 v18, v23, v20
	v_cndmask_b32_e32 v23, v23, v18, vcc
	s_or_b64 exec, exec, s[6:7]
	s_add_i32 s25, s25, 1
	s_cmp_ge_i32 s25, s8
	s_cbranch_scc1 .LBB266_9
.LBB266_29:                             ;   in Loop: Header=BB266_10 Depth=1
	v_ashrrev_i32_e32 v18, 31, v16
	s_waitcnt lgkmcnt(0)
	v_lshrrev_b32_e32 v19, 29, v18
	v_add_u32_e32 v20, v16, v19
	v_ashrrev_i32_e32 v19, 3, v20
	v_ashrrev_i32_e32 v20, 31, v20
	v_lshrrev_b32_e32 v20, 27, v20
	v_add_u32_e32 v20, v19, v20
	v_and_b32_e32 v20, 0xffffffe0, v20
	v_sub_u32_e32 v20, v19, v20
	v_cmp_eq_u32_e64 s[2:3], v21, v20
	s_and_saveexec_b64 s[4:5], s[2:3]
	s_cbranch_execz .LBB266_8
; %bb.30:                               ;   in Loop: Header=BB266_10 Depth=1
	v_add_u32_sdwa v18, v16, v18 dst_sel:DWORD dst_unused:UNUSED_PAD src0_sel:DWORD src1_sel:BYTE_3
	v_lshlrev_b32_e32 v19, 3, v19
	v_ashrrev_i32_e32 v18, 8, v18
	v_sub_u32_e32 v16, v16, v19
	v_lshl_add_u32 v16, v18, 3, v16
	v_cmp_ne_u32_e64 s[2:3], 7, v16
	v_cndmask_b32_e64 v15, v31, v15, s[2:3]
	v_cmp_ne_u32_e64 s[2:3], 6, v16
	v_cndmask_b32_e64 v14, v31, v14, s[2:3]
	;; [unrolled: 2-line block ×8, first 2 shown]
	s_branch .LBB266_8
.LBB266_31:
                                        ; implicit-def: $vgpr8_vgpr9_vgpr10_vgpr11_vgpr12_vgpr13_vgpr14_vgpr15
	s_andn2_b64 vcc, exec, s[8:9]
	s_cbranch_vccz .LBB266_5
	s_branch .LBB266_6
.LBB266_32:
	v_mov_b32_e32 v23, 0
.LBB266_33:
	v_cmp_eq_u32_e64 s[0:1], 0, v21
	s_and_b64 s[0:1], s[0:1], vcc
	s_and_b64 exec, exec, s[0:1]
	s_cbranch_execz .LBB266_42
; %bb.34:
	s_andn2_b64 vcc, exec, s[20:21]
	s_cbranch_vccnz .LBB266_42
; %bb.35:
	v_cmp_lt_f32_e32 vcc, 0, v23
	s_mov_b32 s2, 0
	v_cndmask_b32_e32 v0, 1.0, v23, vcc
	v_mul_lo_u32 v4, v17, s8
	s_cmp_eq_u32 s8, 1
	s_mov_b64 s[0:1], -1
	s_cbranch_scc1 .LBB266_39
; %bb.36:
	s_and_b32 s2, s8, 0x7ffffffe
	v_mov_b32_e32 v1, v0
	v_mov_b32_e32 v5, s17
	s_mov_b32 s3, s2
	v_mov_b32_e32 v2, v4
.LBB266_37:                             ; =>This Inner Loop Header: Depth=1
	v_ashrrev_i32_e32 v3, 31, v2
	v_lshlrev_b64 v[6:7], 2, v[2:3]
	v_add_co_u32_e32 v6, vcc, s16, v6
	v_addc_co_u32_e32 v7, vcc, v5, v7, vcc
	global_load_dwordx2 v[8:9], v[6:7], off
	s_add_i32 s3, s3, -2
	s_cmp_lg_u32 s3, 0
	v_add_u32_e32 v2, 2, v2
	s_waitcnt vmcnt(0)
	v_div_scale_f32 v3, s[0:1], v1, v1, v9
	v_div_scale_f32 v11, s[0:1], v0, v0, v8
	v_rcp_f32_e32 v12, v3
	v_rcp_f32_e32 v13, v11
	v_div_scale_f32 v10, vcc, v9, v1, v9
	v_fma_f32 v15, -v3, v12, 1.0
	v_fma_f32 v16, -v11, v13, 1.0
	v_fmac_f32_e32 v12, v15, v12
	v_div_scale_f32 v14, s[0:1], v8, v0, v8
	v_fmac_f32_e32 v13, v16, v13
	v_mul_f32_e32 v15, v10, v12
	v_mul_f32_e32 v16, v14, v13
	v_fma_f32 v17, -v3, v15, v10
	v_fma_f32 v18, -v11, v16, v14
	v_fmac_f32_e32 v15, v17, v12
	v_fmac_f32_e32 v16, v18, v13
	v_fma_f32 v3, -v3, v15, v10
	v_fma_f32 v10, -v11, v16, v14
	v_div_fmas_f32 v3, v3, v12, v15
	s_mov_b64 vcc, s[0:1]
	v_div_fixup_f32 v9, v3, v1, v9
	v_div_fmas_f32 v3, v10, v13, v16
	v_div_fixup_f32 v8, v3, v0, v8
	global_store_dwordx2 v[6:7], v[8:9], off
	s_cbranch_scc1 .LBB266_37
; %bb.38:
	s_cmp_lg_u32 s2, s8
	s_cselect_b64 s[0:1], -1, 0
.LBB266_39:
	s_and_b64 vcc, exec, s[0:1]
	s_cbranch_vccz .LBB266_42
; %bb.40:
	v_ashrrev_i32_e32 v1, 31, v4
	v_add_co_u32_e32 v2, vcc, s2, v4
	v_addc_co_u32_e32 v3, vcc, 0, v1, vcc
	v_lshlrev_b64 v[2:3], 2, v[2:3]
	v_mov_b32_e32 v1, s17
	v_add_co_u32_e32 v2, vcc, s16, v2
	s_sub_i32 s0, s8, s2
	v_addc_co_u32_e32 v3, vcc, v1, v3, vcc
.LBB266_41:                             ; =>This Inner Loop Header: Depth=1
	global_load_dword v1, v[2:3], off
	s_add_i32 s0, s0, -1
	s_cmp_lg_u32 s0, 0
	s_waitcnt vmcnt(0)
	v_div_scale_f32 v4, s[2:3], v0, v0, v1
	v_rcp_f32_e32 v5, v4
	v_div_scale_f32 v6, vcc, v1, v0, v1
	v_fma_f32 v7, -v4, v5, 1.0
	v_fmac_f32_e32 v5, v7, v5
	v_mul_f32_e32 v7, v6, v5
	v_fma_f32 v8, -v4, v7, v6
	v_fmac_f32_e32 v7, v8, v5
	v_fma_f32 v4, -v4, v7, v6
	v_div_fmas_f32 v4, v4, v5, v7
	v_div_fixup_f32 v1, v4, v0, v1
	global_store_dword v[2:3], v1, off
	v_add_co_u32_e32 v2, vcc, 4, v2
	v_addc_co_u32_e32 v3, vcc, 0, v3, vcc
	s_cbranch_scc1 .LBB266_41
.LBB266_42:
	s_endpgm
	.section	.rodata,"a",@progbits
	.p2align	6, 0x0
	.amdhsa_kernel _ZN4vllm3moe10topkGatingILi8ELi256ELi4ELi16ELi32Ei6__halfLNS0_11ScoringFuncE1EEEvPKT5_PKbPfiPT4_PiiiibPKf
		.amdhsa_group_segment_fixed_size 0
		.amdhsa_private_segment_fixed_size 0
		.amdhsa_kernarg_size 72
		.amdhsa_user_sgpr_count 6
		.amdhsa_user_sgpr_private_segment_buffer 1
		.amdhsa_user_sgpr_dispatch_ptr 0
		.amdhsa_user_sgpr_queue_ptr 0
		.amdhsa_user_sgpr_kernarg_segment_ptr 1
		.amdhsa_user_sgpr_dispatch_id 0
		.amdhsa_user_sgpr_flat_scratch_init 0
		.amdhsa_user_sgpr_kernarg_preload_length 0
		.amdhsa_user_sgpr_kernarg_preload_offset 0
		.amdhsa_user_sgpr_private_segment_size 0
		.amdhsa_uses_dynamic_stack 0
		.amdhsa_system_sgpr_private_segment_wavefront_offset 0
		.amdhsa_system_sgpr_workgroup_id_x 1
		.amdhsa_system_sgpr_workgroup_id_y 0
		.amdhsa_system_sgpr_workgroup_id_z 0
		.amdhsa_system_sgpr_workgroup_info 0
		.amdhsa_system_vgpr_workitem_id 1
		.amdhsa_next_free_vgpr 37
		.amdhsa_next_free_sgpr 26
		.amdhsa_accum_offset 40
		.amdhsa_reserve_vcc 1
		.amdhsa_reserve_flat_scratch 0
		.amdhsa_float_round_mode_32 0
		.amdhsa_float_round_mode_16_64 0
		.amdhsa_float_denorm_mode_32 3
		.amdhsa_float_denorm_mode_16_64 3
		.amdhsa_dx10_clamp 1
		.amdhsa_ieee_mode 1
		.amdhsa_fp16_overflow 0
		.amdhsa_tg_split 0
		.amdhsa_exception_fp_ieee_invalid_op 0
		.amdhsa_exception_fp_denorm_src 0
		.amdhsa_exception_fp_ieee_div_zero 0
		.amdhsa_exception_fp_ieee_overflow 0
		.amdhsa_exception_fp_ieee_underflow 0
		.amdhsa_exception_fp_ieee_inexact 0
		.amdhsa_exception_int_div_zero 0
	.end_amdhsa_kernel
	.section	.text._ZN4vllm3moe10topkGatingILi8ELi256ELi4ELi16ELi32Ei6__halfLNS0_11ScoringFuncE1EEEvPKT5_PKbPfiPT4_PiiiibPKf,"axG",@progbits,_ZN4vllm3moe10topkGatingILi8ELi256ELi4ELi16ELi32Ei6__halfLNS0_11ScoringFuncE1EEEvPKT5_PKbPfiPT4_PiiiibPKf,comdat
.Lfunc_end266:
	.size	_ZN4vllm3moe10topkGatingILi8ELi256ELi4ELi16ELi32Ei6__halfLNS0_11ScoringFuncE1EEEvPKT5_PKbPfiPT4_PiiiibPKf, .Lfunc_end266-_ZN4vllm3moe10topkGatingILi8ELi256ELi4ELi16ELi32Ei6__halfLNS0_11ScoringFuncE1EEEvPKT5_PKbPfiPT4_PiiiibPKf
                                        ; -- End function
	.section	.AMDGPU.csdata,"",@progbits
; Kernel info:
; codeLenInByte = 3172
; NumSgprs: 30
; NumVgprs: 37
; NumAgprs: 0
; TotalNumVgprs: 37
; ScratchSize: 0
; MemoryBound: 0
; FloatMode: 240
; IeeeMode: 1
; LDSByteSize: 0 bytes/workgroup (compile time only)
; SGPRBlocks: 3
; VGPRBlocks: 4
; NumSGPRsForWavesPerEU: 30
; NumVGPRsForWavesPerEU: 37
; AccumOffset: 40
; Occupancy: 8
; WaveLimiterHint : 0
; COMPUTE_PGM_RSRC2:SCRATCH_EN: 0
; COMPUTE_PGM_RSRC2:USER_SGPR: 6
; COMPUTE_PGM_RSRC2:TRAP_HANDLER: 0
; COMPUTE_PGM_RSRC2:TGID_X_EN: 1
; COMPUTE_PGM_RSRC2:TGID_Y_EN: 0
; COMPUTE_PGM_RSRC2:TGID_Z_EN: 0
; COMPUTE_PGM_RSRC2:TIDIG_COMP_CNT: 1
; COMPUTE_PGM_RSRC3_GFX90A:ACCUM_OFFSET: 9
; COMPUTE_PGM_RSRC3_GFX90A:TG_SPLIT: 0
	.section	.text._ZN4vllm3moe10topkGatingILi8ELi512ELi4ELi16ELi64Ei6__halfLNS0_11ScoringFuncE1EEEvPKT5_PKbPfiPT4_PiiiibPKf,"axG",@progbits,_ZN4vllm3moe10topkGatingILi8ELi512ELi4ELi16ELi64Ei6__halfLNS0_11ScoringFuncE1EEEvPKT5_PKbPfiPT4_PiiiibPKf,comdat
	.protected	_ZN4vllm3moe10topkGatingILi8ELi512ELi4ELi16ELi64Ei6__halfLNS0_11ScoringFuncE1EEEvPKT5_PKbPfiPT4_PiiiibPKf ; -- Begin function _ZN4vllm3moe10topkGatingILi8ELi512ELi4ELi16ELi64Ei6__halfLNS0_11ScoringFuncE1EEEvPKT5_PKbPfiPT4_PiiiibPKf
	.globl	_ZN4vllm3moe10topkGatingILi8ELi512ELi4ELi16ELi64Ei6__halfLNS0_11ScoringFuncE1EEEvPKT5_PKbPfiPT4_PiiiibPKf
	.p2align	8
	.type	_ZN4vllm3moe10topkGatingILi8ELi512ELi4ELi16ELi64Ei6__halfLNS0_11ScoringFuncE1EEEvPKT5_PKbPfiPT4_PiiiibPKf,@function
_ZN4vllm3moe10topkGatingILi8ELi512ELi4ELi16ELi64Ei6__halfLNS0_11ScoringFuncE1EEEvPKT5_PKbPfiPT4_PiiiibPKf: ; @_ZN4vllm3moe10topkGatingILi8ELi512ELi4ELi16ELi64Ei6__halfLNS0_11ScoringFuncE1EEEvPKT5_PKbPfiPT4_PiiiibPKf
; %bb.0:
	s_load_dword s24, s[4:5], 0x18
	v_and_b32_e32 v1, 0x3ff, v0
	s_lshl_b32 s0, s6, 2
	v_lshrrev_b32_e32 v2, 6, v1
	v_bfe_u32 v0, v0, 10, 10
	v_add3_u32 v17, s0, v0, v2
	s_waitcnt lgkmcnt(0)
	v_cmp_gt_i32_e32 vcc, s24, v17
	s_and_saveexec_b64 s[0:1], vcc
	s_cbranch_execz .LBB267_46
; %bb.1:
	s_load_dwordx4 s[0:3], s[4:5], 0x0
	s_load_dwordx2 s[16:17], s[4:5], 0x10
	s_mov_b64 s[8:9], -1
	s_mov_b64 s[18:19], -1
	s_waitcnt lgkmcnt(0)
	s_cmp_eq_u64 s[2:3], 0
	s_cbranch_scc1 .LBB267_3
; %bb.2:
	v_ashrrev_i32_e32 v0, 31, v17
	v_mov_b32_e32 v3, s3
	v_add_co_u32_e32 v2, vcc, s2, v17
	v_addc_co_u32_e32 v3, vcc, v3, v0, vcc
	global_load_ubyte v0, v[2:3], off
	s_waitcnt vmcnt(0)
	v_and_b32_e32 v0, 1, v0
	v_cmp_eq_u32_e32 vcc, 1, v0
	s_xor_b64 s[2:3], vcc, -1
	s_orn2_b64 s[18:19], s[2:3], exec
.LBB267_3:
	v_lshlrev_b32_e32 v2, 9, v17
	v_ashrrev_i32_e32 v3, 31, v2
	v_lshlrev_b64 v[2:3], 1, v[2:3]
	v_mov_b32_e32 v0, s1
	v_add_co_u32_e32 v2, vcc, s0, v2
	v_and_b32_e32 v21, 63, v1
	v_addc_co_u32_e32 v3, vcc, v0, v3, vcc
	v_lshlrev_b32_e32 v0, 4, v21
	v_add_co_u32_e32 v0, vcc, v2, v0
	v_addc_co_u32_e32 v1, vcc, 0, v3, vcc
	global_load_dwordx4 v[0:3], v[0:1], off
	v_mov_b32_e32 v8, 0x207
	s_load_dwordx2 s[10:11], s[4:5], 0x40
	v_lshlrev_b32_e32 v22, 3, v21
	s_waitcnt lgkmcnt(0)
	s_cmp_eq_u64 s[10:11], 0
	s_waitcnt vmcnt(0)
	v_cvt_f32_f16_e32 v4, v0
	v_cvt_f32_f16_sdwa v0, v0 dst_sel:DWORD dst_unused:UNUSED_PAD src0_sel:WORD_1
	v_cvt_f32_f16_e32 v5, v1
	v_cvt_f32_f16_sdwa v1, v1 dst_sel:DWORD dst_unused:UNUSED_PAD src0_sel:WORD_1
	v_mul_f32_e32 v4, 0xbfb8aa3b, v4
	v_mul_f32_e32 v9, 0xbfb8aa3b, v0
	v_cvt_f32_f16_e32 v6, v2
	v_cvt_f32_f16_sdwa v2, v2 dst_sel:DWORD dst_unused:UNUSED_PAD src0_sel:WORD_1
	v_cvt_f32_f16_e32 v7, v3
	v_cvt_f32_f16_sdwa v3, v3 dst_sel:DWORD dst_unused:UNUSED_PAD src0_sel:WORD_1
	v_mul_f32_e32 v10, 0xbfb8aa3b, v1
	v_exp_f32_e32 v0, v4
	v_exp_f32_e32 v1, v9
	v_mul_f32_e32 v5, 0xbfb8aa3b, v5
	v_mul_f32_e32 v11, 0xbfb8aa3b, v2
	;; [unrolled: 1-line block ×3, first 2 shown]
	v_exp_f32_e32 v2, v5
	v_exp_f32_e32 v3, v10
	v_pk_add_f32 v[0:1], v[0:1], 1.0 op_sel_hi:[1,0]
	v_div_scale_f32 v9, s[0:1], v1, v1, 1.0
	v_rcp_f32_e32 v19, v9
	v_exp_f32_e32 v5, v11
	v_div_scale_f32 v11, s[0:1], v0, v0, 1.0
	v_pk_add_f32 v[2:3], v[2:3], 1.0 op_sel_hi:[1,0]
	v_rcp_f32_e32 v20, v11
	v_div_scale_f32 v13, s[2:3], v3, v3, 1.0
	v_rcp_f32_e32 v23, v13
	v_fma_f32 v26, -v9, v19, 1.0
	v_div_scale_f32 v10, vcc, 1.0, v1, 1.0
	v_div_scale_f32 v15, s[6:7], v2, v2, 1.0
	v_fmac_f32_e32 v19, v26, v19
	v_mul_f32_e32 v6, 0xbfb8aa3b, v6
	v_mul_f32_e32 v7, 0xbfb8aa3b, v7
	v_rcp_f32_e32 v24, v15
	v_fma_f32 v27, -v11, v20, 1.0
	v_mul_f32_e32 v26, v10, v19
	v_exp_f32_e32 v4, v6
	v_exp_f32_e32 v6, v7
	;; [unrolled: 1-line block ×3, first 2 shown]
	v_div_scale_f32 v12, s[0:1], 1.0, v0, 1.0
	v_fmac_f32_e32 v20, v27, v20
	v_fma_f32 v30, -v9, v26, v10
	v_fma_f32 v28, -v13, v23, 1.0
	v_mul_f32_e32 v27, v12, v20
	v_fmac_f32_e32 v26, v30, v19
	v_div_scale_f32 v14, s[2:3], 1.0, v3, 1.0
	v_fmac_f32_e32 v23, v28, v23
	v_fma_f32 v31, -v11, v27, v12
	v_fma_f32 v9, -v9, v26, v10
	v_fma_f32 v29, -v15, v24, 1.0
	v_mul_f32_e32 v28, v14, v23
	v_fmac_f32_e32 v27, v31, v20
	v_div_fmas_f32 v9, v9, v19, v26
	v_div_scale_f32 v16, s[6:7], 1.0, v2, 1.0
	v_fmac_f32_e32 v24, v29, v24
	v_fma_f32 v32, -v13, v28, v14
	v_fma_f32 v10, -v11, v27, v12
	v_div_fixup_f32 v1, v9, v1, 1.0
	s_mov_b64 vcc, s[0:1]
	v_pk_add_f32 v[4:5], v[4:5], 1.0 op_sel_hi:[1,0]
	v_mul_f32_e32 v29, v16, v24
	v_fmac_f32_e32 v28, v32, v23
	v_div_fmas_f32 v9, v10, v20, v27
	v_cmp_class_f32_e32 vcc, v1, v8
	v_div_scale_f32 v18, s[12:13], v5, v5, 1.0
	v_fma_f32 v33, -v15, v29, v16
	v_fma_f32 v11, -v13, v28, v14
	v_div_fixup_f32 v0, v9, v0, 1.0
	v_cndmask_b32_e64 v1, v1, 0, vcc
	s_mov_b64 vcc, s[2:3]
	v_rcp_f32_e32 v25, v18
	v_fmac_f32_e32 v29, v33, v24
	v_div_fmas_f32 v9, v11, v23, v28
	v_cmp_class_f32_e32 vcc, v0, v8
	v_fma_f32 v12, -v15, v29, v16
	v_cndmask_b32_e64 v0, v0, 0, vcc
	s_mov_b64 vcc, s[6:7]
	v_div_fixup_f32 v3, v9, v3, 1.0
	v_div_fmas_f32 v9, v12, v24, v29
	v_div_fixup_f32 v2, v9, v2, 1.0
	v_cmp_class_f32_e32 vcc, v3, v8
	v_cndmask_b32_e64 v3, v3, 0, vcc
	v_cmp_class_f32_e32 vcc, v2, v8
	v_fma_f32 v9, -v18, v25, 1.0
	v_cndmask_b32_e64 v2, v2, 0, vcc
	v_fmac_f32_e32 v25, v9, v25
	v_div_scale_f32 v9, vcc, 1.0, v5, 1.0
	v_mul_f32_e32 v10, v9, v25
	v_fma_f32 v11, -v18, v10, v9
	v_fmac_f32_e32 v10, v11, v25
	v_div_scale_f32 v11, s[0:1], v4, v4, 1.0
	v_rcp_f32_e32 v12, v11
	v_fma_f32 v9, -v18, v10, v9
	v_div_fmas_f32 v9, v9, v25, v10
	v_div_fixup_f32 v5, v9, v5, 1.0
	v_fma_f32 v9, -v11, v12, 1.0
	v_fmac_f32_e32 v12, v9, v12
	v_div_scale_f32 v9, vcc, 1.0, v4, 1.0
	v_mul_f32_e32 v10, v9, v12
	v_fma_f32 v13, -v11, v10, v9
	v_fmac_f32_e32 v10, v13, v12
	v_fma_f32 v9, -v11, v10, v9
	v_div_fmas_f32 v9, v9, v12, v10
	v_pk_add_f32 v[6:7], v[6:7], 1.0 op_sel_hi:[1,0]
	v_div_fixup_f32 v4, v9, v4, 1.0
	v_div_scale_f32 v9, s[0:1], v7, v7, 1.0
	v_rcp_f32_e32 v10, v9
	v_cmp_class_f32_e32 vcc, v5, v8
	v_cndmask_b32_e64 v5, v5, 0, vcc
	v_cmp_class_f32_e32 vcc, v4, v8
	v_fma_f32 v11, -v9, v10, 1.0
	v_cndmask_b32_e64 v4, v4, 0, vcc
	v_fmac_f32_e32 v10, v11, v10
	v_div_scale_f32 v11, vcc, 1.0, v7, 1.0
	v_mul_f32_e32 v12, v11, v10
	v_fma_f32 v13, -v9, v12, v11
	v_fmac_f32_e32 v12, v13, v10
	v_fma_f32 v9, -v9, v12, v11
	v_div_scale_f32 v11, s[0:1], v6, v6, 1.0
	v_rcp_f32_e32 v13, v11
	v_div_fmas_f32 v9, v9, v10, v12
	v_div_fixup_f32 v7, v9, v7, 1.0
	v_fma_f32 v9, -v11, v13, 1.0
	v_fmac_f32_e32 v13, v9, v13
	v_div_scale_f32 v9, vcc, 1.0, v6, 1.0
	v_mul_f32_e32 v10, v9, v13
	v_fma_f32 v12, -v11, v10, v9
	v_fmac_f32_e32 v10, v12, v13
	v_fma_f32 v9, -v11, v10, v9
	v_div_fmas_f32 v9, v9, v13, v10
	v_div_fixup_f32 v6, v9, v6, 1.0
	v_cmp_class_f32_e32 vcc, v7, v8
	v_cndmask_b32_e64 v7, v7, 0, vcc
	v_cmp_class_f32_e32 vcc, v6, v8
	v_cndmask_b32_e64 v6, v6, 0, vcc
	s_cbranch_scc1 .LBB267_35
; %bb.4:
	v_lshlrev_b32_e32 v16, 2, v22
	global_load_dwordx4 v[8:11], v16, s[10:11]
	global_load_dwordx4 v[12:15], v16, s[10:11] offset:16
	s_waitcnt vmcnt(1)
	v_pk_add_f32 v[8:9], v[8:9], v[0:1]
	v_pk_add_f32 v[10:11], v[10:11], v[2:3]
	s_waitcnt vmcnt(0)
	v_pk_add_f32 v[12:13], v[12:13], v[4:5]
	v_pk_add_f32 v[14:15], v[14:15], v[6:7]
	s_cbranch_execnz .LBB267_6
.LBB267_5:
	v_pk_mov_b32 v[14:15], v[6:7], v[6:7] op_sel:[0,1]
	v_pk_mov_b32 v[12:13], v[4:5], v[4:5] op_sel:[0,1]
	;; [unrolled: 1-line block ×4, first 2 shown]
.LBB267_6:
	s_load_dwordx4 s[8:11], s[4:5], 0x30
	s_mov_b32 s25, 0
	v_cmp_eq_u32_e64 s[0:1], 0, v21
	s_waitcnt lgkmcnt(0)
	s_bitcmp1_b32 s11, 0
	s_cselect_b64 vcc, -1, 0
	s_cmp_gt_i32 s8, 0
	s_cselect_b64 s[20:21], -1, 0
	s_cmp_lt_i32 s8, 1
	s_cbranch_scc1 .LBB267_36
; %bb.7:
	v_mbcnt_lo_u32_b32 v16, -1, 0
	v_mbcnt_hi_u32_b32 v16, -1, v16
	v_and_b32_e32 v18, 64, v16
	v_add_u32_e32 v18, 64, v18
	v_xor_b32_e32 v19, 32, v16
	v_cmp_lt_i32_e64 s[2:3], v19, v18
	v_cndmask_b32_e64 v19, v16, v19, s[2:3]
	v_lshlrev_b32_e32 v25, 2, v19
	v_xor_b32_e32 v19, 16, v16
	v_cmp_lt_i32_e64 s[2:3], v19, v18
	v_cndmask_b32_e64 v19, v16, v19, s[2:3]
	v_lshlrev_b32_e32 v26, 2, v19
	;; [unrolled: 4-line block ×4, first 2 shown]
	v_xor_b32_e32 v19, 2, v16
	v_cmp_lt_i32_e64 s[2:3], v19, v18
	s_load_dwordx4 s[12:15], s[4:5], 0x20
	v_cndmask_b32_e64 v19, v16, v19, s[2:3]
	v_lshlrev_b32_e32 v29, 2, v19
	v_xor_b32_e32 v19, 1, v16
	v_cmp_lt_i32_e64 s[2:3], v19, v18
	v_cndmask_b32_e64 v16, v16, v19, s[2:3]
	v_mul_lo_u32 v24, v17, s8
	v_lshlrev_b32_e32 v30, 2, v16
	v_mov_b32_e32 v23, 0
	v_mov_b32_e32 v31, 0x200
	;; [unrolled: 1-line block ×4, first 2 shown]
	s_branch .LBB267_10
.LBB267_8:                              ;   in Loop: Header=BB267_10 Depth=1
	s_or_b64 exec, exec, s[4:5]
.LBB267_9:                              ;   in Loop: Header=BB267_10 Depth=1
	s_cmp_eq_u32 s8, s25
	v_add_u32_e32 v33, s24, v33
	s_cbranch_scc1 .LBB267_37
.LBB267_10:                             ; =>This Inner Loop Header: Depth=1
	v_cmp_gt_f32_e64 s[2:3], v9, v8
	s_waitcnt lgkmcnt(0)
	v_cndmask_b32_e64 v19, v8, v9, s[2:3]
	v_cndmask_b32_e64 v16, 0, 1, s[2:3]
	v_cndmask_b32_e64 v18, v0, v1, s[2:3]
	v_cmp_gt_f32_e64 s[2:3], v10, v19
	v_cndmask_b32_e64 v19, v19, v10, s[2:3]
	v_cndmask_b32_e64 v16, v16, 2, s[2:3]
	v_cndmask_b32_e64 v18, v18, v2, s[2:3]
	v_cmp_gt_f32_e64 s[2:3], v11, v19
	;; [unrolled: 4-line block ×6, first 2 shown]
	v_cndmask_b32_e64 v16, v16, 7, s[2:3]
	v_cndmask_b32_e64 v34, v19, v15, s[2:3]
	v_or_b32_e32 v35, v22, v16
	v_cndmask_b32_e64 v16, v18, v7, s[2:3]
	ds_bpermute_b32 v37, v25, v34
	ds_bpermute_b32 v20, v25, v16
	;; [unrolled: 1-line block ×3, first 2 shown]
                                        ; implicit-def: $vgpr18_vgpr19
	s_waitcnt lgkmcnt(0)
	v_cmp_lt_f32_e64 s[6:7], v34, v37
	v_cmp_nlt_f32_e64 s[2:3], v34, v37
	s_and_saveexec_b64 s[22:23], s[2:3]
; %bb.11:                               ;   in Loop: Header=BB267_10 Depth=1
	v_cmp_eq_f32_e64 s[2:3], v34, v37
	v_cmp_lt_i32_e64 s[4:5], v36, v35
	s_and_b64 s[2:3], s[2:3], s[4:5]
	s_andn2_b64 s[4:5], s[6:7], exec
	s_and_b64 s[2:3], s[2:3], exec
	s_or_b64 s[6:7], s[4:5], s[2:3]
	v_pk_mov_b32 v[18:19], v[16:17], v[16:17] op_sel:[0,1]
; %bb.12:                               ;   in Loop: Header=BB267_10 Depth=1
	s_or_b64 exec, exec, s[22:23]
	s_and_saveexec_b64 s[2:3], s[6:7]
; %bb.13:                               ;   in Loop: Header=BB267_10 Depth=1
	v_mov_b32_e32 v34, v37
	v_mov_b32_e32 v16, v20
	;; [unrolled: 1-line block ×3, first 2 shown]
	v_pk_mov_b32 v[18:19], v[20:21], v[20:21] op_sel:[0,1]
; %bb.14:                               ;   in Loop: Header=BB267_10 Depth=1
	s_or_b64 exec, exec, s[2:3]
	ds_bpermute_b32 v36, v26, v34
	ds_bpermute_b32 v20, v26, v16
	;; [unrolled: 1-line block ×3, first 2 shown]
	s_waitcnt lgkmcnt(2)
	v_cmp_lt_f32_e64 s[6:7], v34, v36
	v_cmp_nlt_f32_e64 s[2:3], v34, v36
	s_and_saveexec_b64 s[22:23], s[2:3]
	s_cbranch_execz .LBB267_16
; %bb.15:                               ;   in Loop: Header=BB267_10 Depth=1
	v_cmp_eq_f32_e64 s[2:3], v34, v36
	s_waitcnt lgkmcnt(0)
	v_cmp_lt_i32_e64 s[4:5], v19, v35
	s_and_b64 s[2:3], s[2:3], s[4:5]
	s_andn2_b64 s[4:5], s[6:7], exec
	s_and_b64 s[2:3], s[2:3], exec
	s_or_b64 s[6:7], s[4:5], s[2:3]
.LBB267_16:                             ;   in Loop: Header=BB267_10 Depth=1
	s_or_b64 exec, exec, s[22:23]
	s_and_saveexec_b64 s[2:3], s[6:7]
	s_cbranch_execz .LBB267_18
; %bb.17:                               ;   in Loop: Header=BB267_10 Depth=1
	v_mov_b32_e32 v34, v36
	s_waitcnt lgkmcnt(1)
	v_mov_b32_e32 v16, v20
	s_waitcnt lgkmcnt(0)
	v_mov_b32_e32 v35, v19
	v_pk_mov_b32 v[18:19], v[20:21], v[20:21] op_sel:[0,1]
.LBB267_18:                             ;   in Loop: Header=BB267_10 Depth=1
	s_or_b64 exec, exec, s[2:3]
	ds_bpermute_b32 v36, v27, v34
	s_waitcnt lgkmcnt(2)
	ds_bpermute_b32 v20, v27, v16
	s_waitcnt lgkmcnt(2)
	ds_bpermute_b32 v19, v27, v35
	s_waitcnt lgkmcnt(2)
	v_cmp_lt_f32_e64 s[6:7], v34, v36
	v_cmp_nlt_f32_e64 s[2:3], v34, v36
	s_and_saveexec_b64 s[22:23], s[2:3]
	s_cbranch_execz .LBB267_20
; %bb.19:                               ;   in Loop: Header=BB267_10 Depth=1
	v_cmp_eq_f32_e64 s[2:3], v34, v36
	s_waitcnt lgkmcnt(0)
	v_cmp_lt_i32_e64 s[4:5], v19, v35
	s_and_b64 s[2:3], s[2:3], s[4:5]
	s_andn2_b64 s[4:5], s[6:7], exec
	s_and_b64 s[2:3], s[2:3], exec
	s_or_b64 s[6:7], s[4:5], s[2:3]
.LBB267_20:                             ;   in Loop: Header=BB267_10 Depth=1
	s_or_b64 exec, exec, s[22:23]
	s_and_saveexec_b64 s[2:3], s[6:7]
	s_cbranch_execz .LBB267_22
; %bb.21:                               ;   in Loop: Header=BB267_10 Depth=1
	v_mov_b32_e32 v34, v36
	s_waitcnt lgkmcnt(1)
	v_mov_b32_e32 v16, v20
	s_waitcnt lgkmcnt(0)
	v_mov_b32_e32 v35, v19
	v_pk_mov_b32 v[18:19], v[20:21], v[20:21] op_sel:[0,1]
.LBB267_22:                             ;   in Loop: Header=BB267_10 Depth=1
	s_or_b64 exec, exec, s[2:3]
	ds_bpermute_b32 v36, v28, v34
	s_waitcnt lgkmcnt(2)
	ds_bpermute_b32 v20, v28, v16
	s_waitcnt lgkmcnt(2)
	ds_bpermute_b32 v19, v28, v35
	;; [unrolled: 31-line block ×3, first 2 shown]
	s_waitcnt lgkmcnt(2)
	v_cmp_lt_f32_e64 s[6:7], v34, v36
	v_cmp_nlt_f32_e64 s[2:3], v34, v36
	s_and_saveexec_b64 s[22:23], s[2:3]
	s_cbranch_execz .LBB267_28
; %bb.27:                               ;   in Loop: Header=BB267_10 Depth=1
	v_cmp_eq_f32_e64 s[2:3], v34, v36
	s_waitcnt lgkmcnt(0)
	v_cmp_lt_i32_e64 s[4:5], v19, v35
	s_and_b64 s[2:3], s[2:3], s[4:5]
	s_andn2_b64 s[4:5], s[6:7], exec
	s_and_b64 s[2:3], s[2:3], exec
	s_or_b64 s[6:7], s[4:5], s[2:3]
.LBB267_28:                             ;   in Loop: Header=BB267_10 Depth=1
	s_or_b64 exec, exec, s[22:23]
	s_and_saveexec_b64 s[2:3], s[6:7]
	s_cbranch_execz .LBB267_30
; %bb.29:                               ;   in Loop: Header=BB267_10 Depth=1
	v_mov_b32_e32 v34, v36
	s_waitcnt lgkmcnt(1)
	v_mov_b32_e32 v16, v20
	s_waitcnt lgkmcnt(0)
	v_mov_b32_e32 v35, v19
	v_pk_mov_b32 v[18:19], v[20:21], v[20:21] op_sel:[0,1]
.LBB267_30:                             ;   in Loop: Header=BB267_10 Depth=1
	s_or_b64 exec, exec, s[2:3]
	s_waitcnt lgkmcnt(1)
	ds_bpermute_b32 v20, v30, v34
	ds_bpermute_b32 v36, v30, v35
	s_waitcnt lgkmcnt(2)
	ds_bpermute_b32 v19, v30, v16
	s_waitcnt lgkmcnt(2)
	v_cmp_eq_f32_e64 s[4:5], v34, v20
	s_waitcnt lgkmcnt(1)
	v_cmp_lt_i32_e64 s[6:7], v36, v35
	v_cmp_lt_f32_e64 s[2:3], v34, v20
	s_and_b64 s[4:5], s[4:5], s[6:7]
	s_or_b64 s[2:3], s[2:3], s[4:5]
	v_cndmask_b32_e64 v16, v35, v36, s[2:3]
	s_and_saveexec_b64 s[6:7], s[0:1]
	s_cbranch_execnz .LBB267_32
; %bb.31:                               ;   in Loop: Header=BB267_10 Depth=1
	s_or_b64 exec, exec, s[6:7]
	s_add_i32 s25, s25, 1
	s_cmp_ge_i32 s25, s8
	s_cbranch_scc1 .LBB267_9
	s_branch .LBB267_33
.LBB267_32:                             ;   in Loop: Header=BB267_10 Depth=1
	s_waitcnt lgkmcnt(0)
	v_cndmask_b32_e64 v20, v18, v19, s[2:3]
	v_add_u32_e32 v18, s25, v24
	v_ashrrev_i32_e32 v19, 31, v18
	v_cmp_le_i32_e64 s[2:3], s9, v16
	v_cmp_gt_i32_e64 s[4:5], s10, v16
	v_lshlrev_b64 v[18:19], 2, v[18:19]
	s_and_b64 s[4:5], s[2:3], s[4:5]
	v_mov_b32_e32 v35, s17
	v_add_co_u32_e64 v34, s[2:3], s16, v18
	v_addc_co_u32_e64 v35, s[2:3], v35, v19, s[2:3]
	global_store_dword v[34:35], v20, off
	v_subrev_u32_e32 v34, s9, v16
	s_and_b64 s[2:3], s[18:19], s[4:5]
	v_cndmask_b32_e64 v36, v31, v34, s[2:3]
	v_mov_b32_e32 v35, s13
	v_add_co_u32_e64 v34, s[2:3], s12, v18
	v_addc_co_u32_e64 v35, s[2:3], v35, v19, s[2:3]
	global_store_dword v[34:35], v36, off
	v_mov_b32_e32 v34, s15
	v_add_co_u32_e64 v18, s[2:3], s14, v18
	v_addc_co_u32_e64 v19, s[2:3], v34, v19, s[2:3]
	global_store_dword v[18:19], v33, off
	v_add_f32_e32 v18, v23, v20
	v_cndmask_b32_e32 v23, v23, v18, vcc
	s_or_b64 exec, exec, s[6:7]
	s_add_i32 s25, s25, 1
	s_cmp_ge_i32 s25, s8
	s_cbranch_scc1 .LBB267_9
.LBB267_33:                             ;   in Loop: Header=BB267_10 Depth=1
	s_waitcnt lgkmcnt(0)
	v_ashrrev_i32_e32 v19, 31, v16
	v_lshrrev_b32_e32 v18, 29, v19
	v_add_u32_e32 v20, v16, v18
	v_ashrrev_i32_e32 v18, 3, v20
	v_ashrrev_i32_e32 v20, 31, v20
	v_lshrrev_b32_e32 v20, 26, v20
	v_add_u32_e32 v20, v18, v20
	v_and_b32_e32 v20, 0xffffffc0, v20
	v_sub_u32_e32 v20, v18, v20
	v_cmp_eq_u32_e64 s[2:3], v21, v20
	s_and_saveexec_b64 s[4:5], s[2:3]
	s_cbranch_execz .LBB267_8
; %bb.34:                               ;   in Loop: Header=BB267_10 Depth=1
	v_lshrrev_b32_e32 v19, 23, v19
	v_add_u32_e32 v19, v16, v19
	v_lshlrev_b32_e32 v18, 3, v18
	v_ashrrev_i32_e32 v19, 9, v19
	v_sub_u32_e32 v16, v16, v18
	v_lshl_add_u32 v16, v19, 3, v16
	v_cmp_ne_u32_e64 s[2:3], 7, v16
	v_cndmask_b32_e64 v15, v32, v15, s[2:3]
	v_cmp_ne_u32_e64 s[2:3], 6, v16
	v_cndmask_b32_e64 v14, v32, v14, s[2:3]
	;; [unrolled: 2-line block ×8, first 2 shown]
	s_branch .LBB267_8
.LBB267_35:
                                        ; implicit-def: $vgpr8_vgpr9_vgpr10_vgpr11_vgpr12_vgpr13_vgpr14_vgpr15
	s_andn2_b64 vcc, exec, s[8:9]
	s_cbranch_vccz .LBB267_5
	s_branch .LBB267_6
.LBB267_36:
	v_mov_b32_e32 v23, 0
.LBB267_37:
	v_cmp_eq_u32_e64 s[0:1], 0, v21
	s_and_b64 s[0:1], s[0:1], vcc
	s_and_b64 exec, exec, s[0:1]
	s_cbranch_execz .LBB267_46
; %bb.38:
	s_andn2_b64 vcc, exec, s[20:21]
	s_cbranch_vccnz .LBB267_46
; %bb.39:
	v_cmp_lt_f32_e32 vcc, 0, v23
	s_mov_b32 s2, 0
	v_cndmask_b32_e32 v0, 1.0, v23, vcc
	v_mul_lo_u32 v4, v17, s8
	s_cmp_eq_u32 s8, 1
	s_mov_b64 s[0:1], -1
	s_cbranch_scc1 .LBB267_43
; %bb.40:
	s_and_b32 s2, s8, 0x7ffffffe
	v_mov_b32_e32 v1, v0
	v_mov_b32_e32 v5, s17
	s_mov_b32 s3, s2
	v_mov_b32_e32 v2, v4
.LBB267_41:                             ; =>This Inner Loop Header: Depth=1
	v_ashrrev_i32_e32 v3, 31, v2
	v_lshlrev_b64 v[6:7], 2, v[2:3]
	v_add_co_u32_e32 v6, vcc, s16, v6
	v_addc_co_u32_e32 v7, vcc, v5, v7, vcc
	global_load_dwordx2 v[8:9], v[6:7], off
	s_add_i32 s3, s3, -2
	s_cmp_lg_u32 s3, 0
	v_add_u32_e32 v2, 2, v2
	s_waitcnt vmcnt(0)
	v_div_scale_f32 v3, s[0:1], v1, v1, v9
	v_div_scale_f32 v11, s[0:1], v0, v0, v8
	v_rcp_f32_e32 v12, v3
	v_rcp_f32_e32 v13, v11
	v_div_scale_f32 v10, vcc, v9, v1, v9
	v_fma_f32 v15, -v3, v12, 1.0
	v_fma_f32 v16, -v11, v13, 1.0
	v_fmac_f32_e32 v12, v15, v12
	v_div_scale_f32 v14, s[0:1], v8, v0, v8
	v_fmac_f32_e32 v13, v16, v13
	v_mul_f32_e32 v15, v10, v12
	v_mul_f32_e32 v16, v14, v13
	v_fma_f32 v17, -v3, v15, v10
	v_fma_f32 v18, -v11, v16, v14
	v_fmac_f32_e32 v15, v17, v12
	v_fmac_f32_e32 v16, v18, v13
	v_fma_f32 v3, -v3, v15, v10
	v_fma_f32 v10, -v11, v16, v14
	v_div_fmas_f32 v3, v3, v12, v15
	s_mov_b64 vcc, s[0:1]
	v_div_fixup_f32 v9, v3, v1, v9
	v_div_fmas_f32 v3, v10, v13, v16
	v_div_fixup_f32 v8, v3, v0, v8
	global_store_dwordx2 v[6:7], v[8:9], off
	s_cbranch_scc1 .LBB267_41
; %bb.42:
	s_cmp_lg_u32 s2, s8
	s_cselect_b64 s[0:1], -1, 0
.LBB267_43:
	s_and_b64 vcc, exec, s[0:1]
	s_cbranch_vccz .LBB267_46
; %bb.44:
	v_ashrrev_i32_e32 v1, 31, v4
	v_add_co_u32_e32 v2, vcc, s2, v4
	v_addc_co_u32_e32 v3, vcc, 0, v1, vcc
	v_lshlrev_b64 v[2:3], 2, v[2:3]
	v_mov_b32_e32 v1, s17
	v_add_co_u32_e32 v2, vcc, s16, v2
	s_sub_i32 s0, s8, s2
	v_addc_co_u32_e32 v3, vcc, v1, v3, vcc
.LBB267_45:                             ; =>This Inner Loop Header: Depth=1
	global_load_dword v1, v[2:3], off
	s_add_i32 s0, s0, -1
	s_cmp_lg_u32 s0, 0
	s_waitcnt vmcnt(0)
	v_div_scale_f32 v4, s[2:3], v0, v0, v1
	v_rcp_f32_e32 v5, v4
	v_div_scale_f32 v6, vcc, v1, v0, v1
	v_fma_f32 v7, -v4, v5, 1.0
	v_fmac_f32_e32 v5, v7, v5
	v_mul_f32_e32 v7, v6, v5
	v_fma_f32 v8, -v4, v7, v6
	v_fmac_f32_e32 v7, v8, v5
	v_fma_f32 v4, -v4, v7, v6
	v_div_fmas_f32 v4, v4, v5, v7
	v_div_fixup_f32 v1, v4, v0, v1
	global_store_dword v[2:3], v1, off
	v_add_co_u32_e32 v2, vcc, 4, v2
	v_addc_co_u32_e32 v3, vcc, 0, v3, vcc
	s_cbranch_scc1 .LBB267_45
.LBB267_46:
	s_endpgm
	.section	.rodata,"a",@progbits
	.p2align	6, 0x0
	.amdhsa_kernel _ZN4vllm3moe10topkGatingILi8ELi512ELi4ELi16ELi64Ei6__halfLNS0_11ScoringFuncE1EEEvPKT5_PKbPfiPT4_PiiiibPKf
		.amdhsa_group_segment_fixed_size 0
		.amdhsa_private_segment_fixed_size 0
		.amdhsa_kernarg_size 72
		.amdhsa_user_sgpr_count 6
		.amdhsa_user_sgpr_private_segment_buffer 1
		.amdhsa_user_sgpr_dispatch_ptr 0
		.amdhsa_user_sgpr_queue_ptr 0
		.amdhsa_user_sgpr_kernarg_segment_ptr 1
		.amdhsa_user_sgpr_dispatch_id 0
		.amdhsa_user_sgpr_flat_scratch_init 0
		.amdhsa_user_sgpr_kernarg_preload_length 0
		.amdhsa_user_sgpr_kernarg_preload_offset 0
		.amdhsa_user_sgpr_private_segment_size 0
		.amdhsa_uses_dynamic_stack 0
		.amdhsa_system_sgpr_private_segment_wavefront_offset 0
		.amdhsa_system_sgpr_workgroup_id_x 1
		.amdhsa_system_sgpr_workgroup_id_y 0
		.amdhsa_system_sgpr_workgroup_id_z 0
		.amdhsa_system_sgpr_workgroup_info 0
		.amdhsa_system_vgpr_workitem_id 1
		.amdhsa_next_free_vgpr 38
		.amdhsa_next_free_sgpr 26
		.amdhsa_accum_offset 40
		.amdhsa_reserve_vcc 1
		.amdhsa_reserve_flat_scratch 0
		.amdhsa_float_round_mode_32 0
		.amdhsa_float_round_mode_16_64 0
		.amdhsa_float_denorm_mode_32 3
		.amdhsa_float_denorm_mode_16_64 3
		.amdhsa_dx10_clamp 1
		.amdhsa_ieee_mode 1
		.amdhsa_fp16_overflow 0
		.amdhsa_tg_split 0
		.amdhsa_exception_fp_ieee_invalid_op 0
		.amdhsa_exception_fp_denorm_src 0
		.amdhsa_exception_fp_ieee_div_zero 0
		.amdhsa_exception_fp_ieee_overflow 0
		.amdhsa_exception_fp_ieee_underflow 0
		.amdhsa_exception_fp_ieee_inexact 0
		.amdhsa_exception_int_div_zero 0
	.end_amdhsa_kernel
	.section	.text._ZN4vllm3moe10topkGatingILi8ELi512ELi4ELi16ELi64Ei6__halfLNS0_11ScoringFuncE1EEEvPKT5_PKbPfiPT4_PiiiibPKf,"axG",@progbits,_ZN4vllm3moe10topkGatingILi8ELi512ELi4ELi16ELi64Ei6__halfLNS0_11ScoringFuncE1EEEvPKT5_PKbPfiPT4_PiiiibPKf,comdat
.Lfunc_end267:
	.size	_ZN4vllm3moe10topkGatingILi8ELi512ELi4ELi16ELi64Ei6__halfLNS0_11ScoringFuncE1EEEvPKT5_PKbPfiPT4_PiiiibPKf, .Lfunc_end267-_ZN4vllm3moe10topkGatingILi8ELi512ELi4ELi16ELi64Ei6__halfLNS0_11ScoringFuncE1EEEvPKT5_PKbPfiPT4_PiiiibPKf
                                        ; -- End function
	.section	.AMDGPU.csdata,"",@progbits
; Kernel info:
; codeLenInByte = 3332
; NumSgprs: 30
; NumVgprs: 38
; NumAgprs: 0
; TotalNumVgprs: 38
; ScratchSize: 0
; MemoryBound: 0
; FloatMode: 240
; IeeeMode: 1
; LDSByteSize: 0 bytes/workgroup (compile time only)
; SGPRBlocks: 3
; VGPRBlocks: 4
; NumSGPRsForWavesPerEU: 30
; NumVGPRsForWavesPerEU: 38
; AccumOffset: 40
; Occupancy: 8
; WaveLimiterHint : 0
; COMPUTE_PGM_RSRC2:SCRATCH_EN: 0
; COMPUTE_PGM_RSRC2:USER_SGPR: 6
; COMPUTE_PGM_RSRC2:TRAP_HANDLER: 0
; COMPUTE_PGM_RSRC2:TGID_X_EN: 1
; COMPUTE_PGM_RSRC2:TGID_Y_EN: 0
; COMPUTE_PGM_RSRC2:TGID_Z_EN: 0
; COMPUTE_PGM_RSRC2:TIDIG_COMP_CNT: 1
; COMPUTE_PGM_RSRC3_GFX90A:ACCUM_OFFSET: 9
; COMPUTE_PGM_RSRC3_GFX90A:TG_SPLIT: 0
	.section	.text._ZN4vllm3moe10topkGatingILi16ELi512ELi4ELi16ELi32Ei6__halfLNS0_11ScoringFuncE1EEEvPKT5_PKbPfiPT4_PiiiibPKf,"axG",@progbits,_ZN4vllm3moe10topkGatingILi16ELi512ELi4ELi16ELi32Ei6__halfLNS0_11ScoringFuncE1EEEvPKT5_PKbPfiPT4_PiiiibPKf,comdat
	.protected	_ZN4vllm3moe10topkGatingILi16ELi512ELi4ELi16ELi32Ei6__halfLNS0_11ScoringFuncE1EEEvPKT5_PKbPfiPT4_PiiiibPKf ; -- Begin function _ZN4vllm3moe10topkGatingILi16ELi512ELi4ELi16ELi32Ei6__halfLNS0_11ScoringFuncE1EEEvPKT5_PKbPfiPT4_PiiiibPKf
	.globl	_ZN4vllm3moe10topkGatingILi16ELi512ELi4ELi16ELi32Ei6__halfLNS0_11ScoringFuncE1EEEvPKT5_PKbPfiPT4_PiiiibPKf
	.p2align	8
	.type	_ZN4vllm3moe10topkGatingILi16ELi512ELi4ELi16ELi32Ei6__halfLNS0_11ScoringFuncE1EEEvPKT5_PKbPfiPT4_PiiiibPKf,@function
_ZN4vllm3moe10topkGatingILi16ELi512ELi4ELi16ELi32Ei6__halfLNS0_11ScoringFuncE1EEEvPKT5_PKbPfiPT4_PiiiibPKf: ; @_ZN4vllm3moe10topkGatingILi16ELi512ELi4ELi16ELi32Ei6__halfLNS0_11ScoringFuncE1EEEvPKT5_PKbPfiPT4_PiiiibPKf
; %bb.0:
	s_load_dword s24, s[4:5], 0x18
	v_and_b32_e32 v1, 0x3ff, v0
	s_lshl_b32 s0, s6, 2
	v_lshrrev_b32_e32 v2, 5, v1
	v_bfe_u32 v0, v0, 10, 10
	v_add3_u32 v33, s0, v0, v2
	s_waitcnt lgkmcnt(0)
	v_cmp_gt_i32_e32 vcc, s24, v33
	s_and_saveexec_b64 s[0:1], vcc
	s_cbranch_execz .LBB268_42
; %bb.1:
	s_load_dwordx4 s[0:3], s[4:5], 0x0
	s_load_dwordx2 s[16:17], s[4:5], 0x10
	s_mov_b64 s[6:7], -1
	s_mov_b64 s[18:19], -1
	s_waitcnt lgkmcnt(0)
	s_cmp_eq_u64 s[2:3], 0
	s_cbranch_scc1 .LBB268_3
; %bb.2:
	v_ashrrev_i32_e32 v0, 31, v33
	v_mov_b32_e32 v3, s3
	v_add_co_u32_e32 v2, vcc, s2, v33
	v_addc_co_u32_e32 v3, vcc, v3, v0, vcc
	global_load_ubyte v0, v[2:3], off
	s_waitcnt vmcnt(0)
	v_and_b32_e32 v0, 1, v0
	v_cmp_eq_u32_e32 vcc, 1, v0
	s_xor_b64 s[2:3], vcc, -1
	s_orn2_b64 s[18:19], s[2:3], exec
.LBB268_3:
	v_lshlrev_b32_e32 v2, 9, v33
	v_ashrrev_i32_e32 v3, 31, v2
	v_lshlrev_b64 v[2:3], 1, v[2:3]
	v_mov_b32_e32 v0, s1
	v_add_co_u32_e32 v2, vcc, s0, v2
	v_and_b32_e32 v37, 31, v1
	v_addc_co_u32_e32 v0, vcc, v0, v3, vcc
	v_lshlrev_b32_e32 v1, 4, v37
	v_add_co_u32_e32 v8, vcc, v2, v1
	v_addc_co_u32_e32 v9, vcc, 0, v0, vcc
	global_load_dwordx4 v[0:3], v[8:9], off
	global_load_dwordx4 v[4:7], v[8:9], off offset:512
	v_mov_b32_e32 v16, 0x207
	s_load_dwordx2 s[8:9], s[4:5], 0x40
	v_lshlrev_b32_e32 v38, 3, v37
	s_waitcnt lgkmcnt(0)
	s_cmp_eq_u64 s[8:9], 0
	s_waitcnt vmcnt(1)
	v_cvt_f32_f16_e32 v8, v0
	v_cvt_f32_f16_sdwa v0, v0 dst_sel:DWORD dst_unused:UNUSED_PAD src0_sel:WORD_1
	v_cvt_f32_f16_e32 v9, v1
	v_cvt_f32_f16_sdwa v1, v1 dst_sel:DWORD dst_unused:UNUSED_PAD src0_sel:WORD_1
	v_mul_f32_e32 v8, 0xbfb8aa3b, v8
	v_mul_f32_e32 v17, 0xbfb8aa3b, v0
	v_exp_f32_e32 v0, v8
	v_mul_f32_e32 v18, 0xbfb8aa3b, v1
	v_exp_f32_e32 v1, v17
	v_cvt_f32_f16_e32 v10, v2
	v_cvt_f32_f16_sdwa v2, v2 dst_sel:DWORD dst_unused:UNUSED_PAD src0_sel:WORD_1
	v_cvt_f32_f16_e32 v11, v3
	v_cvt_f32_f16_sdwa v3, v3 dst_sel:DWORD dst_unused:UNUSED_PAD src0_sel:WORD_1
	s_waitcnt vmcnt(0)
	v_cvt_f32_f16_e32 v13, v5
	v_cvt_f32_f16_sdwa v5, v5 dst_sel:DWORD dst_unused:UNUSED_PAD src0_sel:WORD_1
	v_cvt_f32_f16_e32 v14, v6
	v_cvt_f32_f16_e32 v15, v7
	v_cvt_f32_f16_e32 v12, v4
	v_cvt_f32_f16_sdwa v4, v4 dst_sel:DWORD dst_unused:UNUSED_PAD src0_sel:WORD_1
	v_mul_f32_e32 v9, 0xbfb8aa3b, v9
	v_pk_add_f32 v[0:1], v[0:1], 1.0 op_sel_hi:[1,0]
	v_cvt_f32_f16_sdwa v7, v7 dst_sel:DWORD dst_unused:UNUSED_PAD src0_sel:WORD_1
	v_mul_f32_e32 v19, 0xbfb8aa3b, v2
	v_mul_f32_e32 v20, 0xbfb8aa3b, v3
	;; [unrolled: 1-line block ×3, first 2 shown]
	v_exp_f32_e32 v2, v9
	v_exp_f32_e32 v3, v18
	v_div_scale_f32 v17, s[0:1], v1, v1, 1.0
	v_cvt_f32_f16_sdwa v6, v6 dst_sel:DWORD dst_unused:UNUSED_PAD src0_sel:WORD_1
	v_mul_f32_e32 v10, 0xbfb8aa3b, v10
	v_mul_f32_e32 v23, 0xbfb8aa3b, v14
	;; [unrolled: 1-line block ×3, first 2 shown]
	v_exp_f32_e32 v5, v19
	v_exp_f32_e32 v15, v22
	v_div_scale_f32 v19, s[0:1], v0, v0, 1.0
	v_rcp_f32_e32 v22, v17
	v_mul_f32_e32 v21, 0xbfb8aa3b, v4
	v_exp_f32_e32 v4, v10
	v_exp_f32_e32 v10, v23
	v_rcp_f32_e32 v23, v19
	v_mul_f32_e32 v13, 0xbfb8aa3b, v13
	v_mul_f32_e32 v26, 0xbfb8aa3b, v7
	v_pk_add_f32 v[2:3], v[2:3], 1.0 op_sel_hi:[1,0]
	v_mul_f32_e32 v11, 0xbfb8aa3b, v11
	v_mul_f32_e32 v24, 0xbfb8aa3b, v6
	v_exp_f32_e32 v9, v21
	v_exp_f32_e32 v14, v13
	;; [unrolled: 1-line block ×3, first 2 shown]
	v_div_scale_f32 v21, s[2:3], v3, v3, 1.0
	v_fma_f32 v26, -v17, v22, 1.0
	v_exp_f32_e32 v6, v11
	v_exp_f32_e32 v11, v24
	v_div_scale_f32 v18, vcc, 1.0, v1, 1.0
	v_rcp_f32_e32 v24, v21
	v_fma_f32 v27, -v19, v23, 1.0
	v_fmac_f32_e32 v22, v26, v22
	v_exp_f32_e32 v7, v20
	v_div_scale_f32 v20, s[0:1], 1.0, v0, 1.0
	v_fmac_f32_e32 v23, v27, v23
	v_mul_f32_e32 v26, v18, v22
	v_mul_f32_e32 v27, v20, v23
	v_fma_f32 v29, -v17, v26, v18
	v_fma_f32 v30, -v19, v27, v20
	v_fmac_f32_e32 v26, v29, v22
	v_mul_f32_e32 v12, 0xbfb8aa3b, v12
	v_fma_f32 v28, -v21, v24, 1.0
	v_fmac_f32_e32 v27, v30, v23
	v_fma_f32 v17, -v17, v26, v18
	v_exp_f32_e32 v8, v12
	v_exp_f32_e32 v12, v25
	v_div_scale_f32 v25, s[2:3], 1.0, v3, 1.0
	v_fmac_f32_e32 v24, v28, v24
	v_fma_f32 v18, -v19, v27, v20
	v_div_fmas_f32 v17, v17, v22, v26
	s_mov_b64 vcc, s[0:1]
	v_mul_f32_e32 v28, v25, v24
	v_div_fixup_f32 v1, v17, v1, 1.0
	v_div_fmas_f32 v17, v18, v23, v27
	v_div_scale_f32 v18, s[0:1], v2, v2, 1.0
	v_fma_f32 v31, -v21, v28, v25
	v_div_fixup_f32 v0, v17, v0, 1.0
	v_cmp_class_f32_e32 vcc, v1, v16
	v_rcp_f32_e32 v19, v18
	v_cndmask_b32_e64 v1, v1, 0, vcc
	v_cmp_class_f32_e32 vcc, v0, v16
	v_fmac_f32_e32 v28, v31, v24
	v_cndmask_b32_e64 v0, v0, 0, vcc
	v_fma_f32 v17, -v21, v28, v25
	s_mov_b64 vcc, s[2:3]
	v_div_fmas_f32 v17, v17, v24, v28
	v_div_fixup_f32 v3, v17, v3, 1.0
	v_fma_f32 v17, -v18, v19, 1.0
	v_fmac_f32_e32 v19, v17, v19
	v_div_scale_f32 v17, vcc, 1.0, v2, 1.0
	v_mul_f32_e32 v20, v17, v19
	v_fma_f32 v21, -v18, v20, v17
	v_fmac_f32_e32 v20, v21, v19
	v_fma_f32 v17, -v18, v20, v17
	v_div_fmas_f32 v17, v17, v19, v20
	v_pk_add_f32 v[4:5], v[4:5], 1.0 op_sel_hi:[1,0]
	v_div_fixup_f32 v2, v17, v2, 1.0
	v_div_scale_f32 v17, s[0:1], v5, v5, 1.0
	v_rcp_f32_e32 v18, v17
	v_cmp_class_f32_e32 vcc, v3, v16
	v_cndmask_b32_e64 v3, v3, 0, vcc
	v_cmp_class_f32_e32 vcc, v2, v16
	v_fma_f32 v19, -v17, v18, 1.0
	v_cndmask_b32_e64 v2, v2, 0, vcc
	v_fmac_f32_e32 v18, v19, v18
	v_div_scale_f32 v19, vcc, 1.0, v5, 1.0
	v_mul_f32_e32 v20, v19, v18
	v_fma_f32 v21, -v17, v20, v19
	v_fmac_f32_e32 v20, v21, v18
	v_fma_f32 v17, -v17, v20, v19
	v_div_scale_f32 v19, s[0:1], v4, v4, 1.0
	v_rcp_f32_e32 v21, v19
	v_div_fmas_f32 v17, v17, v18, v20
	v_div_fixup_f32 v5, v17, v5, 1.0
	v_pk_add_f32 v[6:7], v[6:7], 1.0 op_sel_hi:[1,0]
	v_fma_f32 v17, -v19, v21, 1.0
	v_fmac_f32_e32 v21, v17, v21
	v_div_scale_f32 v17, vcc, 1.0, v4, 1.0
	v_mul_f32_e32 v18, v17, v21
	v_fma_f32 v20, -v19, v18, v17
	v_fmac_f32_e32 v18, v20, v21
	v_fma_f32 v17, -v19, v18, v17
	v_div_fmas_f32 v17, v17, v21, v18
	v_div_fixup_f32 v4, v17, v4, 1.0
	v_div_scale_f32 v17, s[0:1], v7, v7, 1.0
	v_rcp_f32_e32 v18, v17
	v_cmp_class_f32_e32 vcc, v5, v16
	v_cndmask_b32_e64 v5, v5, 0, vcc
	v_cmp_class_f32_e32 vcc, v4, v16
	v_fma_f32 v19, -v17, v18, 1.0
	v_cndmask_b32_e64 v4, v4, 0, vcc
	v_fmac_f32_e32 v18, v19, v18
	v_div_scale_f32 v19, vcc, 1.0, v7, 1.0
	v_mul_f32_e32 v20, v19, v18
	v_fma_f32 v21, -v17, v20, v19
	v_fmac_f32_e32 v20, v21, v18
	v_fma_f32 v17, -v17, v20, v19
	v_div_scale_f32 v19, s[0:1], v6, v6, 1.0
	v_rcp_f32_e32 v21, v19
	v_div_fmas_f32 v17, v17, v18, v20
	v_div_fixup_f32 v7, v17, v7, 1.0
	v_pk_add_f32 v[8:9], v[8:9], 1.0 op_sel_hi:[1,0]
	v_fma_f32 v17, -v19, v21, 1.0
	v_fmac_f32_e32 v21, v17, v21
	v_div_scale_f32 v17, vcc, 1.0, v6, 1.0
	v_mul_f32_e32 v18, v17, v21
	v_fma_f32 v20, -v19, v18, v17
	v_fmac_f32_e32 v18, v20, v21
	v_fma_f32 v17, -v19, v18, v17
	v_div_fmas_f32 v17, v17, v21, v18
	;; [unrolled: 27-line block ×3, first 2 shown]
	v_div_fixup_f32 v8, v17, v8, 1.0
	v_div_scale_f32 v17, s[0:1], v15, v15, 1.0
	v_rcp_f32_e32 v18, v17
	v_cmp_class_f32_e32 vcc, v9, v16
	v_cndmask_b32_e64 v9, v9, 0, vcc
	v_cmp_class_f32_e32 vcc, v8, v16
	v_fma_f32 v19, -v17, v18, 1.0
	v_cndmask_b32_e64 v8, v8, 0, vcc
	v_fmac_f32_e32 v18, v19, v18
	v_div_scale_f32 v19, vcc, 1.0, v15, 1.0
	v_mul_f32_e32 v20, v19, v18
	v_fma_f32 v21, -v17, v20, v19
	v_fmac_f32_e32 v20, v21, v18
	v_fma_f32 v17, -v17, v20, v19
	v_div_scale_f32 v19, s[0:1], v14, v14, 1.0
	v_rcp_f32_e32 v21, v19
	v_div_fmas_f32 v17, v17, v18, v20
	v_div_fixup_f32 v17, v17, v15, 1.0
	v_fma_f32 v15, -v19, v21, 1.0
	v_fmac_f32_e32 v21, v15, v21
	v_div_scale_f32 v15, vcc, 1.0, v14, 1.0
	v_mul_f32_e32 v18, v15, v21
	v_fma_f32 v20, -v19, v18, v15
	v_fmac_f32_e32 v18, v20, v21
	v_fma_f32 v15, -v19, v18, v15
	v_div_fmas_f32 v15, v15, v21, v18
	v_div_fixup_f32 v18, v15, v14, 1.0
	v_pk_add_f32 v[14:15], v[10:11], 1.0 op_sel_hi:[1,0]
	v_div_scale_f32 v19, s[0:1], v15, v15, 1.0
	v_rcp_f32_e32 v20, v19
	v_cmp_class_f32_e32 vcc, v17, v16
	v_cndmask_b32_e64 v11, v17, 0, vcc
	v_cmp_class_f32_e32 vcc, v18, v16
	v_fma_f32 v17, -v19, v20, 1.0
	v_cndmask_b32_e64 v10, v18, 0, vcc
	v_fmac_f32_e32 v20, v17, v20
	v_div_scale_f32 v17, vcc, 1.0, v15, 1.0
	v_mul_f32_e32 v18, v17, v20
	v_fma_f32 v21, -v19, v18, v17
	v_fmac_f32_e32 v18, v21, v20
	v_fma_f32 v17, -v19, v18, v17
	v_div_scale_f32 v19, s[0:1], v14, v14, 1.0
	v_rcp_f32_e32 v21, v19
	v_div_fmas_f32 v17, v17, v20, v18
	v_div_fixup_f32 v17, v17, v15, 1.0
	v_fma_f32 v15, -v19, v21, 1.0
	v_fmac_f32_e32 v21, v15, v21
	v_div_scale_f32 v15, vcc, 1.0, v14, 1.0
	v_mul_f32_e32 v18, v15, v21
	v_fma_f32 v20, -v19, v18, v15
	v_fmac_f32_e32 v18, v20, v21
	v_fma_f32 v15, -v19, v18, v15
	v_div_fmas_f32 v15, v15, v21, v18
	v_div_fixup_f32 v18, v15, v14, 1.0
	v_pk_add_f32 v[14:15], v[12:13], 1.0 op_sel_hi:[1,0]
	v_div_scale_f32 v19, s[0:1], v15, v15, 1.0
	v_rcp_f32_e32 v20, v19
	v_cmp_class_f32_e32 vcc, v17, v16
	v_cndmask_b32_e64 v13, v17, 0, vcc
	v_cmp_class_f32_e32 vcc, v18, v16
	v_fma_f32 v17, -v19, v20, 1.0
	v_cndmask_b32_e64 v12, v18, 0, vcc
	v_fmac_f32_e32 v20, v17, v20
	v_div_scale_f32 v17, vcc, 1.0, v15, 1.0
	v_mul_f32_e32 v18, v17, v20
	v_fma_f32 v21, -v19, v18, v17
	v_fmac_f32_e32 v18, v21, v20
	v_fma_f32 v17, -v19, v18, v17
	v_div_scale_f32 v19, s[0:1], v14, v14, 1.0
	v_rcp_f32_e32 v21, v19
	v_div_fmas_f32 v17, v17, v20, v18
	v_div_fixup_f32 v15, v17, v15, 1.0
	v_fma_f32 v17, -v19, v21, 1.0
	v_fmac_f32_e32 v21, v17, v21
	v_div_scale_f32 v17, vcc, 1.0, v14, 1.0
	v_mul_f32_e32 v18, v17, v21
	v_fma_f32 v20, -v19, v18, v17
	v_fmac_f32_e32 v18, v20, v21
	v_fma_f32 v17, -v19, v18, v17
	v_div_fmas_f32 v17, v17, v21, v18
	v_div_fixup_f32 v14, v17, v14, 1.0
	v_cmp_class_f32_e32 vcc, v15, v16
	v_cndmask_b32_e64 v15, v15, 0, vcc
	v_cmp_class_f32_e32 vcc, v14, v16
	v_cndmask_b32_e64 v14, v14, 0, vcc
	s_cbranch_scc1 .LBB268_31
; %bb.4:
	v_lshlrev_b32_e32 v32, 2, v38
	global_load_dwordx4 v[16:19], v32, s[8:9]
	global_load_dwordx4 v[20:23], v32, s[8:9] offset:16
	global_load_dwordx4 v[24:27], v32, s[8:9] offset:1024
	;; [unrolled: 1-line block ×3, first 2 shown]
	s_waitcnt vmcnt(3)
	v_pk_add_f32 v[16:17], v[16:17], v[0:1]
	v_pk_add_f32 v[18:19], v[18:19], v[2:3]
	s_waitcnt vmcnt(2)
	v_pk_add_f32 v[20:21], v[20:21], v[4:5]
	v_pk_add_f32 v[22:23], v[22:23], v[6:7]
	;; [unrolled: 3-line block ×4, first 2 shown]
	s_cbranch_execnz .LBB268_6
.LBB268_5:
	v_pk_mov_b32 v[30:31], v[14:15], v[14:15] op_sel:[0,1]
	v_pk_mov_b32 v[28:29], v[12:13], v[12:13] op_sel:[0,1]
	;; [unrolled: 1-line block ×8, first 2 shown]
.LBB268_6:
	s_load_dwordx4 s[8:11], s[4:5], 0x30
	s_mov_b32 s25, 0
	v_cmp_eq_u32_e64 s[0:1], 0, v37
	s_waitcnt lgkmcnt(0)
	s_bitcmp1_b32 s11, 0
	s_cselect_b64 vcc, -1, 0
	s_cmp_gt_i32 s8, 0
	s_cselect_b64 s[20:21], -1, 0
	s_cmp_lt_i32 s8, 1
	s_cbranch_scc1 .LBB268_32
; %bb.7:
	v_mbcnt_lo_u32_b32 v32, -1, 0
	v_mbcnt_hi_u32_b32 v32, -1, v32
	v_and_b32_e32 v34, 0x60, v32
	v_add_u32_e32 v34, 32, v34
	v_xor_b32_e32 v35, 16, v32
	v_cmp_lt_i32_e64 s[2:3], v35, v34
	v_cndmask_b32_e64 v35, v32, v35, s[2:3]
	v_lshlrev_b32_e32 v41, 2, v35
	v_xor_b32_e32 v35, 8, v32
	v_cmp_lt_i32_e64 s[2:3], v35, v34
	v_cndmask_b32_e64 v35, v32, v35, s[2:3]
	v_lshlrev_b32_e32 v42, 2, v35
	;; [unrolled: 4-line block ×3, first 2 shown]
	v_xor_b32_e32 v35, 2, v32
	v_cmp_lt_i32_e64 s[2:3], v35, v34
	s_load_dwordx4 s[12:15], s[4:5], 0x20
	v_cndmask_b32_e64 v35, v32, v35, s[2:3]
	v_lshlrev_b32_e32 v44, 2, v35
	v_xor_b32_e32 v35, 1, v32
	v_cmp_lt_i32_e64 s[2:3], v35, v34
	v_cndmask_b32_e64 v32, v32, v35, s[2:3]
	v_mul_lo_u32 v40, v33, s8
	v_lshlrev_b32_e32 v45, 2, v32
	v_mov_b32_e32 v39, 0
	v_mov_b32_e32 v46, 0x100
	;; [unrolled: 1-line block ×3, first 2 shown]
	v_bfrev_b32_e32 v48, 4.0
	v_bfrev_b32_e32 v49, -4.0
	v_mov_b32_e32 v50, 0x104
	v_mov_b32_e32 v51, 0x105
	;; [unrolled: 1-line block ×7, first 2 shown]
	s_branch .LBB268_10
.LBB268_8:                              ;   in Loop: Header=BB268_10 Depth=1
	s_or_b64 exec, exec, s[4:5]
.LBB268_9:                              ;   in Loop: Header=BB268_10 Depth=1
	s_cmp_eq_u32 s8, s25
	v_add_u32_e32 v56, s24, v56
	s_cbranch_scc1 .LBB268_33
.LBB268_10:                             ; =>This Inner Loop Header: Depth=1
	v_cmp_gt_f32_e64 s[2:3], v17, v16
	s_waitcnt lgkmcnt(0)
	v_cndmask_b32_e64 v35, v16, v17, s[2:3]
	v_cndmask_b32_e64 v32, 0, 1, s[2:3]
	v_cndmask_b32_e64 v34, v0, v1, s[2:3]
	v_cmp_gt_f32_e64 s[2:3], v18, v35
	v_cndmask_b32_e64 v35, v35, v18, s[2:3]
	v_cndmask_b32_e64 v32, v32, 2, s[2:3]
	v_cndmask_b32_e64 v34, v34, v2, s[2:3]
	v_cmp_gt_f32_e64 s[2:3], v19, v35
	;; [unrolled: 4-line block ×14, first 2 shown]
	v_cndmask_b32_e64 v32, v32, v53, s[2:3]
	v_cndmask_b32_e64 v57, v35, v31, s[2:3]
	v_or_b32_e32 v58, v38, v32
	v_cndmask_b32_e64 v32, v34, v15, s[2:3]
	ds_bpermute_b32 v60, v41, v57
	ds_bpermute_b32 v36, v41, v32
	;; [unrolled: 1-line block ×3, first 2 shown]
                                        ; implicit-def: $vgpr34_vgpr35
	s_waitcnt lgkmcnt(0)
	v_cmp_lt_f32_e64 s[6:7], v57, v60
	v_cmp_nlt_f32_e64 s[2:3], v57, v60
	s_and_saveexec_b64 s[22:23], s[2:3]
; %bb.11:                               ;   in Loop: Header=BB268_10 Depth=1
	v_cmp_eq_f32_e64 s[2:3], v57, v60
	v_cmp_lt_i32_e64 s[4:5], v59, v58
	s_and_b64 s[2:3], s[2:3], s[4:5]
	s_andn2_b64 s[4:5], s[6:7], exec
	s_and_b64 s[2:3], s[2:3], exec
	s_or_b64 s[6:7], s[4:5], s[2:3]
	v_pk_mov_b32 v[34:35], v[32:33], v[32:33] op_sel:[0,1]
; %bb.12:                               ;   in Loop: Header=BB268_10 Depth=1
	s_or_b64 exec, exec, s[22:23]
	s_and_saveexec_b64 s[2:3], s[6:7]
; %bb.13:                               ;   in Loop: Header=BB268_10 Depth=1
	v_mov_b32_e32 v57, v60
	v_mov_b32_e32 v32, v36
	;; [unrolled: 1-line block ×3, first 2 shown]
	v_pk_mov_b32 v[34:35], v[36:37], v[36:37] op_sel:[0,1]
; %bb.14:                               ;   in Loop: Header=BB268_10 Depth=1
	s_or_b64 exec, exec, s[2:3]
	ds_bpermute_b32 v59, v42, v57
	ds_bpermute_b32 v36, v42, v32
	;; [unrolled: 1-line block ×3, first 2 shown]
	s_waitcnt lgkmcnt(2)
	v_cmp_lt_f32_e64 s[6:7], v57, v59
	v_cmp_nlt_f32_e64 s[2:3], v57, v59
	s_and_saveexec_b64 s[22:23], s[2:3]
	s_cbranch_execz .LBB268_16
; %bb.15:                               ;   in Loop: Header=BB268_10 Depth=1
	v_cmp_eq_f32_e64 s[2:3], v57, v59
	s_waitcnt lgkmcnt(0)
	v_cmp_lt_i32_e64 s[4:5], v35, v58
	s_and_b64 s[2:3], s[2:3], s[4:5]
	s_andn2_b64 s[4:5], s[6:7], exec
	s_and_b64 s[2:3], s[2:3], exec
	s_or_b64 s[6:7], s[4:5], s[2:3]
.LBB268_16:                             ;   in Loop: Header=BB268_10 Depth=1
	s_or_b64 exec, exec, s[22:23]
	s_and_saveexec_b64 s[2:3], s[6:7]
	s_cbranch_execz .LBB268_18
; %bb.17:                               ;   in Loop: Header=BB268_10 Depth=1
	v_mov_b32_e32 v57, v59
	s_waitcnt lgkmcnt(1)
	v_mov_b32_e32 v32, v36
	s_waitcnt lgkmcnt(0)
	v_mov_b32_e32 v58, v35
	v_pk_mov_b32 v[34:35], v[36:37], v[36:37] op_sel:[0,1]
.LBB268_18:                             ;   in Loop: Header=BB268_10 Depth=1
	s_or_b64 exec, exec, s[2:3]
	ds_bpermute_b32 v59, v43, v57
	s_waitcnt lgkmcnt(2)
	ds_bpermute_b32 v36, v43, v32
	s_waitcnt lgkmcnt(2)
	ds_bpermute_b32 v35, v43, v58
	s_waitcnt lgkmcnt(2)
	v_cmp_lt_f32_e64 s[6:7], v57, v59
	v_cmp_nlt_f32_e64 s[2:3], v57, v59
	s_and_saveexec_b64 s[22:23], s[2:3]
	s_cbranch_execz .LBB268_20
; %bb.19:                               ;   in Loop: Header=BB268_10 Depth=1
	v_cmp_eq_f32_e64 s[2:3], v57, v59
	s_waitcnt lgkmcnt(0)
	v_cmp_lt_i32_e64 s[4:5], v35, v58
	s_and_b64 s[2:3], s[2:3], s[4:5]
	s_andn2_b64 s[4:5], s[6:7], exec
	s_and_b64 s[2:3], s[2:3], exec
	s_or_b64 s[6:7], s[4:5], s[2:3]
.LBB268_20:                             ;   in Loop: Header=BB268_10 Depth=1
	s_or_b64 exec, exec, s[22:23]
	s_and_saveexec_b64 s[2:3], s[6:7]
	s_cbranch_execz .LBB268_22
; %bb.21:                               ;   in Loop: Header=BB268_10 Depth=1
	v_mov_b32_e32 v57, v59
	s_waitcnt lgkmcnt(1)
	v_mov_b32_e32 v32, v36
	s_waitcnt lgkmcnt(0)
	v_mov_b32_e32 v58, v35
	v_pk_mov_b32 v[34:35], v[36:37], v[36:37] op_sel:[0,1]
.LBB268_22:                             ;   in Loop: Header=BB268_10 Depth=1
	s_or_b64 exec, exec, s[2:3]
	ds_bpermute_b32 v59, v44, v57
	s_waitcnt lgkmcnt(2)
	ds_bpermute_b32 v36, v44, v32
	s_waitcnt lgkmcnt(2)
	;; [unrolled: 2-line block ×3, first 2 shown]
	v_cmp_lt_f32_e64 s[6:7], v57, v59
	v_cmp_nlt_f32_e64 s[2:3], v57, v59
	s_and_saveexec_b64 s[22:23], s[2:3]
	s_cbranch_execz .LBB268_24
; %bb.23:                               ;   in Loop: Header=BB268_10 Depth=1
	v_cmp_eq_f32_e64 s[2:3], v57, v59
	s_waitcnt lgkmcnt(0)
	v_cmp_lt_i32_e64 s[4:5], v35, v58
	s_and_b64 s[2:3], s[2:3], s[4:5]
	s_andn2_b64 s[4:5], s[6:7], exec
	s_and_b64 s[2:3], s[2:3], exec
	s_or_b64 s[6:7], s[4:5], s[2:3]
.LBB268_24:                             ;   in Loop: Header=BB268_10 Depth=1
	s_or_b64 exec, exec, s[22:23]
	s_and_saveexec_b64 s[2:3], s[6:7]
	s_cbranch_execz .LBB268_26
; %bb.25:                               ;   in Loop: Header=BB268_10 Depth=1
	v_mov_b32_e32 v57, v59
	s_waitcnt lgkmcnt(1)
	v_mov_b32_e32 v32, v36
	s_waitcnt lgkmcnt(0)
	v_mov_b32_e32 v58, v35
	v_pk_mov_b32 v[34:35], v[36:37], v[36:37] op_sel:[0,1]
.LBB268_26:                             ;   in Loop: Header=BB268_10 Depth=1
	s_or_b64 exec, exec, s[2:3]
	s_waitcnt lgkmcnt(1)
	ds_bpermute_b32 v36, v45, v57
	ds_bpermute_b32 v59, v45, v58
	s_waitcnt lgkmcnt(2)
	ds_bpermute_b32 v35, v45, v32
	s_waitcnt lgkmcnt(2)
	v_cmp_eq_f32_e64 s[4:5], v57, v36
	s_waitcnt lgkmcnt(1)
	v_cmp_lt_i32_e64 s[6:7], v59, v58
	v_cmp_lt_f32_e64 s[2:3], v57, v36
	s_and_b64 s[4:5], s[4:5], s[6:7]
	s_or_b64 s[2:3], s[2:3], s[4:5]
	v_cndmask_b32_e64 v32, v58, v59, s[2:3]
	s_and_saveexec_b64 s[6:7], s[0:1]
	s_cbranch_execnz .LBB268_28
; %bb.27:                               ;   in Loop: Header=BB268_10 Depth=1
	s_or_b64 exec, exec, s[6:7]
	s_add_i32 s25, s25, 1
	s_cmp_ge_i32 s25, s8
	s_cbranch_scc1 .LBB268_9
	s_branch .LBB268_29
.LBB268_28:                             ;   in Loop: Header=BB268_10 Depth=1
	s_waitcnt lgkmcnt(0)
	v_cndmask_b32_e64 v36, v34, v35, s[2:3]
	v_add_u32_e32 v34, s25, v40
	v_ashrrev_i32_e32 v35, 31, v34
	v_cmp_le_i32_e64 s[2:3], s9, v32
	v_cmp_gt_i32_e64 s[4:5], s10, v32
	v_lshlrev_b64 v[34:35], 2, v[34:35]
	s_and_b64 s[4:5], s[2:3], s[4:5]
	v_mov_b32_e32 v57, s17
	v_add_co_u32_e64 v58, s[2:3], s16, v34
	v_addc_co_u32_e64 v59, s[2:3], v57, v35, s[2:3]
	v_subrev_u32_e32 v57, s9, v32
	s_and_b64 s[2:3], s[18:19], s[4:5]
	global_store_dword v[58:59], v36, off
	v_cndmask_b32_e64 v57, v54, v57, s[2:3]
	v_mov_b32_e32 v59, s13
	v_add_co_u32_e64 v58, s[2:3], s12, v34
	v_addc_co_u32_e64 v59, s[2:3], v59, v35, s[2:3]
	global_store_dword v[58:59], v57, off
	v_mov_b32_e32 v57, s15
	v_add_co_u32_e64 v34, s[2:3], s14, v34
	v_addc_co_u32_e64 v35, s[2:3], v57, v35, s[2:3]
	global_store_dword v[34:35], v56, off
	v_add_f32_e32 v34, v39, v36
	v_cndmask_b32_e32 v39, v39, v34, vcc
	s_or_b64 exec, exec, s[6:7]
	s_add_i32 s25, s25, 1
	s_cmp_ge_i32 s25, s8
	s_cbranch_scc1 .LBB268_9
.LBB268_29:                             ;   in Loop: Header=BB268_10 Depth=1
	v_ashrrev_i32_e32 v34, 31, v32
	s_waitcnt lgkmcnt(0)
	v_lshrrev_b32_e32 v35, 29, v34
	v_add_u32_e32 v36, v32, v35
	v_ashrrev_i32_e32 v35, 3, v36
	v_ashrrev_i32_e32 v36, 31, v36
	v_lshrrev_b32_e32 v36, 27, v36
	v_add_u32_e32 v36, v35, v36
	v_and_b32_e32 v36, 0xffffffe0, v36
	v_sub_u32_e32 v36, v35, v36
	v_cmp_eq_u32_e64 s[2:3], v37, v36
	s_and_saveexec_b64 s[4:5], s[2:3]
	s_cbranch_execz .LBB268_8
; %bb.30:                               ;   in Loop: Header=BB268_10 Depth=1
	v_add_u32_sdwa v34, v32, v34 dst_sel:DWORD dst_unused:UNUSED_PAD src0_sel:DWORD src1_sel:BYTE_3
	v_lshlrev_b32_e32 v35, 3, v35
	v_ashrrev_i32_e32 v34, 8, v34
	v_sub_u32_e32 v32, v32, v35
	v_lshl_add_u32 v32, v34, 3, v32
	v_cmp_ne_u32_e64 s[2:3], 15, v32
	v_cndmask_b32_e64 v31, v55, v31, s[2:3]
	v_cmp_ne_u32_e64 s[2:3], 14, v32
	v_cndmask_b32_e64 v30, v55, v30, s[2:3]
	;; [unrolled: 2-line block ×16, first 2 shown]
	s_branch .LBB268_8
.LBB268_31:
                                        ; implicit-def: $vgpr16_vgpr17_vgpr18_vgpr19_vgpr20_vgpr21_vgpr22_vgpr23_vgpr24_vgpr25_vgpr26_vgpr27_vgpr28_vgpr29_vgpr30_vgpr31
	s_andn2_b64 vcc, exec, s[6:7]
	s_cbranch_vccz .LBB268_5
	s_branch .LBB268_6
.LBB268_32:
	v_mov_b32_e32 v39, 0
.LBB268_33:
	v_cmp_eq_u32_e64 s[0:1], 0, v37
	s_and_b64 s[0:1], s[0:1], vcc
	s_and_b64 exec, exec, s[0:1]
	s_cbranch_execz .LBB268_42
; %bb.34:
	s_andn2_b64 vcc, exec, s[20:21]
	s_cbranch_vccnz .LBB268_42
; %bb.35:
	v_cmp_lt_f32_e32 vcc, 0, v39
	s_mov_b32 s2, 0
	v_cndmask_b32_e32 v0, 1.0, v39, vcc
	v_mul_lo_u32 v4, v33, s8
	s_cmp_eq_u32 s8, 1
	s_mov_b64 s[0:1], -1
	s_cbranch_scc1 .LBB268_39
; %bb.36:
	s_and_b32 s2, s8, 0x7ffffffe
	v_mov_b32_e32 v1, v0
	v_mov_b32_e32 v5, s17
	s_mov_b32 s3, s2
	v_mov_b32_e32 v2, v4
.LBB268_37:                             ; =>This Inner Loop Header: Depth=1
	v_ashrrev_i32_e32 v3, 31, v2
	v_lshlrev_b64 v[6:7], 2, v[2:3]
	v_add_co_u32_e32 v6, vcc, s16, v6
	v_addc_co_u32_e32 v7, vcc, v5, v7, vcc
	global_load_dwordx2 v[8:9], v[6:7], off
	s_add_i32 s3, s3, -2
	s_cmp_lg_u32 s3, 0
	v_add_u32_e32 v2, 2, v2
	s_waitcnt vmcnt(0)
	v_div_scale_f32 v3, s[0:1], v1, v1, v9
	v_div_scale_f32 v11, s[0:1], v0, v0, v8
	v_rcp_f32_e32 v12, v3
	v_rcp_f32_e32 v13, v11
	v_div_scale_f32 v10, vcc, v9, v1, v9
	v_fma_f32 v15, -v3, v12, 1.0
	v_fma_f32 v16, -v11, v13, 1.0
	v_fmac_f32_e32 v12, v15, v12
	v_div_scale_f32 v14, s[0:1], v8, v0, v8
	v_fmac_f32_e32 v13, v16, v13
	v_mul_f32_e32 v15, v10, v12
	v_mul_f32_e32 v16, v14, v13
	v_fma_f32 v17, -v3, v15, v10
	v_fma_f32 v18, -v11, v16, v14
	v_fmac_f32_e32 v15, v17, v12
	v_fmac_f32_e32 v16, v18, v13
	v_fma_f32 v3, -v3, v15, v10
	v_fma_f32 v10, -v11, v16, v14
	v_div_fmas_f32 v3, v3, v12, v15
	s_mov_b64 vcc, s[0:1]
	v_div_fixup_f32 v9, v3, v1, v9
	v_div_fmas_f32 v3, v10, v13, v16
	v_div_fixup_f32 v8, v3, v0, v8
	global_store_dwordx2 v[6:7], v[8:9], off
	s_cbranch_scc1 .LBB268_37
; %bb.38:
	s_cmp_lg_u32 s2, s8
	s_cselect_b64 s[0:1], -1, 0
.LBB268_39:
	s_and_b64 vcc, exec, s[0:1]
	s_cbranch_vccz .LBB268_42
; %bb.40:
	v_ashrrev_i32_e32 v1, 31, v4
	v_add_co_u32_e32 v2, vcc, s2, v4
	v_addc_co_u32_e32 v3, vcc, 0, v1, vcc
	v_lshlrev_b64 v[2:3], 2, v[2:3]
	v_mov_b32_e32 v1, s17
	v_add_co_u32_e32 v2, vcc, s16, v2
	s_sub_i32 s0, s8, s2
	v_addc_co_u32_e32 v3, vcc, v1, v3, vcc
.LBB268_41:                             ; =>This Inner Loop Header: Depth=1
	global_load_dword v1, v[2:3], off
	s_add_i32 s0, s0, -1
	s_cmp_lg_u32 s0, 0
	s_waitcnt vmcnt(0)
	v_div_scale_f32 v4, s[2:3], v0, v0, v1
	v_rcp_f32_e32 v5, v4
	v_div_scale_f32 v6, vcc, v1, v0, v1
	v_fma_f32 v7, -v4, v5, 1.0
	v_fmac_f32_e32 v5, v7, v5
	v_mul_f32_e32 v7, v6, v5
	v_fma_f32 v8, -v4, v7, v6
	v_fmac_f32_e32 v7, v8, v5
	v_fma_f32 v4, -v4, v7, v6
	v_div_fmas_f32 v4, v4, v5, v7
	v_div_fixup_f32 v1, v4, v0, v1
	global_store_dword v[2:3], v1, off
	v_add_co_u32_e32 v2, vcc, 4, v2
	v_addc_co_u32_e32 v3, vcc, 0, v3, vcc
	s_cbranch_scc1 .LBB268_41
.LBB268_42:
	s_endpgm
	.section	.rodata,"a",@progbits
	.p2align	6, 0x0
	.amdhsa_kernel _ZN4vllm3moe10topkGatingILi16ELi512ELi4ELi16ELi32Ei6__halfLNS0_11ScoringFuncE1EEEvPKT5_PKbPfiPT4_PiiiibPKf
		.amdhsa_group_segment_fixed_size 0
		.amdhsa_private_segment_fixed_size 0
		.amdhsa_kernarg_size 72
		.amdhsa_user_sgpr_count 6
		.amdhsa_user_sgpr_private_segment_buffer 1
		.amdhsa_user_sgpr_dispatch_ptr 0
		.amdhsa_user_sgpr_queue_ptr 0
		.amdhsa_user_sgpr_kernarg_segment_ptr 1
		.amdhsa_user_sgpr_dispatch_id 0
		.amdhsa_user_sgpr_flat_scratch_init 0
		.amdhsa_user_sgpr_kernarg_preload_length 0
		.amdhsa_user_sgpr_kernarg_preload_offset 0
		.amdhsa_user_sgpr_private_segment_size 0
		.amdhsa_uses_dynamic_stack 0
		.amdhsa_system_sgpr_private_segment_wavefront_offset 0
		.amdhsa_system_sgpr_workgroup_id_x 1
		.amdhsa_system_sgpr_workgroup_id_y 0
		.amdhsa_system_sgpr_workgroup_id_z 0
		.amdhsa_system_sgpr_workgroup_info 0
		.amdhsa_system_vgpr_workitem_id 1
		.amdhsa_next_free_vgpr 61
		.amdhsa_next_free_sgpr 26
		.amdhsa_accum_offset 64
		.amdhsa_reserve_vcc 1
		.amdhsa_reserve_flat_scratch 0
		.amdhsa_float_round_mode_32 0
		.amdhsa_float_round_mode_16_64 0
		.amdhsa_float_denorm_mode_32 3
		.amdhsa_float_denorm_mode_16_64 3
		.amdhsa_dx10_clamp 1
		.amdhsa_ieee_mode 1
		.amdhsa_fp16_overflow 0
		.amdhsa_tg_split 0
		.amdhsa_exception_fp_ieee_invalid_op 0
		.amdhsa_exception_fp_denorm_src 0
		.amdhsa_exception_fp_ieee_div_zero 0
		.amdhsa_exception_fp_ieee_overflow 0
		.amdhsa_exception_fp_ieee_underflow 0
		.amdhsa_exception_fp_ieee_inexact 0
		.amdhsa_exception_int_div_zero 0
	.end_amdhsa_kernel
	.section	.text._ZN4vllm3moe10topkGatingILi16ELi512ELi4ELi16ELi32Ei6__halfLNS0_11ScoringFuncE1EEEvPKT5_PKbPfiPT4_PiiiibPKf,"axG",@progbits,_ZN4vllm3moe10topkGatingILi16ELi512ELi4ELi16ELi32Ei6__halfLNS0_11ScoringFuncE1EEEvPKT5_PKbPfiPT4_PiiiibPKf,comdat
.Lfunc_end268:
	.size	_ZN4vllm3moe10topkGatingILi16ELi512ELi4ELi16ELi32Ei6__halfLNS0_11ScoringFuncE1EEEvPKT5_PKbPfiPT4_PiiiibPKf, .Lfunc_end268-_ZN4vllm3moe10topkGatingILi16ELi512ELi4ELi16ELi32Ei6__halfLNS0_11ScoringFuncE1EEEvPKT5_PKbPfiPT4_PiiiibPKf
                                        ; -- End function
	.section	.AMDGPU.csdata,"",@progbits
; Kernel info:
; codeLenInByte = 4556
; NumSgprs: 30
; NumVgprs: 61
; NumAgprs: 0
; TotalNumVgprs: 61
; ScratchSize: 0
; MemoryBound: 0
; FloatMode: 240
; IeeeMode: 1
; LDSByteSize: 0 bytes/workgroup (compile time only)
; SGPRBlocks: 3
; VGPRBlocks: 7
; NumSGPRsForWavesPerEU: 30
; NumVGPRsForWavesPerEU: 61
; AccumOffset: 64
; Occupancy: 8
; WaveLimiterHint : 1
; COMPUTE_PGM_RSRC2:SCRATCH_EN: 0
; COMPUTE_PGM_RSRC2:USER_SGPR: 6
; COMPUTE_PGM_RSRC2:TRAP_HANDLER: 0
; COMPUTE_PGM_RSRC2:TGID_X_EN: 1
; COMPUTE_PGM_RSRC2:TGID_Y_EN: 0
; COMPUTE_PGM_RSRC2:TGID_Z_EN: 0
; COMPUTE_PGM_RSRC2:TIDIG_COMP_CNT: 1
; COMPUTE_PGM_RSRC3_GFX90A:ACCUM_OFFSET: 15
; COMPUTE_PGM_RSRC3_GFX90A:TG_SPLIT: 0
	.section	.text._ZN4vllm3moe10moeSigmoidILi256E6__halfEEvPKT0_PKbPfi,"axG",@progbits,_ZN4vllm3moe10moeSigmoidILi256E6__halfEEvPKT0_PKbPfi,comdat
	.protected	_ZN4vllm3moe10moeSigmoidILi256E6__halfEEvPKT0_PKbPfi ; -- Begin function _ZN4vllm3moe10moeSigmoidILi256E6__halfEEvPKT0_PKbPfi
	.globl	_ZN4vllm3moe10moeSigmoidILi256E6__halfEEvPKT0_PKbPfi
	.p2align	8
	.type	_ZN4vllm3moe10moeSigmoidILi256E6__halfEEvPKT0_PKbPfi,@function
_ZN4vllm3moe10moeSigmoidILi256E6__halfEEvPKT0_PKbPfi: ; @_ZN4vllm3moe10moeSigmoidILi256E6__halfEEvPKT0_PKbPfi
; %bb.0:
	s_load_dwordx4 s[8:11], s[4:5], 0x0
	s_load_dword s7, s[4:5], 0x18
	s_mov_b64 s[12:13], 0
	s_waitcnt lgkmcnt(0)
	s_cmp_eq_u64 s[10:11], 0
	v_cmp_gt_i32_e64 s[0:1], s7, v0
	s_cbranch_scc1 .LBB269_7
; %bb.1:
	v_mov_b32_e32 v1, s6
	global_load_ubyte v1, v1, s[10:11]
	s_waitcnt vmcnt(0)
	v_and_b32_e32 v1, 1, v1
	v_cmp_eq_u32_e32 vcc, 1, v1
	s_xor_b64 s[2:3], vcc, -1
	s_and_b64 s[2:3], s[0:1], s[2:3]
	s_and_b64 s[2:3], s[2:3], exec
	s_andn2_b64 vcc, exec, s[12:13]
	s_cbranch_vccnz .LBB269_3
.LBB269_2:
	s_andn2_b64 s[2:3], s[2:3], exec
	s_and_b64 s[0:1], s[0:1], exec
	s_or_b64 s[2:3], s[2:3], s[0:1]
.LBB269_3:
	s_and_saveexec_b64 s[0:1], s[2:3]
	s_cbranch_execz .LBB269_6
; %bb.4:
	s_mul_i32 s6, s6, s7
	s_ashr_i32 s2, s6, 31
	s_load_dwordx2 s[0:1], s[4:5], 0x10
	v_mov_b32_e32 v1, s2
	v_add_co_u32_e32 v4, vcc, s6, v0
	v_addc_co_u32_e32 v5, vcc, 0, v1, vcc
	v_lshlrev_b64 v[2:3], 1, v[4:5]
	v_mov_b32_e32 v1, s9
	v_add_co_u32_e32 v2, vcc, s8, v2
	v_addc_co_u32_e32 v3, vcc, v1, v3, vcc
	v_lshlrev_b64 v[4:5], 2, v[4:5]
	s_waitcnt lgkmcnt(0)
	v_mov_b32_e32 v1, s1
	v_add_co_u32_e32 v4, vcc, s0, v4
	v_addc_co_u32_e32 v5, vcc, v1, v5, vcc
	s_mov_b64 s[0:1], 0
	s_movk_i32 s2, 0x1f8
.LBB269_5:                              ; =>This Inner Loop Header: Depth=1
	global_load_ushort v1, v[2:3], off
	v_add_u32_e32 v0, 0x100, v0
	v_cmp_le_i32_e32 vcc, s7, v0
	s_or_b64 s[0:1], vcc, s[0:1]
	s_waitcnt vmcnt(0)
	v_cvt_f32_f16_e32 v1, v1
	v_mul_f32_e32 v1, 0xbfb8aa3b, v1
	v_exp_f32_e32 v1, v1
	v_add_f32_e32 v1, 1.0, v1
	v_div_scale_f32 v6, s[4:5], v1, v1, 1.0
	v_rcp_f32_e32 v8, v6
	v_div_scale_f32 v7, vcc, 1.0, v1, 1.0
	v_fma_f32 v9, -v6, v8, 1.0
	v_fmac_f32_e32 v8, v9, v8
	v_mul_f32_e32 v9, v7, v8
	v_fma_f32 v10, -v6, v9, v7
	v_fmac_f32_e32 v9, v10, v8
	v_fma_f32 v6, -v6, v9, v7
	v_div_fmas_f32 v6, v6, v8, v9
	v_add_co_u32_e32 v2, vcc, 0x200, v2
	v_div_fixup_f32 v1, v6, v1, 1.0
	v_addc_co_u32_e32 v3, vcc, 0, v3, vcc
	v_cmp_class_f32_e64 vcc, v1, s2
	v_cndmask_b32_e32 v1, 0, v1, vcc
	global_store_dword v[4:5], v1, off
	v_add_co_u32_e32 v4, vcc, 0x400, v4
	v_addc_co_u32_e32 v5, vcc, 0, v5, vcc
	s_andn2_b64 exec, exec, s[0:1]
	s_cbranch_execnz .LBB269_5
.LBB269_6:
	s_endpgm
.LBB269_7:
	s_mov_b64 s[2:3], 0
	s_branch .LBB269_2
	.section	.rodata,"a",@progbits
	.p2align	6, 0x0
	.amdhsa_kernel _ZN4vllm3moe10moeSigmoidILi256E6__halfEEvPKT0_PKbPfi
		.amdhsa_group_segment_fixed_size 0
		.amdhsa_private_segment_fixed_size 0
		.amdhsa_kernarg_size 28
		.amdhsa_user_sgpr_count 6
		.amdhsa_user_sgpr_private_segment_buffer 1
		.amdhsa_user_sgpr_dispatch_ptr 0
		.amdhsa_user_sgpr_queue_ptr 0
		.amdhsa_user_sgpr_kernarg_segment_ptr 1
		.amdhsa_user_sgpr_dispatch_id 0
		.amdhsa_user_sgpr_flat_scratch_init 0
		.amdhsa_user_sgpr_kernarg_preload_length 0
		.amdhsa_user_sgpr_kernarg_preload_offset 0
		.amdhsa_user_sgpr_private_segment_size 0
		.amdhsa_uses_dynamic_stack 0
		.amdhsa_system_sgpr_private_segment_wavefront_offset 0
		.amdhsa_system_sgpr_workgroup_id_x 1
		.amdhsa_system_sgpr_workgroup_id_y 0
		.amdhsa_system_sgpr_workgroup_id_z 0
		.amdhsa_system_sgpr_workgroup_info 0
		.amdhsa_system_vgpr_workitem_id 0
		.amdhsa_next_free_vgpr 11
		.amdhsa_next_free_sgpr 14
		.amdhsa_accum_offset 12
		.amdhsa_reserve_vcc 1
		.amdhsa_reserve_flat_scratch 0
		.amdhsa_float_round_mode_32 0
		.amdhsa_float_round_mode_16_64 0
		.amdhsa_float_denorm_mode_32 3
		.amdhsa_float_denorm_mode_16_64 3
		.amdhsa_dx10_clamp 1
		.amdhsa_ieee_mode 1
		.amdhsa_fp16_overflow 0
		.amdhsa_tg_split 0
		.amdhsa_exception_fp_ieee_invalid_op 0
		.amdhsa_exception_fp_denorm_src 0
		.amdhsa_exception_fp_ieee_div_zero 0
		.amdhsa_exception_fp_ieee_overflow 0
		.amdhsa_exception_fp_ieee_underflow 0
		.amdhsa_exception_fp_ieee_inexact 0
		.amdhsa_exception_int_div_zero 0
	.end_amdhsa_kernel
	.section	.text._ZN4vllm3moe10moeSigmoidILi256E6__halfEEvPKT0_PKbPfi,"axG",@progbits,_ZN4vllm3moe10moeSigmoidILi256E6__halfEEvPKT0_PKbPfi,comdat
.Lfunc_end269:
	.size	_ZN4vllm3moe10moeSigmoidILi256E6__halfEEvPKT0_PKbPfi, .Lfunc_end269-_ZN4vllm3moe10moeSigmoidILi256E6__halfEEvPKT0_PKbPfi
                                        ; -- End function
	.section	.AMDGPU.csdata,"",@progbits
; Kernel info:
; codeLenInByte = 368
; NumSgprs: 18
; NumVgprs: 11
; NumAgprs: 0
; TotalNumVgprs: 11
; ScratchSize: 0
; MemoryBound: 0
; FloatMode: 240
; IeeeMode: 1
; LDSByteSize: 0 bytes/workgroup (compile time only)
; SGPRBlocks: 2
; VGPRBlocks: 1
; NumSGPRsForWavesPerEU: 18
; NumVGPRsForWavesPerEU: 11
; AccumOffset: 12
; Occupancy: 8
; WaveLimiterHint : 0
; COMPUTE_PGM_RSRC2:SCRATCH_EN: 0
; COMPUTE_PGM_RSRC2:USER_SGPR: 6
; COMPUTE_PGM_RSRC2:TRAP_HANDLER: 0
; COMPUTE_PGM_RSRC2:TGID_X_EN: 1
; COMPUTE_PGM_RSRC2:TGID_Y_EN: 0
; COMPUTE_PGM_RSRC2:TGID_Z_EN: 0
; COMPUTE_PGM_RSRC2:TIDIG_COMP_CNT: 0
; COMPUTE_PGM_RSRC3_GFX90A:ACCUM_OFFSET: 2
; COMPUTE_PGM_RSRC3_GFX90A:TG_SPLIT: 0
	.section	.text._ZN4vllm3moe10topkGatingILi1ELi1ELi4ELi2ELi64Ej6__halfLNS0_11ScoringFuncE1EEEvPKT5_PKbPfiPT4_PiiiibPKf,"axG",@progbits,_ZN4vllm3moe10topkGatingILi1ELi1ELi4ELi2ELi64Ej6__halfLNS0_11ScoringFuncE1EEEvPKT5_PKbPfiPT4_PiiiibPKf,comdat
	.protected	_ZN4vllm3moe10topkGatingILi1ELi1ELi4ELi2ELi64Ej6__halfLNS0_11ScoringFuncE1EEEvPKT5_PKbPfiPT4_PiiiibPKf ; -- Begin function _ZN4vllm3moe10topkGatingILi1ELi1ELi4ELi2ELi64Ej6__halfLNS0_11ScoringFuncE1EEEvPKT5_PKbPfiPT4_PiiiibPKf
	.globl	_ZN4vllm3moe10topkGatingILi1ELi1ELi4ELi2ELi64Ej6__halfLNS0_11ScoringFuncE1EEEvPKT5_PKbPfiPT4_PiiiibPKf
	.p2align	8
	.type	_ZN4vllm3moe10topkGatingILi1ELi1ELi4ELi2ELi64Ej6__halfLNS0_11ScoringFuncE1EEEvPKT5_PKbPfiPT4_PiiiibPKf,@function
_ZN4vllm3moe10topkGatingILi1ELi1ELi4ELi2ELi64Ej6__halfLNS0_11ScoringFuncE1EEEvPKT5_PKbPfiPT4_PiiiibPKf: ; @_ZN4vllm3moe10topkGatingILi1ELi1ELi4ELi2ELi64Ej6__halfLNS0_11ScoringFuncE1EEEvPKT5_PKbPfiPT4_PiiiibPKf
; %bb.0:
	s_load_dword s18, s[4:5], 0x18
	v_bfe_u32 v1, v0, 10, 10
	s_lshl_b32 s0, s6, 8
	v_lshlrev_b32_e32 v1, 6, v1
	v_and_b32_e32 v0, 0x3ff, v0
	v_add3_u32 v0, v1, v0, s0
	s_waitcnt lgkmcnt(0)
	v_cmp_gt_i32_e32 vcc, s18, v0
	s_and_saveexec_b64 s[0:1], vcc
	s_cbranch_execz .LBB270_17
; %bb.1:
	s_load_dwordx4 s[12:15], s[4:5], 0x0
	s_load_dwordx2 s[2:3], s[4:5], 0x10
	v_ashrrev_i32_e32 v1, 31, v0
	s_waitcnt lgkmcnt(0)
	s_cmp_eq_u64 s[14:15], 0
	s_cbranch_scc1 .LBB270_3
; %bb.2:
	v_mov_b32_e32 v3, s15
	v_add_co_u32_e32 v2, vcc, s14, v0
	v_addc_co_u32_e32 v3, vcc, v3, v1, vcc
	global_load_ubyte v2, v[2:3], off
	s_waitcnt vmcnt(0)
	v_and_b32_e32 v2, 1, v2
	v_cmp_eq_u32_e32 vcc, 1, v2
	s_xor_b64 s[0:1], vcc, -1
	s_orn2_b64 s[16:17], s[0:1], exec
	s_branch .LBB270_4
.LBB270_3:
	s_mov_b64 s[16:17], -1
.LBB270_4:
	s_load_dwordx4 s[8:11], s[4:5], 0x30
	s_waitcnt lgkmcnt(0)
	s_bitcmp1_b32 s11, 0
	s_cselect_b64 s[0:1], -1, 0
	s_cmp_gt_i32 s8, 0
	s_cselect_b64 s[14:15], -1, 0
	s_cmp_lt_i32 s8, 1
	s_cbranch_scc1 .LBB270_8
; %bb.5:
	v_lshlrev_b64 v[2:3], 1, v[0:1]
	v_mov_b32_e32 v1, s13
	v_add_co_u32_e32 v2, vcc, s12, v2
	v_addc_co_u32_e32 v3, vcc, v1, v3, vcc
	global_load_ushort v4, v[2:3], off
	v_mul_lo_u32 v2, v0, s8
	s_load_dwordx4 s[4:7], s[4:5], 0x20
	s_cmp_lt_i32 s9, 1
	v_ashrrev_i32_e32 v3, 31, v2
	s_cselect_b64 s[12:13], -1, 0
	s_cmp_gt_i32 s10, 0
	v_lshlrev_b64 v[6:7], 2, v[2:3]
	v_mov_b32_e32 v5, s3
	s_cselect_b64 s[10:11], -1, 0
	v_add_co_u32_e32 v2, vcc, s2, v6
	s_sub_i32 s9, 0, s9
	s_and_b64 s[10:11], s[12:13], s[10:11]
	v_addc_co_u32_e32 v3, vcc, v5, v7, vcc
	v_mov_b32_e32 v9, s9
	s_and_b64 vcc, s[16:17], s[10:11]
	v_cndmask_b32_e32 v9, 1, v9, vcc
	s_waitcnt lgkmcnt(0)
	v_mov_b32_e32 v5, s5
	v_mov_b32_e32 v10, s7
	s_movk_i32 s19, 0x1f8
	v_mov_b32_e32 v1, 0
	v_mov_b32_e32 v8, v0
	s_waitcnt vmcnt(0)
	v_cvt_f32_f16_e32 v4, v4
	v_mul_f32_e32 v4, 0xbfb8aa3b, v4
	v_exp_f32_e32 v11, v4
	v_add_co_u32_e32 v4, vcc, s4, v6
	v_addc_co_u32_e32 v5, vcc, v5, v7, vcc
	v_add_f32_e32 v11, 1.0, v11
	v_div_scale_f32 v12, s[4:5], v11, v11, 1.0
	v_rcp_f32_e32 v13, v12
	v_add_co_u32_e32 v6, vcc, s6, v6
	v_addc_co_u32_e32 v7, vcc, v10, v7, vcc
	v_fma_f32 v14, -v12, v13, 1.0
	v_div_scale_f32 v10, vcc, 1.0, v11, 1.0
	v_fmac_f32_e32 v13, v14, v13
	v_mul_f32_e32 v14, v10, v13
	v_fma_f32 v15, -v12, v14, v10
	v_fmac_f32_e32 v14, v15, v13
	v_fma_f32 v10, -v12, v14, v10
	v_div_fmas_f32 v10, v10, v13, v14
	v_div_fixup_f32 v10, v10, v11, 1.0
	v_cmp_class_f32_e64 vcc, v10, s19
	v_cndmask_b32_e32 v10, 0, v10, vcc
	s_mov_b32 s4, s8
.LBB270_6:                              ; =>This Inner Loop Header: Depth=1
	global_store_dword v[2:3], v10, off
	global_store_dword v[4:5], v9, off
	;; [unrolled: 1-line block ×3, first 2 shown]
	v_add_co_u32_e32 v2, vcc, 4, v2
	v_addc_co_u32_e32 v3, vcc, 0, v3, vcc
	v_add_co_u32_e32 v4, vcc, 4, v4
	v_addc_co_u32_e32 v5, vcc, 0, v5, vcc
	v_add_f32_e32 v11, v1, v10
	s_add_i32 s4, s4, -1
	v_add_co_u32_e32 v6, vcc, 4, v6
	v_cndmask_b32_e64 v1, v1, v11, s[0:1]
	v_add_u32_e32 v8, s18, v8
	s_cmp_lg_u32 s4, 0
	v_addc_co_u32_e32 v7, vcc, 0, v7, vcc
	s_cbranch_scc1 .LBB270_6
; %bb.7:
	s_andn2_b64 vcc, exec, s[0:1]
	s_cbranch_vccz .LBB270_9
	s_branch .LBB270_17
.LBB270_8:
	v_mov_b32_e32 v1, 0
	s_andn2_b64 vcc, exec, s[0:1]
	s_cbranch_vccnz .LBB270_17
.LBB270_9:
	s_andn2_b64 vcc, exec, s[14:15]
	s_cbranch_vccnz .LBB270_17
; %bb.10:
	v_cmp_lt_f32_e32 vcc, 0, v1
	s_mov_b32 s4, 0
	v_cndmask_b32_e32 v2, 1.0, v1, vcc
	v_mul_lo_u32 v0, v0, s8
	s_cmp_eq_u32 s8, 1
	s_mov_b64 s[0:1], -1
	s_cbranch_scc1 .LBB270_14
; %bb.11:
	s_and_b32 s4, s8, 0x7ffffffe
	v_mov_b32_e32 v1, v2
	v_mov_b32_e32 v3, s3
	s_mov_b32 s5, s4
	v_mov_b32_e32 v4, v0
.LBB270_12:                             ; =>This Inner Loop Header: Depth=1
	v_ashrrev_i32_e32 v5, 31, v4
	v_lshlrev_b64 v[6:7], 2, v[4:5]
	v_add_co_u32_e32 v6, vcc, s2, v6
	v_addc_co_u32_e32 v7, vcc, v3, v7, vcc
	global_load_dwordx2 v[8:9], v[6:7], off
	s_add_i32 s5, s5, -2
	s_cmp_lg_u32 s5, 0
	v_add_u32_e32 v4, 2, v4
	s_waitcnt vmcnt(0)
	v_div_scale_f32 v5, s[0:1], v1, v1, v9
	v_div_scale_f32 v11, s[0:1], v2, v2, v8
	v_rcp_f32_e32 v12, v5
	v_rcp_f32_e32 v13, v11
	v_div_scale_f32 v10, vcc, v9, v1, v9
	v_fma_f32 v15, -v5, v12, 1.0
	v_fma_f32 v16, -v11, v13, 1.0
	v_fmac_f32_e32 v12, v15, v12
	v_div_scale_f32 v14, s[0:1], v8, v2, v8
	v_fmac_f32_e32 v13, v16, v13
	v_mul_f32_e32 v15, v10, v12
	v_mul_f32_e32 v16, v14, v13
	v_fma_f32 v17, -v5, v15, v10
	v_fma_f32 v18, -v11, v16, v14
	v_fmac_f32_e32 v15, v17, v12
	v_fmac_f32_e32 v16, v18, v13
	v_fma_f32 v5, -v5, v15, v10
	v_fma_f32 v10, -v11, v16, v14
	v_div_fmas_f32 v5, v5, v12, v15
	s_mov_b64 vcc, s[0:1]
	v_div_fixup_f32 v9, v5, v1, v9
	v_div_fmas_f32 v5, v10, v13, v16
	v_div_fixup_f32 v8, v5, v2, v8
	global_store_dwordx2 v[6:7], v[8:9], off
	s_cbranch_scc1 .LBB270_12
; %bb.13:
	s_cmp_lg_u32 s4, s8
	s_cselect_b64 s[0:1], -1, 0
.LBB270_14:
	s_and_b64 vcc, exec, s[0:1]
	s_cbranch_vccz .LBB270_17
; %bb.15:
	v_ashrrev_i32_e32 v1, 31, v0
	v_add_co_u32_e32 v0, vcc, s4, v0
	v_addc_co_u32_e32 v1, vcc, 0, v1, vcc
	v_lshlrev_b64 v[0:1], 2, v[0:1]
	v_mov_b32_e32 v3, s3
	v_add_co_u32_e32 v0, vcc, s2, v0
	s_sub_i32 s0, s8, s4
	v_addc_co_u32_e32 v1, vcc, v3, v1, vcc
.LBB270_16:                             ; =>This Inner Loop Header: Depth=1
	global_load_dword v3, v[0:1], off
	s_add_i32 s0, s0, -1
	s_cmp_lg_u32 s0, 0
	s_waitcnt vmcnt(0)
	v_div_scale_f32 v4, s[2:3], v2, v2, v3
	v_rcp_f32_e32 v5, v4
	v_div_scale_f32 v6, vcc, v3, v2, v3
	v_fma_f32 v7, -v4, v5, 1.0
	v_fmac_f32_e32 v5, v7, v5
	v_mul_f32_e32 v7, v6, v5
	v_fma_f32 v8, -v4, v7, v6
	v_fmac_f32_e32 v7, v8, v5
	v_fma_f32 v4, -v4, v7, v6
	v_div_fmas_f32 v4, v4, v5, v7
	v_div_fixup_f32 v3, v4, v2, v3
	global_store_dword v[0:1], v3, off
	v_add_co_u32_e32 v0, vcc, 4, v0
	v_addc_co_u32_e32 v1, vcc, 0, v1, vcc
	s_cbranch_scc1 .LBB270_16
.LBB270_17:
	s_endpgm
	.section	.rodata,"a",@progbits
	.p2align	6, 0x0
	.amdhsa_kernel _ZN4vllm3moe10topkGatingILi1ELi1ELi4ELi2ELi64Ej6__halfLNS0_11ScoringFuncE1EEEvPKT5_PKbPfiPT4_PiiiibPKf
		.amdhsa_group_segment_fixed_size 0
		.amdhsa_private_segment_fixed_size 0
		.amdhsa_kernarg_size 72
		.amdhsa_user_sgpr_count 6
		.amdhsa_user_sgpr_private_segment_buffer 1
		.amdhsa_user_sgpr_dispatch_ptr 0
		.amdhsa_user_sgpr_queue_ptr 0
		.amdhsa_user_sgpr_kernarg_segment_ptr 1
		.amdhsa_user_sgpr_dispatch_id 0
		.amdhsa_user_sgpr_flat_scratch_init 0
		.amdhsa_user_sgpr_kernarg_preload_length 0
		.amdhsa_user_sgpr_kernarg_preload_offset 0
		.amdhsa_user_sgpr_private_segment_size 0
		.amdhsa_uses_dynamic_stack 0
		.amdhsa_system_sgpr_private_segment_wavefront_offset 0
		.amdhsa_system_sgpr_workgroup_id_x 1
		.amdhsa_system_sgpr_workgroup_id_y 0
		.amdhsa_system_sgpr_workgroup_id_z 0
		.amdhsa_system_sgpr_workgroup_info 0
		.amdhsa_system_vgpr_workitem_id 1
		.amdhsa_next_free_vgpr 19
		.amdhsa_next_free_sgpr 20
		.amdhsa_accum_offset 20
		.amdhsa_reserve_vcc 1
		.amdhsa_reserve_flat_scratch 0
		.amdhsa_float_round_mode_32 0
		.amdhsa_float_round_mode_16_64 0
		.amdhsa_float_denorm_mode_32 3
		.amdhsa_float_denorm_mode_16_64 3
		.amdhsa_dx10_clamp 1
		.amdhsa_ieee_mode 1
		.amdhsa_fp16_overflow 0
		.amdhsa_tg_split 0
		.amdhsa_exception_fp_ieee_invalid_op 0
		.amdhsa_exception_fp_denorm_src 0
		.amdhsa_exception_fp_ieee_div_zero 0
		.amdhsa_exception_fp_ieee_overflow 0
		.amdhsa_exception_fp_ieee_underflow 0
		.amdhsa_exception_fp_ieee_inexact 0
		.amdhsa_exception_int_div_zero 0
	.end_amdhsa_kernel
	.section	.text._ZN4vllm3moe10topkGatingILi1ELi1ELi4ELi2ELi64Ej6__halfLNS0_11ScoringFuncE1EEEvPKT5_PKbPfiPT4_PiiiibPKf,"axG",@progbits,_ZN4vllm3moe10topkGatingILi1ELi1ELi4ELi2ELi64Ej6__halfLNS0_11ScoringFuncE1EEEvPKT5_PKbPfiPT4_PiiiibPKf,comdat
.Lfunc_end270:
	.size	_ZN4vllm3moe10topkGatingILi1ELi1ELi4ELi2ELi64Ej6__halfLNS0_11ScoringFuncE1EEEvPKT5_PKbPfiPT4_PiiiibPKf, .Lfunc_end270-_ZN4vllm3moe10topkGatingILi1ELi1ELi4ELi2ELi64Ej6__halfLNS0_11ScoringFuncE1EEEvPKT5_PKbPfiPT4_PiiiibPKf
                                        ; -- End function
	.section	.AMDGPU.csdata,"",@progbits
; Kernel info:
; codeLenInByte = 964
; NumSgprs: 24
; NumVgprs: 19
; NumAgprs: 0
; TotalNumVgprs: 19
; ScratchSize: 0
; MemoryBound: 0
; FloatMode: 240
; IeeeMode: 1
; LDSByteSize: 0 bytes/workgroup (compile time only)
; SGPRBlocks: 2
; VGPRBlocks: 2
; NumSGPRsForWavesPerEU: 24
; NumVGPRsForWavesPerEU: 19
; AccumOffset: 20
; Occupancy: 8
; WaveLimiterHint : 0
; COMPUTE_PGM_RSRC2:SCRATCH_EN: 0
; COMPUTE_PGM_RSRC2:USER_SGPR: 6
; COMPUTE_PGM_RSRC2:TRAP_HANDLER: 0
; COMPUTE_PGM_RSRC2:TGID_X_EN: 1
; COMPUTE_PGM_RSRC2:TGID_Y_EN: 0
; COMPUTE_PGM_RSRC2:TGID_Z_EN: 0
; COMPUTE_PGM_RSRC2:TIDIG_COMP_CNT: 1
; COMPUTE_PGM_RSRC3_GFX90A:ACCUM_OFFSET: 4
; COMPUTE_PGM_RSRC3_GFX90A:TG_SPLIT: 0
	.section	.text._ZN4vllm3moe10topkGatingILi1ELi1ELi4ELi2ELi32Ej6__halfLNS0_11ScoringFuncE1EEEvPKT5_PKbPfiPT4_PiiiibPKf,"axG",@progbits,_ZN4vllm3moe10topkGatingILi1ELi1ELi4ELi2ELi32Ej6__halfLNS0_11ScoringFuncE1EEEvPKT5_PKbPfiPT4_PiiiibPKf,comdat
	.protected	_ZN4vllm3moe10topkGatingILi1ELi1ELi4ELi2ELi32Ej6__halfLNS0_11ScoringFuncE1EEEvPKT5_PKbPfiPT4_PiiiibPKf ; -- Begin function _ZN4vllm3moe10topkGatingILi1ELi1ELi4ELi2ELi32Ej6__halfLNS0_11ScoringFuncE1EEEvPKT5_PKbPfiPT4_PiiiibPKf
	.globl	_ZN4vllm3moe10topkGatingILi1ELi1ELi4ELi2ELi32Ej6__halfLNS0_11ScoringFuncE1EEEvPKT5_PKbPfiPT4_PiiiibPKf
	.p2align	8
	.type	_ZN4vllm3moe10topkGatingILi1ELi1ELi4ELi2ELi32Ej6__halfLNS0_11ScoringFuncE1EEEvPKT5_PKbPfiPT4_PiiiibPKf,@function
_ZN4vllm3moe10topkGatingILi1ELi1ELi4ELi2ELi32Ej6__halfLNS0_11ScoringFuncE1EEEvPKT5_PKbPfiPT4_PiiiibPKf: ; @_ZN4vllm3moe10topkGatingILi1ELi1ELi4ELi2ELi32Ej6__halfLNS0_11ScoringFuncE1EEEvPKT5_PKbPfiPT4_PiiiibPKf
; %bb.0:
	s_load_dword s18, s[4:5], 0x18
	v_bfe_u32 v1, v0, 10, 10
	s_lshl_b32 s0, s6, 7
	v_lshlrev_b32_e32 v1, 5, v1
	v_and_b32_e32 v0, 0x3ff, v0
	v_add3_u32 v0, v1, v0, s0
	s_waitcnt lgkmcnt(0)
	v_cmp_gt_i32_e32 vcc, s18, v0
	s_and_saveexec_b64 s[0:1], vcc
	s_cbranch_execz .LBB271_17
; %bb.1:
	s_load_dwordx4 s[12:15], s[4:5], 0x0
	s_load_dwordx2 s[2:3], s[4:5], 0x10
	v_ashrrev_i32_e32 v1, 31, v0
	s_waitcnt lgkmcnt(0)
	s_cmp_eq_u64 s[14:15], 0
	s_cbranch_scc1 .LBB271_3
; %bb.2:
	v_mov_b32_e32 v3, s15
	v_add_co_u32_e32 v2, vcc, s14, v0
	v_addc_co_u32_e32 v3, vcc, v3, v1, vcc
	global_load_ubyte v2, v[2:3], off
	s_waitcnt vmcnt(0)
	v_and_b32_e32 v2, 1, v2
	v_cmp_eq_u32_e32 vcc, 1, v2
	s_xor_b64 s[0:1], vcc, -1
	s_orn2_b64 s[16:17], s[0:1], exec
	s_branch .LBB271_4
.LBB271_3:
	s_mov_b64 s[16:17], -1
.LBB271_4:
	s_load_dwordx4 s[8:11], s[4:5], 0x30
	s_waitcnt lgkmcnt(0)
	s_bitcmp1_b32 s11, 0
	s_cselect_b64 s[0:1], -1, 0
	s_cmp_gt_i32 s8, 0
	s_cselect_b64 s[14:15], -1, 0
	s_cmp_lt_i32 s8, 1
	s_cbranch_scc1 .LBB271_8
; %bb.5:
	v_lshlrev_b64 v[2:3], 1, v[0:1]
	v_mov_b32_e32 v1, s13
	v_add_co_u32_e32 v2, vcc, s12, v2
	v_addc_co_u32_e32 v3, vcc, v1, v3, vcc
	global_load_ushort v4, v[2:3], off
	v_mul_lo_u32 v2, v0, s8
	s_load_dwordx4 s[4:7], s[4:5], 0x20
	s_cmp_lt_i32 s9, 1
	v_ashrrev_i32_e32 v3, 31, v2
	s_cselect_b64 s[12:13], -1, 0
	s_cmp_gt_i32 s10, 0
	v_lshlrev_b64 v[6:7], 2, v[2:3]
	v_mov_b32_e32 v5, s3
	s_cselect_b64 s[10:11], -1, 0
	v_add_co_u32_e32 v2, vcc, s2, v6
	s_sub_i32 s9, 0, s9
	s_and_b64 s[10:11], s[12:13], s[10:11]
	v_addc_co_u32_e32 v3, vcc, v5, v7, vcc
	v_mov_b32_e32 v9, s9
	s_and_b64 vcc, s[16:17], s[10:11]
	v_cndmask_b32_e32 v9, 1, v9, vcc
	s_waitcnt lgkmcnt(0)
	v_mov_b32_e32 v5, s5
	v_mov_b32_e32 v10, s7
	s_movk_i32 s19, 0x1f8
	v_mov_b32_e32 v1, 0
	v_mov_b32_e32 v8, v0
	s_waitcnt vmcnt(0)
	v_cvt_f32_f16_e32 v4, v4
	v_mul_f32_e32 v4, 0xbfb8aa3b, v4
	v_exp_f32_e32 v11, v4
	v_add_co_u32_e32 v4, vcc, s4, v6
	v_addc_co_u32_e32 v5, vcc, v5, v7, vcc
	v_add_f32_e32 v11, 1.0, v11
	v_div_scale_f32 v12, s[4:5], v11, v11, 1.0
	v_rcp_f32_e32 v13, v12
	v_add_co_u32_e32 v6, vcc, s6, v6
	v_addc_co_u32_e32 v7, vcc, v10, v7, vcc
	v_fma_f32 v14, -v12, v13, 1.0
	v_div_scale_f32 v10, vcc, 1.0, v11, 1.0
	v_fmac_f32_e32 v13, v14, v13
	v_mul_f32_e32 v14, v10, v13
	v_fma_f32 v15, -v12, v14, v10
	v_fmac_f32_e32 v14, v15, v13
	v_fma_f32 v10, -v12, v14, v10
	v_div_fmas_f32 v10, v10, v13, v14
	v_div_fixup_f32 v10, v10, v11, 1.0
	v_cmp_class_f32_e64 vcc, v10, s19
	v_cndmask_b32_e32 v10, 0, v10, vcc
	s_mov_b32 s4, s8
.LBB271_6:                              ; =>This Inner Loop Header: Depth=1
	global_store_dword v[2:3], v10, off
	global_store_dword v[4:5], v9, off
	;; [unrolled: 1-line block ×3, first 2 shown]
	v_add_co_u32_e32 v2, vcc, 4, v2
	v_addc_co_u32_e32 v3, vcc, 0, v3, vcc
	v_add_co_u32_e32 v4, vcc, 4, v4
	v_addc_co_u32_e32 v5, vcc, 0, v5, vcc
	v_add_f32_e32 v11, v1, v10
	s_add_i32 s4, s4, -1
	v_add_co_u32_e32 v6, vcc, 4, v6
	v_cndmask_b32_e64 v1, v1, v11, s[0:1]
	v_add_u32_e32 v8, s18, v8
	s_cmp_lg_u32 s4, 0
	v_addc_co_u32_e32 v7, vcc, 0, v7, vcc
	s_cbranch_scc1 .LBB271_6
; %bb.7:
	s_andn2_b64 vcc, exec, s[0:1]
	s_cbranch_vccz .LBB271_9
	s_branch .LBB271_17
.LBB271_8:
	v_mov_b32_e32 v1, 0
	s_andn2_b64 vcc, exec, s[0:1]
	s_cbranch_vccnz .LBB271_17
.LBB271_9:
	s_andn2_b64 vcc, exec, s[14:15]
	s_cbranch_vccnz .LBB271_17
; %bb.10:
	v_cmp_lt_f32_e32 vcc, 0, v1
	s_mov_b32 s4, 0
	v_cndmask_b32_e32 v2, 1.0, v1, vcc
	v_mul_lo_u32 v0, v0, s8
	s_cmp_eq_u32 s8, 1
	s_mov_b64 s[0:1], -1
	s_cbranch_scc1 .LBB271_14
; %bb.11:
	s_and_b32 s4, s8, 0x7ffffffe
	v_mov_b32_e32 v1, v2
	v_mov_b32_e32 v3, s3
	s_mov_b32 s5, s4
	v_mov_b32_e32 v4, v0
.LBB271_12:                             ; =>This Inner Loop Header: Depth=1
	v_ashrrev_i32_e32 v5, 31, v4
	v_lshlrev_b64 v[6:7], 2, v[4:5]
	v_add_co_u32_e32 v6, vcc, s2, v6
	v_addc_co_u32_e32 v7, vcc, v3, v7, vcc
	global_load_dwordx2 v[8:9], v[6:7], off
	s_add_i32 s5, s5, -2
	s_cmp_lg_u32 s5, 0
	v_add_u32_e32 v4, 2, v4
	s_waitcnt vmcnt(0)
	v_div_scale_f32 v5, s[0:1], v1, v1, v9
	v_div_scale_f32 v11, s[0:1], v2, v2, v8
	v_rcp_f32_e32 v12, v5
	v_rcp_f32_e32 v13, v11
	v_div_scale_f32 v10, vcc, v9, v1, v9
	v_fma_f32 v15, -v5, v12, 1.0
	v_fma_f32 v16, -v11, v13, 1.0
	v_fmac_f32_e32 v12, v15, v12
	v_div_scale_f32 v14, s[0:1], v8, v2, v8
	v_fmac_f32_e32 v13, v16, v13
	v_mul_f32_e32 v15, v10, v12
	v_mul_f32_e32 v16, v14, v13
	v_fma_f32 v17, -v5, v15, v10
	v_fma_f32 v18, -v11, v16, v14
	v_fmac_f32_e32 v15, v17, v12
	v_fmac_f32_e32 v16, v18, v13
	v_fma_f32 v5, -v5, v15, v10
	v_fma_f32 v10, -v11, v16, v14
	v_div_fmas_f32 v5, v5, v12, v15
	s_mov_b64 vcc, s[0:1]
	v_div_fixup_f32 v9, v5, v1, v9
	v_div_fmas_f32 v5, v10, v13, v16
	v_div_fixup_f32 v8, v5, v2, v8
	global_store_dwordx2 v[6:7], v[8:9], off
	s_cbranch_scc1 .LBB271_12
; %bb.13:
	s_cmp_lg_u32 s4, s8
	s_cselect_b64 s[0:1], -1, 0
.LBB271_14:
	s_and_b64 vcc, exec, s[0:1]
	s_cbranch_vccz .LBB271_17
; %bb.15:
	v_ashrrev_i32_e32 v1, 31, v0
	v_add_co_u32_e32 v0, vcc, s4, v0
	v_addc_co_u32_e32 v1, vcc, 0, v1, vcc
	v_lshlrev_b64 v[0:1], 2, v[0:1]
	v_mov_b32_e32 v3, s3
	v_add_co_u32_e32 v0, vcc, s2, v0
	s_sub_i32 s0, s8, s4
	v_addc_co_u32_e32 v1, vcc, v3, v1, vcc
.LBB271_16:                             ; =>This Inner Loop Header: Depth=1
	global_load_dword v3, v[0:1], off
	s_add_i32 s0, s0, -1
	s_cmp_lg_u32 s0, 0
	s_waitcnt vmcnt(0)
	v_div_scale_f32 v4, s[2:3], v2, v2, v3
	v_rcp_f32_e32 v5, v4
	v_div_scale_f32 v6, vcc, v3, v2, v3
	v_fma_f32 v7, -v4, v5, 1.0
	v_fmac_f32_e32 v5, v7, v5
	v_mul_f32_e32 v7, v6, v5
	v_fma_f32 v8, -v4, v7, v6
	v_fmac_f32_e32 v7, v8, v5
	v_fma_f32 v4, -v4, v7, v6
	v_div_fmas_f32 v4, v4, v5, v7
	v_div_fixup_f32 v3, v4, v2, v3
	global_store_dword v[0:1], v3, off
	v_add_co_u32_e32 v0, vcc, 4, v0
	v_addc_co_u32_e32 v1, vcc, 0, v1, vcc
	s_cbranch_scc1 .LBB271_16
.LBB271_17:
	s_endpgm
	.section	.rodata,"a",@progbits
	.p2align	6, 0x0
	.amdhsa_kernel _ZN4vllm3moe10topkGatingILi1ELi1ELi4ELi2ELi32Ej6__halfLNS0_11ScoringFuncE1EEEvPKT5_PKbPfiPT4_PiiiibPKf
		.amdhsa_group_segment_fixed_size 0
		.amdhsa_private_segment_fixed_size 0
		.amdhsa_kernarg_size 72
		.amdhsa_user_sgpr_count 6
		.amdhsa_user_sgpr_private_segment_buffer 1
		.amdhsa_user_sgpr_dispatch_ptr 0
		.amdhsa_user_sgpr_queue_ptr 0
		.amdhsa_user_sgpr_kernarg_segment_ptr 1
		.amdhsa_user_sgpr_dispatch_id 0
		.amdhsa_user_sgpr_flat_scratch_init 0
		.amdhsa_user_sgpr_kernarg_preload_length 0
		.amdhsa_user_sgpr_kernarg_preload_offset 0
		.amdhsa_user_sgpr_private_segment_size 0
		.amdhsa_uses_dynamic_stack 0
		.amdhsa_system_sgpr_private_segment_wavefront_offset 0
		.amdhsa_system_sgpr_workgroup_id_x 1
		.amdhsa_system_sgpr_workgroup_id_y 0
		.amdhsa_system_sgpr_workgroup_id_z 0
		.amdhsa_system_sgpr_workgroup_info 0
		.amdhsa_system_vgpr_workitem_id 1
		.amdhsa_next_free_vgpr 19
		.amdhsa_next_free_sgpr 20
		.amdhsa_accum_offset 20
		.amdhsa_reserve_vcc 1
		.amdhsa_reserve_flat_scratch 0
		.amdhsa_float_round_mode_32 0
		.amdhsa_float_round_mode_16_64 0
		.amdhsa_float_denorm_mode_32 3
		.amdhsa_float_denorm_mode_16_64 3
		.amdhsa_dx10_clamp 1
		.amdhsa_ieee_mode 1
		.amdhsa_fp16_overflow 0
		.amdhsa_tg_split 0
		.amdhsa_exception_fp_ieee_invalid_op 0
		.amdhsa_exception_fp_denorm_src 0
		.amdhsa_exception_fp_ieee_div_zero 0
		.amdhsa_exception_fp_ieee_overflow 0
		.amdhsa_exception_fp_ieee_underflow 0
		.amdhsa_exception_fp_ieee_inexact 0
		.amdhsa_exception_int_div_zero 0
	.end_amdhsa_kernel
	.section	.text._ZN4vllm3moe10topkGatingILi1ELi1ELi4ELi2ELi32Ej6__halfLNS0_11ScoringFuncE1EEEvPKT5_PKbPfiPT4_PiiiibPKf,"axG",@progbits,_ZN4vllm3moe10topkGatingILi1ELi1ELi4ELi2ELi32Ej6__halfLNS0_11ScoringFuncE1EEEvPKT5_PKbPfiPT4_PiiiibPKf,comdat
.Lfunc_end271:
	.size	_ZN4vllm3moe10topkGatingILi1ELi1ELi4ELi2ELi32Ej6__halfLNS0_11ScoringFuncE1EEEvPKT5_PKbPfiPT4_PiiiibPKf, .Lfunc_end271-_ZN4vllm3moe10topkGatingILi1ELi1ELi4ELi2ELi32Ej6__halfLNS0_11ScoringFuncE1EEEvPKT5_PKbPfiPT4_PiiiibPKf
                                        ; -- End function
	.section	.AMDGPU.csdata,"",@progbits
; Kernel info:
; codeLenInByte = 964
; NumSgprs: 24
; NumVgprs: 19
; NumAgprs: 0
; TotalNumVgprs: 19
; ScratchSize: 0
; MemoryBound: 0
; FloatMode: 240
; IeeeMode: 1
; LDSByteSize: 0 bytes/workgroup (compile time only)
; SGPRBlocks: 2
; VGPRBlocks: 2
; NumSGPRsForWavesPerEU: 24
; NumVGPRsForWavesPerEU: 19
; AccumOffset: 20
; Occupancy: 8
; WaveLimiterHint : 0
; COMPUTE_PGM_RSRC2:SCRATCH_EN: 0
; COMPUTE_PGM_RSRC2:USER_SGPR: 6
; COMPUTE_PGM_RSRC2:TRAP_HANDLER: 0
; COMPUTE_PGM_RSRC2:TGID_X_EN: 1
; COMPUTE_PGM_RSRC2:TGID_Y_EN: 0
; COMPUTE_PGM_RSRC2:TGID_Z_EN: 0
; COMPUTE_PGM_RSRC2:TIDIG_COMP_CNT: 1
; COMPUTE_PGM_RSRC3_GFX90A:ACCUM_OFFSET: 4
; COMPUTE_PGM_RSRC3_GFX90A:TG_SPLIT: 0
	.section	.text._ZN4vllm3moe10topkGatingILi2ELi2ELi4ELi4ELi64Ej6__halfLNS0_11ScoringFuncE1EEEvPKT5_PKbPfiPT4_PiiiibPKf,"axG",@progbits,_ZN4vllm3moe10topkGatingILi2ELi2ELi4ELi4ELi64Ej6__halfLNS0_11ScoringFuncE1EEEvPKT5_PKbPfiPT4_PiiiibPKf,comdat
	.protected	_ZN4vllm3moe10topkGatingILi2ELi2ELi4ELi4ELi64Ej6__halfLNS0_11ScoringFuncE1EEEvPKT5_PKbPfiPT4_PiiiibPKf ; -- Begin function _ZN4vllm3moe10topkGatingILi2ELi2ELi4ELi4ELi64Ej6__halfLNS0_11ScoringFuncE1EEEvPKT5_PKbPfiPT4_PiiiibPKf
	.globl	_ZN4vllm3moe10topkGatingILi2ELi2ELi4ELi4ELi64Ej6__halfLNS0_11ScoringFuncE1EEEvPKT5_PKbPfiPT4_PiiiibPKf
	.p2align	8
	.type	_ZN4vllm3moe10topkGatingILi2ELi2ELi4ELi4ELi64Ej6__halfLNS0_11ScoringFuncE1EEEvPKT5_PKbPfiPT4_PiiiibPKf,@function
_ZN4vllm3moe10topkGatingILi2ELi2ELi4ELi4ELi64Ej6__halfLNS0_11ScoringFuncE1EEEvPKT5_PKbPfiPT4_PiiiibPKf: ; @_ZN4vllm3moe10topkGatingILi2ELi2ELi4ELi4ELi64Ej6__halfLNS0_11ScoringFuncE1EEEvPKT5_PKbPfiPT4_PiiiibPKf
; %bb.0:
	s_load_dword s16, s[4:5], 0x18
	v_bfe_u32 v1, v0, 10, 10
	s_lshl_b32 s0, s6, 8
	v_lshlrev_b32_e32 v1, 6, v1
	v_and_b32_e32 v0, 0x3ff, v0
	v_add3_u32 v10, v1, v0, s0
	s_waitcnt lgkmcnt(0)
	v_cmp_gt_i32_e32 vcc, s16, v10
	s_and_saveexec_b64 s[0:1], vcc
	s_cbranch_execz .LBB272_19
; %bb.1:
	s_load_dwordx4 s[0:3], s[4:5], 0x0
	s_load_dwordx2 s[6:7], s[4:5], 0x10
	s_waitcnt lgkmcnt(0)
	s_cmp_eq_u64 s[2:3], 0
	s_cbranch_scc1 .LBB272_3
; %bb.2:
	v_ashrrev_i32_e32 v1, 31, v10
	v_mov_b32_e32 v2, s3
	v_add_co_u32_e32 v0, vcc, s2, v10
	v_addc_co_u32_e32 v1, vcc, v2, v1, vcc
	global_load_ubyte v0, v[0:1], off
	s_waitcnt vmcnt(0)
	v_and_b32_e32 v0, 1, v0
	v_cmp_eq_u32_e32 vcc, 1, v0
	s_xor_b64 s[2:3], vcc, -1
	s_orn2_b64 s[12:13], s[2:3], exec
	s_branch .LBB272_4
.LBB272_3:
	s_mov_b64 s[12:13], -1
.LBB272_4:
	v_lshlrev_b32_e32 v0, 1, v10
	v_ashrrev_i32_e32 v1, 31, v0
	v_lshlrev_b64 v[0:1], 1, v[0:1]
	v_mov_b32_e32 v2, s1
	v_add_co_u32_e32 v0, vcc, s0, v0
	v_addc_co_u32_e32 v1, vcc, v2, v1, vcc
	global_load_dword v0, v[0:1], off
	s_load_dwordx2 s[2:3], s[4:5], 0x40
	s_movk_i32 s8, 0x1f8
	s_waitcnt lgkmcnt(0)
	s_cmp_eq_u64 s[2:3], 0
	s_waitcnt vmcnt(0)
	v_cvt_f32_f16_e32 v1, v0
	v_cvt_f32_f16_sdwa v0, v0 dst_sel:DWORD dst_unused:UNUSED_PAD src0_sel:WORD_1
	v_mul_f32_e32 v1, 0xbfb8aa3b, v1
	v_mul_f32_e32 v2, 0xbfb8aa3b, v0
	v_exp_f32_e32 v0, v1
	v_exp_f32_e32 v1, v2
	v_pk_add_f32 v[0:1], v[0:1], 1.0 op_sel_hi:[1,0]
	v_div_scale_f32 v2, s[0:1], v1, v1, 1.0
	v_div_scale_f32 v4, s[0:1], v0, v0, 1.0
	v_rcp_f32_e32 v5, v2
	v_rcp_f32_e32 v6, v4
	v_div_scale_f32 v3, vcc, 1.0, v1, 1.0
	v_fma_f32 v8, -v2, v5, 1.0
	v_fma_f32 v9, -v4, v6, 1.0
	v_fmac_f32_e32 v5, v8, v5
	v_div_scale_f32 v7, s[0:1], 1.0, v0, 1.0
	v_fmac_f32_e32 v6, v9, v6
	v_mul_f32_e32 v8, v3, v5
	v_mul_f32_e32 v9, v7, v6
	v_fma_f32 v11, -v2, v8, v3
	v_fma_f32 v12, -v4, v9, v7
	v_fmac_f32_e32 v8, v11, v5
	v_fmac_f32_e32 v9, v12, v6
	v_fma_f32 v2, -v2, v8, v3
	v_fma_f32 v3, -v4, v9, v7
	v_div_fmas_f32 v2, v2, v5, v8
	s_mov_b64 vcc, s[0:1]
	v_div_fixup_f32 v1, v2, v1, 1.0
	v_div_fmas_f32 v2, v3, v6, v9
	v_div_fixup_f32 v0, v2, v0, 1.0
	v_cmp_class_f32_e64 vcc, v1, s8
	v_cndmask_b32_e32 v1, 0, v1, vcc
	v_cmp_class_f32_e64 vcc, v0, s8
	v_cndmask_b32_e32 v0, 0, v0, vcc
	v_pk_mov_b32 v[2:3], v[0:1], v[0:1] op_sel:[0,1]
	s_cbranch_scc1 .LBB272_6
; %bb.5:
	s_load_dwordx2 s[0:1], s[2:3], 0x0
	s_waitcnt lgkmcnt(0)
	v_pk_add_f32 v[2:3], v[0:1], s[0:1]
.LBB272_6:
	s_load_dwordx4 s[8:11], s[4:5], 0x30
	s_waitcnt lgkmcnt(0)
	s_bitcmp1_b32 s11, 0
	s_cselect_b64 vcc, -1, 0
	s_cmp_gt_i32 s8, 0
	s_cselect_b64 s[14:15], -1, 0
	s_cmp_lt_i32 s8, 1
	s_cbranch_scc1 .LBB272_10
; %bb.7:
	s_load_dwordx4 s[20:23], s[4:5], 0x20
	v_mul_lo_u32 v4, v10, s8
	v_ashrrev_i32_e32 v5, 31, v4
	v_lshlrev_b64 v[8:9], 2, v[4:5]
	v_mov_b32_e32 v5, s7
	v_add_co_u32_e64 v4, s[0:1], s6, v8
	v_addc_co_u32_e64 v5, s[0:1], v5, v9, s[0:1]
	s_waitcnt lgkmcnt(0)
	v_mov_b32_e32 v7, s21
	v_add_co_u32_e64 v6, s[0:1], s20, v8
	v_addc_co_u32_e64 v7, s[0:1], v7, v9, s[0:1]
	v_mov_b32_e32 v11, s23
	v_add_co_u32_e64 v8, s[0:1], s22, v8
	v_addc_co_u32_e64 v9, s[0:1], v11, v9, s[0:1]
	s_mov_b32 s11, 0
	v_mov_b32_e32 v11, 0
	v_mov_b32_e32 v12, 0xc61c4000
	;; [unrolled: 1-line block ×3, first 2 shown]
.LBB272_8:                              ; =>This Inner Loop Header: Depth=1
	v_cmp_gt_f32_e64 s[0:1], v3, v2
	v_cndmask_b32_e64 v14, 0, 1, s[0:1]
	v_cmp_le_i32_e64 s[2:3], s9, v14
	v_cmp_gt_i32_e64 s[4:5], s10, v14
	s_and_b64 s[2:3], s[2:3], s[4:5]
	v_subrev_u32_e32 v14, s9, v14
	s_and_b64 s[2:3], s[12:13], s[2:3]
	v_cndmask_b32_e64 v15, v0, v1, s[0:1]
	v_cndmask_b32_e64 v14, 2, v14, s[2:3]
	s_add_i32 s11, s11, 1
	global_store_dword v[4:5], v15, off
	global_store_dword v[6:7], v14, off
	;; [unrolled: 1-line block ×3, first 2 shown]
	v_add_f32_e32 v14, v11, v15
	s_cmp_lt_i32 s11, s8
	v_cndmask_b32_e32 v11, v11, v14, vcc
	v_cndmask_b32_e64 v14, v12, v2, s[0:1]
	v_cndmask_b32_e64 v15, v3, v12, s[0:1]
	s_cselect_b64 s[0:1], -1, 0
	v_cndmask_b32_e64 v3, v3, v15, s[0:1]
	v_cndmask_b32_e64 v2, v2, v14, s[0:1]
	v_add_co_u32_e64 v4, s[0:1], 4, v4
	v_addc_co_u32_e64 v5, s[0:1], 0, v5, s[0:1]
	v_add_co_u32_e64 v6, s[0:1], 4, v6
	v_addc_co_u32_e64 v7, s[0:1], 0, v7, s[0:1]
	v_add_co_u32_e64 v8, s[0:1], 4, v8
	v_add_u32_e32 v13, s16, v13
	s_cmp_eq_u32 s8, s11
	v_addc_co_u32_e64 v9, s[0:1], 0, v9, s[0:1]
	s_cbranch_scc0 .LBB272_8
; %bb.9:
	s_and_b64 vcc, exec, vcc
	s_cbranch_vccnz .LBB272_11
	s_branch .LBB272_19
.LBB272_10:
	v_mov_b32_e32 v11, 0
	s_and_b64 vcc, exec, vcc
	s_cbranch_vccz .LBB272_19
.LBB272_11:
	s_andn2_b64 vcc, exec, s[14:15]
	s_cbranch_vccnz .LBB272_19
; %bb.12:
	v_cmp_lt_f32_e32 vcc, 0, v11
	s_mov_b32 s2, 0
	v_cndmask_b32_e32 v0, 1.0, v11, vcc
	v_mul_lo_u32 v4, v10, s8
	s_cmp_eq_u32 s8, 1
	s_mov_b64 s[0:1], -1
	s_cbranch_scc1 .LBB272_16
; %bb.13:
	s_and_b32 s2, s8, 0x7ffffffe
	v_mov_b32_e32 v1, v0
	v_mov_b32_e32 v5, s7
	s_mov_b32 s3, s2
	v_mov_b32_e32 v2, v4
.LBB272_14:                             ; =>This Inner Loop Header: Depth=1
	v_ashrrev_i32_e32 v3, 31, v2
	v_lshlrev_b64 v[6:7], 2, v[2:3]
	v_add_co_u32_e32 v6, vcc, s6, v6
	v_addc_co_u32_e32 v7, vcc, v5, v7, vcc
	global_load_dwordx2 v[8:9], v[6:7], off
	s_add_i32 s3, s3, -2
	s_cmp_lg_u32 s3, 0
	v_add_u32_e32 v2, 2, v2
	s_waitcnt vmcnt(0)
	v_div_scale_f32 v3, s[0:1], v1, v1, v9
	v_div_scale_f32 v11, s[0:1], v0, v0, v8
	v_rcp_f32_e32 v12, v3
	v_rcp_f32_e32 v13, v11
	v_div_scale_f32 v10, vcc, v9, v1, v9
	v_fma_f32 v15, -v3, v12, 1.0
	v_fma_f32 v16, -v11, v13, 1.0
	v_fmac_f32_e32 v12, v15, v12
	v_div_scale_f32 v14, s[0:1], v8, v0, v8
	v_fmac_f32_e32 v13, v16, v13
	v_mul_f32_e32 v15, v10, v12
	v_mul_f32_e32 v16, v14, v13
	v_fma_f32 v17, -v3, v15, v10
	v_fma_f32 v18, -v11, v16, v14
	v_fmac_f32_e32 v15, v17, v12
	v_fmac_f32_e32 v16, v18, v13
	v_fma_f32 v3, -v3, v15, v10
	v_fma_f32 v10, -v11, v16, v14
	v_div_fmas_f32 v3, v3, v12, v15
	s_mov_b64 vcc, s[0:1]
	v_div_fixup_f32 v9, v3, v1, v9
	v_div_fmas_f32 v3, v10, v13, v16
	v_div_fixup_f32 v8, v3, v0, v8
	global_store_dwordx2 v[6:7], v[8:9], off
	s_cbranch_scc1 .LBB272_14
; %bb.15:
	s_cmp_lg_u32 s2, s8
	s_cselect_b64 s[0:1], -1, 0
.LBB272_16:
	s_and_b64 vcc, exec, s[0:1]
	s_cbranch_vccz .LBB272_19
; %bb.17:
	v_ashrrev_i32_e32 v1, 31, v4
	v_add_co_u32_e32 v2, vcc, s2, v4
	v_addc_co_u32_e32 v3, vcc, 0, v1, vcc
	v_lshlrev_b64 v[2:3], 2, v[2:3]
	v_mov_b32_e32 v1, s7
	v_add_co_u32_e32 v2, vcc, s6, v2
	s_sub_i32 s0, s8, s2
	v_addc_co_u32_e32 v3, vcc, v1, v3, vcc
.LBB272_18:                             ; =>This Inner Loop Header: Depth=1
	global_load_dword v1, v[2:3], off
	s_add_i32 s0, s0, -1
	s_cmp_lg_u32 s0, 0
	s_waitcnt vmcnt(0)
	v_div_scale_f32 v4, s[2:3], v0, v0, v1
	v_rcp_f32_e32 v5, v4
	v_div_scale_f32 v6, vcc, v1, v0, v1
	v_fma_f32 v7, -v4, v5, 1.0
	v_fmac_f32_e32 v5, v7, v5
	v_mul_f32_e32 v7, v6, v5
	v_fma_f32 v8, -v4, v7, v6
	v_fmac_f32_e32 v7, v8, v5
	v_fma_f32 v4, -v4, v7, v6
	v_div_fmas_f32 v4, v4, v5, v7
	v_div_fixup_f32 v1, v4, v0, v1
	global_store_dword v[2:3], v1, off
	v_add_co_u32_e32 v2, vcc, 4, v2
	v_addc_co_u32_e32 v3, vcc, 0, v3, vcc
	s_cbranch_scc1 .LBB272_18
.LBB272_19:
	s_endpgm
	.section	.rodata,"a",@progbits
	.p2align	6, 0x0
	.amdhsa_kernel _ZN4vllm3moe10topkGatingILi2ELi2ELi4ELi4ELi64Ej6__halfLNS0_11ScoringFuncE1EEEvPKT5_PKbPfiPT4_PiiiibPKf
		.amdhsa_group_segment_fixed_size 0
		.amdhsa_private_segment_fixed_size 0
		.amdhsa_kernarg_size 72
		.amdhsa_user_sgpr_count 6
		.amdhsa_user_sgpr_private_segment_buffer 1
		.amdhsa_user_sgpr_dispatch_ptr 0
		.amdhsa_user_sgpr_queue_ptr 0
		.amdhsa_user_sgpr_kernarg_segment_ptr 1
		.amdhsa_user_sgpr_dispatch_id 0
		.amdhsa_user_sgpr_flat_scratch_init 0
		.amdhsa_user_sgpr_kernarg_preload_length 0
		.amdhsa_user_sgpr_kernarg_preload_offset 0
		.amdhsa_user_sgpr_private_segment_size 0
		.amdhsa_uses_dynamic_stack 0
		.amdhsa_system_sgpr_private_segment_wavefront_offset 0
		.amdhsa_system_sgpr_workgroup_id_x 1
		.amdhsa_system_sgpr_workgroup_id_y 0
		.amdhsa_system_sgpr_workgroup_id_z 0
		.amdhsa_system_sgpr_workgroup_info 0
		.amdhsa_system_vgpr_workitem_id 1
		.amdhsa_next_free_vgpr 19
		.amdhsa_next_free_sgpr 24
		.amdhsa_accum_offset 20
		.amdhsa_reserve_vcc 1
		.amdhsa_reserve_flat_scratch 0
		.amdhsa_float_round_mode_32 0
		.amdhsa_float_round_mode_16_64 0
		.amdhsa_float_denorm_mode_32 3
		.amdhsa_float_denorm_mode_16_64 3
		.amdhsa_dx10_clamp 1
		.amdhsa_ieee_mode 1
		.amdhsa_fp16_overflow 0
		.amdhsa_tg_split 0
		.amdhsa_exception_fp_ieee_invalid_op 0
		.amdhsa_exception_fp_denorm_src 0
		.amdhsa_exception_fp_ieee_div_zero 0
		.amdhsa_exception_fp_ieee_overflow 0
		.amdhsa_exception_fp_ieee_underflow 0
		.amdhsa_exception_fp_ieee_inexact 0
		.amdhsa_exception_int_div_zero 0
	.end_amdhsa_kernel
	.section	.text._ZN4vllm3moe10topkGatingILi2ELi2ELi4ELi4ELi64Ej6__halfLNS0_11ScoringFuncE1EEEvPKT5_PKbPfiPT4_PiiiibPKf,"axG",@progbits,_ZN4vllm3moe10topkGatingILi2ELi2ELi4ELi4ELi64Ej6__halfLNS0_11ScoringFuncE1EEEvPKT5_PKbPfiPT4_PiiiibPKf,comdat
.Lfunc_end272:
	.size	_ZN4vllm3moe10topkGatingILi2ELi2ELi4ELi4ELi64Ej6__halfLNS0_11ScoringFuncE1EEEvPKT5_PKbPfiPT4_PiiiibPKf, .Lfunc_end272-_ZN4vllm3moe10topkGatingILi2ELi2ELi4ELi4ELi64Ej6__halfLNS0_11ScoringFuncE1EEEvPKT5_PKbPfiPT4_PiiiibPKf
                                        ; -- End function
	.section	.AMDGPU.csdata,"",@progbits
; Kernel info:
; codeLenInByte = 1248
; NumSgprs: 28
; NumVgprs: 19
; NumAgprs: 0
; TotalNumVgprs: 19
; ScratchSize: 0
; MemoryBound: 1
; FloatMode: 240
; IeeeMode: 1
; LDSByteSize: 0 bytes/workgroup (compile time only)
; SGPRBlocks: 3
; VGPRBlocks: 2
; NumSGPRsForWavesPerEU: 28
; NumVGPRsForWavesPerEU: 19
; AccumOffset: 20
; Occupancy: 8
; WaveLimiterHint : 0
; COMPUTE_PGM_RSRC2:SCRATCH_EN: 0
; COMPUTE_PGM_RSRC2:USER_SGPR: 6
; COMPUTE_PGM_RSRC2:TRAP_HANDLER: 0
; COMPUTE_PGM_RSRC2:TGID_X_EN: 1
; COMPUTE_PGM_RSRC2:TGID_Y_EN: 0
; COMPUTE_PGM_RSRC2:TGID_Z_EN: 0
; COMPUTE_PGM_RSRC2:TIDIG_COMP_CNT: 1
; COMPUTE_PGM_RSRC3_GFX90A:ACCUM_OFFSET: 4
; COMPUTE_PGM_RSRC3_GFX90A:TG_SPLIT: 0
	.section	.text._ZN4vllm3moe10topkGatingILi2ELi2ELi4ELi4ELi32Ej6__halfLNS0_11ScoringFuncE1EEEvPKT5_PKbPfiPT4_PiiiibPKf,"axG",@progbits,_ZN4vllm3moe10topkGatingILi2ELi2ELi4ELi4ELi32Ej6__halfLNS0_11ScoringFuncE1EEEvPKT5_PKbPfiPT4_PiiiibPKf,comdat
	.protected	_ZN4vllm3moe10topkGatingILi2ELi2ELi4ELi4ELi32Ej6__halfLNS0_11ScoringFuncE1EEEvPKT5_PKbPfiPT4_PiiiibPKf ; -- Begin function _ZN4vllm3moe10topkGatingILi2ELi2ELi4ELi4ELi32Ej6__halfLNS0_11ScoringFuncE1EEEvPKT5_PKbPfiPT4_PiiiibPKf
	.globl	_ZN4vllm3moe10topkGatingILi2ELi2ELi4ELi4ELi32Ej6__halfLNS0_11ScoringFuncE1EEEvPKT5_PKbPfiPT4_PiiiibPKf
	.p2align	8
	.type	_ZN4vllm3moe10topkGatingILi2ELi2ELi4ELi4ELi32Ej6__halfLNS0_11ScoringFuncE1EEEvPKT5_PKbPfiPT4_PiiiibPKf,@function
_ZN4vllm3moe10topkGatingILi2ELi2ELi4ELi4ELi32Ej6__halfLNS0_11ScoringFuncE1EEEvPKT5_PKbPfiPT4_PiiiibPKf: ; @_ZN4vllm3moe10topkGatingILi2ELi2ELi4ELi4ELi32Ej6__halfLNS0_11ScoringFuncE1EEEvPKT5_PKbPfiPT4_PiiiibPKf
; %bb.0:
	s_load_dword s16, s[4:5], 0x18
	v_bfe_u32 v1, v0, 10, 10
	s_lshl_b32 s0, s6, 7
	v_lshlrev_b32_e32 v1, 5, v1
	v_and_b32_e32 v0, 0x3ff, v0
	v_add3_u32 v10, v1, v0, s0
	s_waitcnt lgkmcnt(0)
	v_cmp_gt_i32_e32 vcc, s16, v10
	s_and_saveexec_b64 s[0:1], vcc
	s_cbranch_execz .LBB273_19
; %bb.1:
	s_load_dwordx4 s[0:3], s[4:5], 0x0
	s_load_dwordx2 s[6:7], s[4:5], 0x10
	s_waitcnt lgkmcnt(0)
	s_cmp_eq_u64 s[2:3], 0
	s_cbranch_scc1 .LBB273_3
; %bb.2:
	v_ashrrev_i32_e32 v1, 31, v10
	v_mov_b32_e32 v2, s3
	v_add_co_u32_e32 v0, vcc, s2, v10
	v_addc_co_u32_e32 v1, vcc, v2, v1, vcc
	global_load_ubyte v0, v[0:1], off
	s_waitcnt vmcnt(0)
	v_and_b32_e32 v0, 1, v0
	v_cmp_eq_u32_e32 vcc, 1, v0
	s_xor_b64 s[2:3], vcc, -1
	s_orn2_b64 s[12:13], s[2:3], exec
	s_branch .LBB273_4
.LBB273_3:
	s_mov_b64 s[12:13], -1
.LBB273_4:
	v_lshlrev_b32_e32 v0, 1, v10
	v_ashrrev_i32_e32 v1, 31, v0
	v_lshlrev_b64 v[0:1], 1, v[0:1]
	v_mov_b32_e32 v2, s1
	v_add_co_u32_e32 v0, vcc, s0, v0
	v_addc_co_u32_e32 v1, vcc, v2, v1, vcc
	global_load_dword v0, v[0:1], off
	s_load_dwordx2 s[2:3], s[4:5], 0x40
	s_movk_i32 s8, 0x1f8
	s_waitcnt lgkmcnt(0)
	s_cmp_eq_u64 s[2:3], 0
	s_waitcnt vmcnt(0)
	v_cvt_f32_f16_e32 v1, v0
	v_cvt_f32_f16_sdwa v0, v0 dst_sel:DWORD dst_unused:UNUSED_PAD src0_sel:WORD_1
	v_mul_f32_e32 v1, 0xbfb8aa3b, v1
	v_mul_f32_e32 v2, 0xbfb8aa3b, v0
	v_exp_f32_e32 v0, v1
	v_exp_f32_e32 v1, v2
	v_pk_add_f32 v[0:1], v[0:1], 1.0 op_sel_hi:[1,0]
	v_div_scale_f32 v2, s[0:1], v1, v1, 1.0
	v_div_scale_f32 v4, s[0:1], v0, v0, 1.0
	v_rcp_f32_e32 v5, v2
	v_rcp_f32_e32 v6, v4
	v_div_scale_f32 v3, vcc, 1.0, v1, 1.0
	v_fma_f32 v8, -v2, v5, 1.0
	v_fma_f32 v9, -v4, v6, 1.0
	v_fmac_f32_e32 v5, v8, v5
	v_div_scale_f32 v7, s[0:1], 1.0, v0, 1.0
	v_fmac_f32_e32 v6, v9, v6
	v_mul_f32_e32 v8, v3, v5
	v_mul_f32_e32 v9, v7, v6
	v_fma_f32 v11, -v2, v8, v3
	v_fma_f32 v12, -v4, v9, v7
	v_fmac_f32_e32 v8, v11, v5
	v_fmac_f32_e32 v9, v12, v6
	v_fma_f32 v2, -v2, v8, v3
	v_fma_f32 v3, -v4, v9, v7
	v_div_fmas_f32 v2, v2, v5, v8
	s_mov_b64 vcc, s[0:1]
	v_div_fixup_f32 v1, v2, v1, 1.0
	v_div_fmas_f32 v2, v3, v6, v9
	v_div_fixup_f32 v0, v2, v0, 1.0
	v_cmp_class_f32_e64 vcc, v1, s8
	v_cndmask_b32_e32 v1, 0, v1, vcc
	v_cmp_class_f32_e64 vcc, v0, s8
	v_cndmask_b32_e32 v0, 0, v0, vcc
	v_pk_mov_b32 v[2:3], v[0:1], v[0:1] op_sel:[0,1]
	s_cbranch_scc1 .LBB273_6
; %bb.5:
	s_load_dwordx2 s[0:1], s[2:3], 0x0
	s_waitcnt lgkmcnt(0)
	v_pk_add_f32 v[2:3], v[0:1], s[0:1]
.LBB273_6:
	s_load_dwordx4 s[8:11], s[4:5], 0x30
	s_waitcnt lgkmcnt(0)
	s_bitcmp1_b32 s11, 0
	s_cselect_b64 vcc, -1, 0
	s_cmp_gt_i32 s8, 0
	s_cselect_b64 s[14:15], -1, 0
	s_cmp_lt_i32 s8, 1
	s_cbranch_scc1 .LBB273_10
; %bb.7:
	s_load_dwordx4 s[20:23], s[4:5], 0x20
	v_mul_lo_u32 v4, v10, s8
	v_ashrrev_i32_e32 v5, 31, v4
	v_lshlrev_b64 v[8:9], 2, v[4:5]
	v_mov_b32_e32 v5, s7
	v_add_co_u32_e64 v4, s[0:1], s6, v8
	v_addc_co_u32_e64 v5, s[0:1], v5, v9, s[0:1]
	s_waitcnt lgkmcnt(0)
	v_mov_b32_e32 v7, s21
	v_add_co_u32_e64 v6, s[0:1], s20, v8
	v_addc_co_u32_e64 v7, s[0:1], v7, v9, s[0:1]
	v_mov_b32_e32 v11, s23
	v_add_co_u32_e64 v8, s[0:1], s22, v8
	v_addc_co_u32_e64 v9, s[0:1], v11, v9, s[0:1]
	s_mov_b32 s11, 0
	v_mov_b32_e32 v11, 0
	v_mov_b32_e32 v12, 0xc61c4000
	;; [unrolled: 1-line block ×3, first 2 shown]
.LBB273_8:                              ; =>This Inner Loop Header: Depth=1
	v_cmp_gt_f32_e64 s[0:1], v3, v2
	v_cndmask_b32_e64 v14, 0, 1, s[0:1]
	v_cmp_le_i32_e64 s[2:3], s9, v14
	v_cmp_gt_i32_e64 s[4:5], s10, v14
	s_and_b64 s[2:3], s[2:3], s[4:5]
	v_subrev_u32_e32 v14, s9, v14
	s_and_b64 s[2:3], s[12:13], s[2:3]
	v_cndmask_b32_e64 v15, v0, v1, s[0:1]
	v_cndmask_b32_e64 v14, 2, v14, s[2:3]
	s_add_i32 s11, s11, 1
	global_store_dword v[4:5], v15, off
	global_store_dword v[6:7], v14, off
	;; [unrolled: 1-line block ×3, first 2 shown]
	v_add_f32_e32 v14, v11, v15
	s_cmp_lt_i32 s11, s8
	v_cndmask_b32_e32 v11, v11, v14, vcc
	v_cndmask_b32_e64 v14, v12, v2, s[0:1]
	v_cndmask_b32_e64 v15, v3, v12, s[0:1]
	s_cselect_b64 s[0:1], -1, 0
	v_cndmask_b32_e64 v3, v3, v15, s[0:1]
	v_cndmask_b32_e64 v2, v2, v14, s[0:1]
	v_add_co_u32_e64 v4, s[0:1], 4, v4
	v_addc_co_u32_e64 v5, s[0:1], 0, v5, s[0:1]
	v_add_co_u32_e64 v6, s[0:1], 4, v6
	v_addc_co_u32_e64 v7, s[0:1], 0, v7, s[0:1]
	v_add_co_u32_e64 v8, s[0:1], 4, v8
	v_add_u32_e32 v13, s16, v13
	s_cmp_eq_u32 s8, s11
	v_addc_co_u32_e64 v9, s[0:1], 0, v9, s[0:1]
	s_cbranch_scc0 .LBB273_8
; %bb.9:
	s_and_b64 vcc, exec, vcc
	s_cbranch_vccnz .LBB273_11
	s_branch .LBB273_19
.LBB273_10:
	v_mov_b32_e32 v11, 0
	s_and_b64 vcc, exec, vcc
	s_cbranch_vccz .LBB273_19
.LBB273_11:
	s_andn2_b64 vcc, exec, s[14:15]
	s_cbranch_vccnz .LBB273_19
; %bb.12:
	v_cmp_lt_f32_e32 vcc, 0, v11
	s_mov_b32 s2, 0
	v_cndmask_b32_e32 v0, 1.0, v11, vcc
	v_mul_lo_u32 v4, v10, s8
	s_cmp_eq_u32 s8, 1
	s_mov_b64 s[0:1], -1
	s_cbranch_scc1 .LBB273_16
; %bb.13:
	s_and_b32 s2, s8, 0x7ffffffe
	v_mov_b32_e32 v1, v0
	v_mov_b32_e32 v5, s7
	s_mov_b32 s3, s2
	v_mov_b32_e32 v2, v4
.LBB273_14:                             ; =>This Inner Loop Header: Depth=1
	v_ashrrev_i32_e32 v3, 31, v2
	v_lshlrev_b64 v[6:7], 2, v[2:3]
	v_add_co_u32_e32 v6, vcc, s6, v6
	v_addc_co_u32_e32 v7, vcc, v5, v7, vcc
	global_load_dwordx2 v[8:9], v[6:7], off
	s_add_i32 s3, s3, -2
	s_cmp_lg_u32 s3, 0
	v_add_u32_e32 v2, 2, v2
	s_waitcnt vmcnt(0)
	v_div_scale_f32 v3, s[0:1], v1, v1, v9
	v_div_scale_f32 v11, s[0:1], v0, v0, v8
	v_rcp_f32_e32 v12, v3
	v_rcp_f32_e32 v13, v11
	v_div_scale_f32 v10, vcc, v9, v1, v9
	v_fma_f32 v15, -v3, v12, 1.0
	v_fma_f32 v16, -v11, v13, 1.0
	v_fmac_f32_e32 v12, v15, v12
	v_div_scale_f32 v14, s[0:1], v8, v0, v8
	v_fmac_f32_e32 v13, v16, v13
	v_mul_f32_e32 v15, v10, v12
	v_mul_f32_e32 v16, v14, v13
	v_fma_f32 v17, -v3, v15, v10
	v_fma_f32 v18, -v11, v16, v14
	v_fmac_f32_e32 v15, v17, v12
	v_fmac_f32_e32 v16, v18, v13
	v_fma_f32 v3, -v3, v15, v10
	v_fma_f32 v10, -v11, v16, v14
	v_div_fmas_f32 v3, v3, v12, v15
	s_mov_b64 vcc, s[0:1]
	v_div_fixup_f32 v9, v3, v1, v9
	v_div_fmas_f32 v3, v10, v13, v16
	v_div_fixup_f32 v8, v3, v0, v8
	global_store_dwordx2 v[6:7], v[8:9], off
	s_cbranch_scc1 .LBB273_14
; %bb.15:
	s_cmp_lg_u32 s2, s8
	s_cselect_b64 s[0:1], -1, 0
.LBB273_16:
	s_and_b64 vcc, exec, s[0:1]
	s_cbranch_vccz .LBB273_19
; %bb.17:
	v_ashrrev_i32_e32 v1, 31, v4
	v_add_co_u32_e32 v2, vcc, s2, v4
	v_addc_co_u32_e32 v3, vcc, 0, v1, vcc
	v_lshlrev_b64 v[2:3], 2, v[2:3]
	v_mov_b32_e32 v1, s7
	v_add_co_u32_e32 v2, vcc, s6, v2
	s_sub_i32 s0, s8, s2
	v_addc_co_u32_e32 v3, vcc, v1, v3, vcc
.LBB273_18:                             ; =>This Inner Loop Header: Depth=1
	global_load_dword v1, v[2:3], off
	s_add_i32 s0, s0, -1
	s_cmp_lg_u32 s0, 0
	s_waitcnt vmcnt(0)
	v_div_scale_f32 v4, s[2:3], v0, v0, v1
	v_rcp_f32_e32 v5, v4
	v_div_scale_f32 v6, vcc, v1, v0, v1
	v_fma_f32 v7, -v4, v5, 1.0
	v_fmac_f32_e32 v5, v7, v5
	v_mul_f32_e32 v7, v6, v5
	v_fma_f32 v8, -v4, v7, v6
	v_fmac_f32_e32 v7, v8, v5
	v_fma_f32 v4, -v4, v7, v6
	v_div_fmas_f32 v4, v4, v5, v7
	v_div_fixup_f32 v1, v4, v0, v1
	global_store_dword v[2:3], v1, off
	v_add_co_u32_e32 v2, vcc, 4, v2
	v_addc_co_u32_e32 v3, vcc, 0, v3, vcc
	s_cbranch_scc1 .LBB273_18
.LBB273_19:
	s_endpgm
	.section	.rodata,"a",@progbits
	.p2align	6, 0x0
	.amdhsa_kernel _ZN4vllm3moe10topkGatingILi2ELi2ELi4ELi4ELi32Ej6__halfLNS0_11ScoringFuncE1EEEvPKT5_PKbPfiPT4_PiiiibPKf
		.amdhsa_group_segment_fixed_size 0
		.amdhsa_private_segment_fixed_size 0
		.amdhsa_kernarg_size 72
		.amdhsa_user_sgpr_count 6
		.amdhsa_user_sgpr_private_segment_buffer 1
		.amdhsa_user_sgpr_dispatch_ptr 0
		.amdhsa_user_sgpr_queue_ptr 0
		.amdhsa_user_sgpr_kernarg_segment_ptr 1
		.amdhsa_user_sgpr_dispatch_id 0
		.amdhsa_user_sgpr_flat_scratch_init 0
		.amdhsa_user_sgpr_kernarg_preload_length 0
		.amdhsa_user_sgpr_kernarg_preload_offset 0
		.amdhsa_user_sgpr_private_segment_size 0
		.amdhsa_uses_dynamic_stack 0
		.amdhsa_system_sgpr_private_segment_wavefront_offset 0
		.amdhsa_system_sgpr_workgroup_id_x 1
		.amdhsa_system_sgpr_workgroup_id_y 0
		.amdhsa_system_sgpr_workgroup_id_z 0
		.amdhsa_system_sgpr_workgroup_info 0
		.amdhsa_system_vgpr_workitem_id 1
		.amdhsa_next_free_vgpr 19
		.amdhsa_next_free_sgpr 24
		.amdhsa_accum_offset 20
		.amdhsa_reserve_vcc 1
		.amdhsa_reserve_flat_scratch 0
		.amdhsa_float_round_mode_32 0
		.amdhsa_float_round_mode_16_64 0
		.amdhsa_float_denorm_mode_32 3
		.amdhsa_float_denorm_mode_16_64 3
		.amdhsa_dx10_clamp 1
		.amdhsa_ieee_mode 1
		.amdhsa_fp16_overflow 0
		.amdhsa_tg_split 0
		.amdhsa_exception_fp_ieee_invalid_op 0
		.amdhsa_exception_fp_denorm_src 0
		.amdhsa_exception_fp_ieee_div_zero 0
		.amdhsa_exception_fp_ieee_overflow 0
		.amdhsa_exception_fp_ieee_underflow 0
		.amdhsa_exception_fp_ieee_inexact 0
		.amdhsa_exception_int_div_zero 0
	.end_amdhsa_kernel
	.section	.text._ZN4vllm3moe10topkGatingILi2ELi2ELi4ELi4ELi32Ej6__halfLNS0_11ScoringFuncE1EEEvPKT5_PKbPfiPT4_PiiiibPKf,"axG",@progbits,_ZN4vllm3moe10topkGatingILi2ELi2ELi4ELi4ELi32Ej6__halfLNS0_11ScoringFuncE1EEEvPKT5_PKbPfiPT4_PiiiibPKf,comdat
.Lfunc_end273:
	.size	_ZN4vllm3moe10topkGatingILi2ELi2ELi4ELi4ELi32Ej6__halfLNS0_11ScoringFuncE1EEEvPKT5_PKbPfiPT4_PiiiibPKf, .Lfunc_end273-_ZN4vllm3moe10topkGatingILi2ELi2ELi4ELi4ELi32Ej6__halfLNS0_11ScoringFuncE1EEEvPKT5_PKbPfiPT4_PiiiibPKf
                                        ; -- End function
	.section	.AMDGPU.csdata,"",@progbits
; Kernel info:
; codeLenInByte = 1248
; NumSgprs: 28
; NumVgprs: 19
; NumAgprs: 0
; TotalNumVgprs: 19
; ScratchSize: 0
; MemoryBound: 1
; FloatMode: 240
; IeeeMode: 1
; LDSByteSize: 0 bytes/workgroup (compile time only)
; SGPRBlocks: 3
; VGPRBlocks: 2
; NumSGPRsForWavesPerEU: 28
; NumVGPRsForWavesPerEU: 19
; AccumOffset: 20
; Occupancy: 8
; WaveLimiterHint : 0
; COMPUTE_PGM_RSRC2:SCRATCH_EN: 0
; COMPUTE_PGM_RSRC2:USER_SGPR: 6
; COMPUTE_PGM_RSRC2:TRAP_HANDLER: 0
; COMPUTE_PGM_RSRC2:TGID_X_EN: 1
; COMPUTE_PGM_RSRC2:TGID_Y_EN: 0
; COMPUTE_PGM_RSRC2:TGID_Z_EN: 0
; COMPUTE_PGM_RSRC2:TIDIG_COMP_CNT: 1
; COMPUTE_PGM_RSRC3_GFX90A:ACCUM_OFFSET: 4
; COMPUTE_PGM_RSRC3_GFX90A:TG_SPLIT: 0
	.section	.text._ZN4vllm3moe10topkGatingILi4ELi4ELi4ELi8ELi64Ej6__halfLNS0_11ScoringFuncE1EEEvPKT5_PKbPfiPT4_PiiiibPKf,"axG",@progbits,_ZN4vllm3moe10topkGatingILi4ELi4ELi4ELi8ELi64Ej6__halfLNS0_11ScoringFuncE1EEEvPKT5_PKbPfiPT4_PiiiibPKf,comdat
	.protected	_ZN4vllm3moe10topkGatingILi4ELi4ELi4ELi8ELi64Ej6__halfLNS0_11ScoringFuncE1EEEvPKT5_PKbPfiPT4_PiiiibPKf ; -- Begin function _ZN4vllm3moe10topkGatingILi4ELi4ELi4ELi8ELi64Ej6__halfLNS0_11ScoringFuncE1EEEvPKT5_PKbPfiPT4_PiiiibPKf
	.globl	_ZN4vllm3moe10topkGatingILi4ELi4ELi4ELi8ELi64Ej6__halfLNS0_11ScoringFuncE1EEEvPKT5_PKbPfiPT4_PiiiibPKf
	.p2align	8
	.type	_ZN4vllm3moe10topkGatingILi4ELi4ELi4ELi8ELi64Ej6__halfLNS0_11ScoringFuncE1EEEvPKT5_PKbPfiPT4_PiiiibPKf,@function
_ZN4vllm3moe10topkGatingILi4ELi4ELi4ELi8ELi64Ej6__halfLNS0_11ScoringFuncE1EEEvPKT5_PKbPfiPT4_PiiiibPKf: ; @_ZN4vllm3moe10topkGatingILi4ELi4ELi4ELi8ELi64Ej6__halfLNS0_11ScoringFuncE1EEEvPKT5_PKbPfiPT4_PiiiibPKf
; %bb.0:
	s_load_dword s16, s[4:5], 0x18
	v_bfe_u32 v1, v0, 10, 10
	s_lshl_b32 s0, s6, 8
	v_lshlrev_b32_e32 v1, 6, v1
	v_and_b32_e32 v0, 0x3ff, v0
	v_add3_u32 v14, v1, v0, s0
	s_waitcnt lgkmcnt(0)
	v_cmp_gt_i32_e32 vcc, s16, v14
	s_and_saveexec_b64 s[0:1], vcc
	s_cbranch_execz .LBB274_20
; %bb.1:
	s_load_dwordx4 s[0:3], s[4:5], 0x0
	s_load_dwordx2 s[12:13], s[4:5], 0x10
	s_mov_b64 s[8:9], -1
	s_mov_b64 s[14:15], -1
	s_waitcnt lgkmcnt(0)
	s_cmp_eq_u64 s[2:3], 0
	s_cbranch_scc1 .LBB274_3
; %bb.2:
	v_ashrrev_i32_e32 v1, 31, v14
	v_mov_b32_e32 v2, s3
	v_add_co_u32_e32 v0, vcc, s2, v14
	v_addc_co_u32_e32 v1, vcc, v2, v1, vcc
	global_load_ubyte v0, v[0:1], off
	s_waitcnt vmcnt(0)
	v_and_b32_e32 v0, 1, v0
	v_cmp_eq_u32_e32 vcc, 1, v0
	s_xor_b64 s[2:3], vcc, -1
	s_orn2_b64 s[14:15], s[2:3], exec
.LBB274_3:
	v_lshlrev_b32_e32 v0, 2, v14
	v_ashrrev_i32_e32 v1, 31, v0
	v_lshlrev_b64 v[0:1], 1, v[0:1]
	v_mov_b32_e32 v2, s1
	v_add_co_u32_e32 v0, vcc, s0, v0
	v_addc_co_u32_e32 v1, vcc, v2, v1, vcc
	global_load_dwordx2 v[0:1], v[0:1], off
	s_load_dwordx2 s[10:11], s[4:5], 0x40
	s_waitcnt lgkmcnt(0)
	s_cmp_eq_u64 s[10:11], 0
	s_waitcnt vmcnt(0)
	v_cvt_f32_f16_e32 v2, v0
	v_cvt_f32_f16_sdwa v0, v0 dst_sel:DWORD dst_unused:UNUSED_PAD src0_sel:WORD_1
	v_cvt_f32_f16_e32 v3, v1
	v_cvt_f32_f16_sdwa v1, v1 dst_sel:DWORD dst_unused:UNUSED_PAD src0_sel:WORD_1
	v_mul_f32_e32 v2, 0xbfb8aa3b, v2
	v_mul_f32_e32 v4, 0xbfb8aa3b, v0
	v_exp_f32_e32 v0, v2
	v_mul_f32_e32 v5, 0xbfb8aa3b, v1
	v_exp_f32_e32 v1, v4
	;; [unrolled: 2-line block ×3, first 2 shown]
	v_exp_f32_e32 v3, v5
	v_pk_add_f32 v[0:1], v[0:1], 1.0 op_sel_hi:[1,0]
	v_div_scale_f32 v5, s[0:1], v1, v1, 1.0
	v_rcp_f32_e32 v13, v5
	v_div_scale_f32 v7, s[0:1], v0, v0, 1.0
	v_pk_add_f32 v[2:3], v[2:3], 1.0 op_sel_hi:[1,0]
	v_rcp_f32_e32 v15, v7
	v_div_scale_f32 v9, s[2:3], v3, v3, 1.0
	v_rcp_f32_e32 v16, v9
	v_fma_f32 v18, -v5, v13, 1.0
	v_div_scale_f32 v6, vcc, 1.0, v1, 1.0
	v_div_scale_f32 v11, s[6:7], v2, v2, 1.0
	v_fmac_f32_e32 v13, v18, v13
	v_rcp_f32_e32 v17, v11
	v_fma_f32 v19, -v7, v15, 1.0
	v_mul_f32_e32 v18, v6, v13
	v_div_scale_f32 v8, s[0:1], 1.0, v0, 1.0
	v_fmac_f32_e32 v15, v19, v15
	v_fma_f32 v22, -v5, v18, v6
	v_fma_f32 v20, -v9, v16, 1.0
	v_mul_f32_e32 v19, v8, v15
	v_fmac_f32_e32 v18, v22, v13
	v_div_scale_f32 v10, s[2:3], 1.0, v3, 1.0
	v_fmac_f32_e32 v16, v20, v16
	v_fma_f32 v23, -v7, v19, v8
	v_fma_f32 v5, -v5, v18, v6
	v_fma_f32 v21, -v11, v17, 1.0
	v_mul_f32_e32 v20, v10, v16
	v_fmac_f32_e32 v19, v23, v15
	v_div_fmas_f32 v5, v5, v13, v18
	v_mov_b32_e32 v4, 0x207
	v_div_scale_f32 v12, s[6:7], 1.0, v2, 1.0
	v_fmac_f32_e32 v17, v21, v17
	v_fma_f32 v24, -v9, v20, v10
	v_fma_f32 v6, -v7, v19, v8
	v_div_fixup_f32 v1, v5, v1, 1.0
	s_mov_b64 vcc, s[0:1]
	v_mul_f32_e32 v21, v12, v17
	v_fmac_f32_e32 v20, v24, v16
	v_div_fmas_f32 v5, v6, v15, v19
	v_cmp_class_f32_e32 vcc, v1, v4
	v_fma_f32 v25, -v11, v21, v12
	v_fma_f32 v7, -v9, v20, v10
	v_div_fixup_f32 v0, v5, v0, 1.0
	v_cndmask_b32_e64 v1, v1, 0, vcc
	s_mov_b64 vcc, s[2:3]
	v_fmac_f32_e32 v21, v25, v17
	v_div_fmas_f32 v5, v7, v16, v20
	v_cmp_class_f32_e32 vcc, v0, v4
	v_fma_f32 v8, -v11, v21, v12
	v_cndmask_b32_e64 v0, v0, 0, vcc
	s_mov_b64 vcc, s[6:7]
	v_div_fixup_f32 v3, v5, v3, 1.0
	v_div_fmas_f32 v5, v8, v17, v21
	v_div_fixup_f32 v2, v5, v2, 1.0
	v_cmp_class_f32_e32 vcc, v3, v4
	v_cndmask_b32_e64 v3, v3, 0, vcc
	v_cmp_class_f32_e32 vcc, v2, v4
	v_cndmask_b32_e64 v2, v2, 0, vcc
	s_cbranch_scc1 .LBB274_10
; %bb.4:
	s_load_dwordx4 s[0:3], s[10:11], 0x0
	s_waitcnt lgkmcnt(0)
	v_pk_add_f32 v[4:5], s[0:1], v[0:1]
	v_pk_add_f32 v[6:7], s[2:3], v[2:3]
	s_cbranch_execnz .LBB274_6
.LBB274_5:
	v_pk_mov_b32 v[6:7], v[2:3], v[2:3] op_sel:[0,1]
	v_pk_mov_b32 v[4:5], v[0:1], v[0:1] op_sel:[0,1]
.LBB274_6:
	s_load_dwordx4 s[8:11], s[4:5], 0x30
	s_waitcnt lgkmcnt(0)
	s_bitcmp1_b32 s11, 0
	s_cselect_b64 vcc, -1, 0
	s_cmp_gt_i32 s8, 0
	s_cselect_b64 s[6:7], -1, 0
	s_cmp_lt_i32 s8, 1
	s_mov_b32 s11, 0
	s_cbranch_scc1 .LBB274_11
; %bb.7:
	s_load_dwordx4 s[20:23], s[4:5], 0x20
	v_mul_lo_u32 v8, v14, s8
	v_ashrrev_i32_e32 v9, 31, v8
	v_lshlrev_b64 v[12:13], 2, v[8:9]
	v_mov_b32_e32 v9, s13
	v_add_co_u32_e64 v8, s[0:1], s12, v12
	v_addc_co_u32_e64 v9, s[0:1], v9, v13, s[0:1]
	s_waitcnt lgkmcnt(0)
	v_mov_b32_e32 v11, s21
	v_add_co_u32_e64 v10, s[0:1], s20, v12
	v_addc_co_u32_e64 v11, s[0:1], v11, v13, s[0:1]
	v_mov_b32_e32 v15, s23
	v_add_co_u32_e64 v12, s[0:1], s22, v12
	v_addc_co_u32_e64 v13, s[0:1], v15, v13, s[0:1]
	v_mov_b32_e32 v15, 0
	v_mov_b32_e32 v16, 0xc61c4000
	;; [unrolled: 1-line block ×3, first 2 shown]
.LBB274_8:                              ; =>This Inner Loop Header: Depth=1
	v_cmp_gt_f32_e64 s[0:1], v5, v4
	v_cndmask_b32_e64 v20, v4, v5, s[0:1]
	v_cndmask_b32_e64 v18, 0, 1, s[0:1]
	;; [unrolled: 1-line block ×3, first 2 shown]
	v_cmp_gt_f32_e64 s[0:1], v6, v20
	v_cndmask_b32_e64 v20, v20, v6, s[0:1]
	v_cndmask_b32_e64 v18, v18, 2, s[0:1]
	;; [unrolled: 1-line block ×3, first 2 shown]
	v_cmp_gt_f32_e64 s[0:1], v7, v20
	v_cndmask_b32_e64 v18, v18, 3, s[0:1]
	v_cndmask_b32_e64 v19, v19, v3, s[0:1]
	v_cmp_le_i32_e64 s[0:1], s9, v18
	v_cmp_gt_i32_e64 s[2:3], s10, v18
	s_and_b64 s[0:1], s[0:1], s[2:3]
	v_subrev_u32_e32 v20, s9, v18
	s_and_b64 s[0:1], s[14:15], s[0:1]
	global_store_dword v[8:9], v19, off
	v_cndmask_b32_e64 v20, 4, v20, s[0:1]
	v_add_f32_e32 v19, v15, v19
	v_cmp_ne_u32_e64 s[0:1], 0, v18
	v_cndmask_b32_e32 v15, v15, v19, vcc
	v_cndmask_b32_e64 v19, v16, v4, s[0:1]
	v_cmp_ne_u32_e64 s[0:1], 1, v18
	global_store_dword v[10:11], v20, off
	global_store_dword v[12:13], v17, off
	s_add_i32 s11, s11, 1
	v_cndmask_b32_e64 v20, v16, v5, s[0:1]
	v_cmp_ne_u32_e64 s[0:1], 2, v18
	s_cmp_lt_i32 s11, s8
	v_cndmask_b32_e64 v21, v16, v6, s[0:1]
	v_cmp_ne_u32_e64 s[0:1], 3, v18
	v_cndmask_b32_e64 v18, v16, v7, s[0:1]
	s_cselect_b64 s[0:1], -1, 0
	v_cndmask_b32_e64 v7, v7, v18, s[0:1]
	v_cndmask_b32_e64 v6, v6, v21, s[0:1]
	;; [unrolled: 1-line block ×4, first 2 shown]
	v_add_co_u32_e64 v8, s[0:1], 4, v8
	v_addc_co_u32_e64 v9, s[0:1], 0, v9, s[0:1]
	v_add_co_u32_e64 v10, s[0:1], 4, v10
	v_addc_co_u32_e64 v11, s[0:1], 0, v11, s[0:1]
	v_add_co_u32_e64 v12, s[0:1], 4, v12
	v_add_u32_e32 v17, s16, v17
	s_cmp_eq_u32 s8, s11
	v_addc_co_u32_e64 v13, s[0:1], 0, v13, s[0:1]
	s_cbranch_scc0 .LBB274_8
; %bb.9:
	s_and_b64 vcc, exec, vcc
	s_cbranch_vccnz .LBB274_12
	s_branch .LBB274_20
.LBB274_10:
                                        ; implicit-def: $vgpr4_vgpr5_vgpr6_vgpr7
	s_andn2_b64 vcc, exec, s[8:9]
	s_cbranch_vccz .LBB274_5
	s_branch .LBB274_6
.LBB274_11:
	v_mov_b32_e32 v15, 0
	s_and_b64 vcc, exec, vcc
	s_cbranch_vccz .LBB274_20
.LBB274_12:
	s_andn2_b64 vcc, exec, s[6:7]
	s_cbranch_vccnz .LBB274_20
; %bb.13:
	v_cmp_lt_f32_e32 vcc, 0, v15
	s_mov_b32 s2, 0
	v_cndmask_b32_e32 v0, 1.0, v15, vcc
	v_mul_lo_u32 v4, v14, s8
	s_cmp_eq_u32 s8, 1
	s_mov_b64 s[0:1], -1
	s_cbranch_scc1 .LBB274_17
; %bb.14:
	s_and_b32 s2, s8, 0x7ffffffe
	v_mov_b32_e32 v1, v0
	v_mov_b32_e32 v5, s13
	s_mov_b32 s3, s2
	v_mov_b32_e32 v2, v4
.LBB274_15:                             ; =>This Inner Loop Header: Depth=1
	v_ashrrev_i32_e32 v3, 31, v2
	v_lshlrev_b64 v[6:7], 2, v[2:3]
	v_add_co_u32_e32 v6, vcc, s12, v6
	v_addc_co_u32_e32 v7, vcc, v5, v7, vcc
	global_load_dwordx2 v[8:9], v[6:7], off
	s_add_i32 s3, s3, -2
	s_cmp_lg_u32 s3, 0
	v_add_u32_e32 v2, 2, v2
	s_waitcnt vmcnt(0)
	v_div_scale_f32 v3, s[0:1], v1, v1, v9
	v_div_scale_f32 v11, s[0:1], v0, v0, v8
	v_rcp_f32_e32 v12, v3
	v_rcp_f32_e32 v13, v11
	v_div_scale_f32 v10, vcc, v9, v1, v9
	v_fma_f32 v15, -v3, v12, 1.0
	v_fma_f32 v16, -v11, v13, 1.0
	v_fmac_f32_e32 v12, v15, v12
	v_div_scale_f32 v14, s[0:1], v8, v0, v8
	v_fmac_f32_e32 v13, v16, v13
	v_mul_f32_e32 v15, v10, v12
	v_mul_f32_e32 v16, v14, v13
	v_fma_f32 v17, -v3, v15, v10
	v_fma_f32 v18, -v11, v16, v14
	v_fmac_f32_e32 v15, v17, v12
	v_fmac_f32_e32 v16, v18, v13
	v_fma_f32 v3, -v3, v15, v10
	v_fma_f32 v10, -v11, v16, v14
	v_div_fmas_f32 v3, v3, v12, v15
	s_mov_b64 vcc, s[0:1]
	v_div_fixup_f32 v9, v3, v1, v9
	v_div_fmas_f32 v3, v10, v13, v16
	v_div_fixup_f32 v8, v3, v0, v8
	global_store_dwordx2 v[6:7], v[8:9], off
	s_cbranch_scc1 .LBB274_15
; %bb.16:
	s_cmp_lg_u32 s2, s8
	s_cselect_b64 s[0:1], -1, 0
.LBB274_17:
	s_and_b64 vcc, exec, s[0:1]
	s_cbranch_vccz .LBB274_20
; %bb.18:
	v_ashrrev_i32_e32 v1, 31, v4
	v_add_co_u32_e32 v2, vcc, s2, v4
	v_addc_co_u32_e32 v3, vcc, 0, v1, vcc
	v_lshlrev_b64 v[2:3], 2, v[2:3]
	v_mov_b32_e32 v1, s13
	v_add_co_u32_e32 v2, vcc, s12, v2
	s_sub_i32 s0, s8, s2
	v_addc_co_u32_e32 v3, vcc, v1, v3, vcc
.LBB274_19:                             ; =>This Inner Loop Header: Depth=1
	global_load_dword v1, v[2:3], off
	s_add_i32 s0, s0, -1
	s_cmp_lg_u32 s0, 0
	s_waitcnt vmcnt(0)
	v_div_scale_f32 v4, s[2:3], v0, v0, v1
	v_rcp_f32_e32 v5, v4
	v_div_scale_f32 v6, vcc, v1, v0, v1
	v_fma_f32 v7, -v4, v5, 1.0
	v_fmac_f32_e32 v5, v7, v5
	v_mul_f32_e32 v7, v6, v5
	v_fma_f32 v8, -v4, v7, v6
	v_fmac_f32_e32 v7, v8, v5
	v_fma_f32 v4, -v4, v7, v6
	v_div_fmas_f32 v4, v4, v5, v7
	v_div_fixup_f32 v1, v4, v0, v1
	global_store_dword v[2:3], v1, off
	v_add_co_u32_e32 v2, vcc, 4, v2
	v_addc_co_u32_e32 v3, vcc, 0, v3, vcc
	s_cbranch_scc1 .LBB274_19
.LBB274_20:
	s_endpgm
	.section	.rodata,"a",@progbits
	.p2align	6, 0x0
	.amdhsa_kernel _ZN4vllm3moe10topkGatingILi4ELi4ELi4ELi8ELi64Ej6__halfLNS0_11ScoringFuncE1EEEvPKT5_PKbPfiPT4_PiiiibPKf
		.amdhsa_group_segment_fixed_size 0
		.amdhsa_private_segment_fixed_size 0
		.amdhsa_kernarg_size 72
		.amdhsa_user_sgpr_count 6
		.amdhsa_user_sgpr_private_segment_buffer 1
		.amdhsa_user_sgpr_dispatch_ptr 0
		.amdhsa_user_sgpr_queue_ptr 0
		.amdhsa_user_sgpr_kernarg_segment_ptr 1
		.amdhsa_user_sgpr_dispatch_id 0
		.amdhsa_user_sgpr_flat_scratch_init 0
		.amdhsa_user_sgpr_kernarg_preload_length 0
		.amdhsa_user_sgpr_kernarg_preload_offset 0
		.amdhsa_user_sgpr_private_segment_size 0
		.amdhsa_uses_dynamic_stack 0
		.amdhsa_system_sgpr_private_segment_wavefront_offset 0
		.amdhsa_system_sgpr_workgroup_id_x 1
		.amdhsa_system_sgpr_workgroup_id_y 0
		.amdhsa_system_sgpr_workgroup_id_z 0
		.amdhsa_system_sgpr_workgroup_info 0
		.amdhsa_system_vgpr_workitem_id 1
		.amdhsa_next_free_vgpr 26
		.amdhsa_next_free_sgpr 24
		.amdhsa_accum_offset 28
		.amdhsa_reserve_vcc 1
		.amdhsa_reserve_flat_scratch 0
		.amdhsa_float_round_mode_32 0
		.amdhsa_float_round_mode_16_64 0
		.amdhsa_float_denorm_mode_32 3
		.amdhsa_float_denorm_mode_16_64 3
		.amdhsa_dx10_clamp 1
		.amdhsa_ieee_mode 1
		.amdhsa_fp16_overflow 0
		.amdhsa_tg_split 0
		.amdhsa_exception_fp_ieee_invalid_op 0
		.amdhsa_exception_fp_denorm_src 0
		.amdhsa_exception_fp_ieee_div_zero 0
		.amdhsa_exception_fp_ieee_overflow 0
		.amdhsa_exception_fp_ieee_underflow 0
		.amdhsa_exception_fp_ieee_inexact 0
		.amdhsa_exception_int_div_zero 0
	.end_amdhsa_kernel
	.section	.text._ZN4vllm3moe10topkGatingILi4ELi4ELi4ELi8ELi64Ej6__halfLNS0_11ScoringFuncE1EEEvPKT5_PKbPfiPT4_PiiiibPKf,"axG",@progbits,_ZN4vllm3moe10topkGatingILi4ELi4ELi4ELi8ELi64Ej6__halfLNS0_11ScoringFuncE1EEEvPKT5_PKbPfiPT4_PiiiibPKf,comdat
.Lfunc_end274:
	.size	_ZN4vllm3moe10topkGatingILi4ELi4ELi4ELi8ELi64Ej6__halfLNS0_11ScoringFuncE1EEEvPKT5_PKbPfiPT4_PiiiibPKf, .Lfunc_end274-_ZN4vllm3moe10topkGatingILi4ELi4ELi4ELi8ELi64Ej6__halfLNS0_11ScoringFuncE1EEEvPKT5_PKbPfiPT4_PiiiibPKf
                                        ; -- End function
	.section	.AMDGPU.csdata,"",@progbits
; Kernel info:
; codeLenInByte = 1632
; NumSgprs: 28
; NumVgprs: 26
; NumAgprs: 0
; TotalNumVgprs: 26
; ScratchSize: 0
; MemoryBound: 1
; FloatMode: 240
; IeeeMode: 1
; LDSByteSize: 0 bytes/workgroup (compile time only)
; SGPRBlocks: 3
; VGPRBlocks: 3
; NumSGPRsForWavesPerEU: 28
; NumVGPRsForWavesPerEU: 26
; AccumOffset: 28
; Occupancy: 8
; WaveLimiterHint : 0
; COMPUTE_PGM_RSRC2:SCRATCH_EN: 0
; COMPUTE_PGM_RSRC2:USER_SGPR: 6
; COMPUTE_PGM_RSRC2:TRAP_HANDLER: 0
; COMPUTE_PGM_RSRC2:TGID_X_EN: 1
; COMPUTE_PGM_RSRC2:TGID_Y_EN: 0
; COMPUTE_PGM_RSRC2:TGID_Z_EN: 0
; COMPUTE_PGM_RSRC2:TIDIG_COMP_CNT: 1
; COMPUTE_PGM_RSRC3_GFX90A:ACCUM_OFFSET: 6
; COMPUTE_PGM_RSRC3_GFX90A:TG_SPLIT: 0
	.section	.text._ZN4vllm3moe10topkGatingILi4ELi4ELi4ELi8ELi32Ej6__halfLNS0_11ScoringFuncE1EEEvPKT5_PKbPfiPT4_PiiiibPKf,"axG",@progbits,_ZN4vllm3moe10topkGatingILi4ELi4ELi4ELi8ELi32Ej6__halfLNS0_11ScoringFuncE1EEEvPKT5_PKbPfiPT4_PiiiibPKf,comdat
	.protected	_ZN4vllm3moe10topkGatingILi4ELi4ELi4ELi8ELi32Ej6__halfLNS0_11ScoringFuncE1EEEvPKT5_PKbPfiPT4_PiiiibPKf ; -- Begin function _ZN4vllm3moe10topkGatingILi4ELi4ELi4ELi8ELi32Ej6__halfLNS0_11ScoringFuncE1EEEvPKT5_PKbPfiPT4_PiiiibPKf
	.globl	_ZN4vllm3moe10topkGatingILi4ELi4ELi4ELi8ELi32Ej6__halfLNS0_11ScoringFuncE1EEEvPKT5_PKbPfiPT4_PiiiibPKf
	.p2align	8
	.type	_ZN4vllm3moe10topkGatingILi4ELi4ELi4ELi8ELi32Ej6__halfLNS0_11ScoringFuncE1EEEvPKT5_PKbPfiPT4_PiiiibPKf,@function
_ZN4vllm3moe10topkGatingILi4ELi4ELi4ELi8ELi32Ej6__halfLNS0_11ScoringFuncE1EEEvPKT5_PKbPfiPT4_PiiiibPKf: ; @_ZN4vllm3moe10topkGatingILi4ELi4ELi4ELi8ELi32Ej6__halfLNS0_11ScoringFuncE1EEEvPKT5_PKbPfiPT4_PiiiibPKf
; %bb.0:
	s_load_dword s16, s[4:5], 0x18
	v_bfe_u32 v1, v0, 10, 10
	s_lshl_b32 s0, s6, 7
	v_lshlrev_b32_e32 v1, 5, v1
	v_and_b32_e32 v0, 0x3ff, v0
	v_add3_u32 v14, v1, v0, s0
	s_waitcnt lgkmcnt(0)
	v_cmp_gt_i32_e32 vcc, s16, v14
	s_and_saveexec_b64 s[0:1], vcc
	s_cbranch_execz .LBB275_20
; %bb.1:
	s_load_dwordx4 s[0:3], s[4:5], 0x0
	s_load_dwordx2 s[12:13], s[4:5], 0x10
	s_mov_b64 s[8:9], -1
	s_mov_b64 s[14:15], -1
	s_waitcnt lgkmcnt(0)
	s_cmp_eq_u64 s[2:3], 0
	s_cbranch_scc1 .LBB275_3
; %bb.2:
	v_ashrrev_i32_e32 v1, 31, v14
	v_mov_b32_e32 v2, s3
	v_add_co_u32_e32 v0, vcc, s2, v14
	v_addc_co_u32_e32 v1, vcc, v2, v1, vcc
	global_load_ubyte v0, v[0:1], off
	s_waitcnt vmcnt(0)
	v_and_b32_e32 v0, 1, v0
	v_cmp_eq_u32_e32 vcc, 1, v0
	s_xor_b64 s[2:3], vcc, -1
	s_orn2_b64 s[14:15], s[2:3], exec
.LBB275_3:
	v_lshlrev_b32_e32 v0, 2, v14
	v_ashrrev_i32_e32 v1, 31, v0
	v_lshlrev_b64 v[0:1], 1, v[0:1]
	v_mov_b32_e32 v2, s1
	v_add_co_u32_e32 v0, vcc, s0, v0
	v_addc_co_u32_e32 v1, vcc, v2, v1, vcc
	global_load_dwordx2 v[0:1], v[0:1], off
	s_load_dwordx2 s[10:11], s[4:5], 0x40
	s_waitcnt lgkmcnt(0)
	s_cmp_eq_u64 s[10:11], 0
	s_waitcnt vmcnt(0)
	v_cvt_f32_f16_e32 v2, v0
	v_cvt_f32_f16_sdwa v0, v0 dst_sel:DWORD dst_unused:UNUSED_PAD src0_sel:WORD_1
	v_cvt_f32_f16_e32 v3, v1
	v_cvt_f32_f16_sdwa v1, v1 dst_sel:DWORD dst_unused:UNUSED_PAD src0_sel:WORD_1
	v_mul_f32_e32 v2, 0xbfb8aa3b, v2
	v_mul_f32_e32 v4, 0xbfb8aa3b, v0
	v_exp_f32_e32 v0, v2
	v_mul_f32_e32 v5, 0xbfb8aa3b, v1
	v_exp_f32_e32 v1, v4
	;; [unrolled: 2-line block ×3, first 2 shown]
	v_exp_f32_e32 v3, v5
	v_pk_add_f32 v[0:1], v[0:1], 1.0 op_sel_hi:[1,0]
	v_div_scale_f32 v5, s[0:1], v1, v1, 1.0
	v_rcp_f32_e32 v13, v5
	v_div_scale_f32 v7, s[0:1], v0, v0, 1.0
	v_pk_add_f32 v[2:3], v[2:3], 1.0 op_sel_hi:[1,0]
	v_rcp_f32_e32 v15, v7
	v_div_scale_f32 v9, s[2:3], v3, v3, 1.0
	v_rcp_f32_e32 v16, v9
	v_fma_f32 v18, -v5, v13, 1.0
	v_div_scale_f32 v6, vcc, 1.0, v1, 1.0
	v_div_scale_f32 v11, s[6:7], v2, v2, 1.0
	v_fmac_f32_e32 v13, v18, v13
	v_rcp_f32_e32 v17, v11
	v_fma_f32 v19, -v7, v15, 1.0
	v_mul_f32_e32 v18, v6, v13
	v_div_scale_f32 v8, s[0:1], 1.0, v0, 1.0
	v_fmac_f32_e32 v15, v19, v15
	v_fma_f32 v22, -v5, v18, v6
	v_fma_f32 v20, -v9, v16, 1.0
	v_mul_f32_e32 v19, v8, v15
	v_fmac_f32_e32 v18, v22, v13
	v_div_scale_f32 v10, s[2:3], 1.0, v3, 1.0
	v_fmac_f32_e32 v16, v20, v16
	v_fma_f32 v23, -v7, v19, v8
	v_fma_f32 v5, -v5, v18, v6
	v_fma_f32 v21, -v11, v17, 1.0
	v_mul_f32_e32 v20, v10, v16
	v_fmac_f32_e32 v19, v23, v15
	v_div_fmas_f32 v5, v5, v13, v18
	v_mov_b32_e32 v4, 0x207
	v_div_scale_f32 v12, s[6:7], 1.0, v2, 1.0
	v_fmac_f32_e32 v17, v21, v17
	v_fma_f32 v24, -v9, v20, v10
	v_fma_f32 v6, -v7, v19, v8
	v_div_fixup_f32 v1, v5, v1, 1.0
	s_mov_b64 vcc, s[0:1]
	v_mul_f32_e32 v21, v12, v17
	v_fmac_f32_e32 v20, v24, v16
	v_div_fmas_f32 v5, v6, v15, v19
	v_cmp_class_f32_e32 vcc, v1, v4
	v_fma_f32 v25, -v11, v21, v12
	v_fma_f32 v7, -v9, v20, v10
	v_div_fixup_f32 v0, v5, v0, 1.0
	v_cndmask_b32_e64 v1, v1, 0, vcc
	s_mov_b64 vcc, s[2:3]
	v_fmac_f32_e32 v21, v25, v17
	v_div_fmas_f32 v5, v7, v16, v20
	v_cmp_class_f32_e32 vcc, v0, v4
	v_fma_f32 v8, -v11, v21, v12
	v_cndmask_b32_e64 v0, v0, 0, vcc
	s_mov_b64 vcc, s[6:7]
	v_div_fixup_f32 v3, v5, v3, 1.0
	v_div_fmas_f32 v5, v8, v17, v21
	v_div_fixup_f32 v2, v5, v2, 1.0
	v_cmp_class_f32_e32 vcc, v3, v4
	v_cndmask_b32_e64 v3, v3, 0, vcc
	v_cmp_class_f32_e32 vcc, v2, v4
	v_cndmask_b32_e64 v2, v2, 0, vcc
	s_cbranch_scc1 .LBB275_10
; %bb.4:
	s_load_dwordx4 s[0:3], s[10:11], 0x0
	s_waitcnt lgkmcnt(0)
	v_pk_add_f32 v[4:5], s[0:1], v[0:1]
	v_pk_add_f32 v[6:7], s[2:3], v[2:3]
	s_cbranch_execnz .LBB275_6
.LBB275_5:
	v_pk_mov_b32 v[6:7], v[2:3], v[2:3] op_sel:[0,1]
	v_pk_mov_b32 v[4:5], v[0:1], v[0:1] op_sel:[0,1]
.LBB275_6:
	s_load_dwordx4 s[8:11], s[4:5], 0x30
	s_waitcnt lgkmcnt(0)
	s_bitcmp1_b32 s11, 0
	s_cselect_b64 vcc, -1, 0
	s_cmp_gt_i32 s8, 0
	s_cselect_b64 s[6:7], -1, 0
	s_cmp_lt_i32 s8, 1
	s_mov_b32 s11, 0
	s_cbranch_scc1 .LBB275_11
; %bb.7:
	s_load_dwordx4 s[20:23], s[4:5], 0x20
	v_mul_lo_u32 v8, v14, s8
	v_ashrrev_i32_e32 v9, 31, v8
	v_lshlrev_b64 v[12:13], 2, v[8:9]
	v_mov_b32_e32 v9, s13
	v_add_co_u32_e64 v8, s[0:1], s12, v12
	v_addc_co_u32_e64 v9, s[0:1], v9, v13, s[0:1]
	s_waitcnt lgkmcnt(0)
	v_mov_b32_e32 v11, s21
	v_add_co_u32_e64 v10, s[0:1], s20, v12
	v_addc_co_u32_e64 v11, s[0:1], v11, v13, s[0:1]
	v_mov_b32_e32 v15, s23
	v_add_co_u32_e64 v12, s[0:1], s22, v12
	v_addc_co_u32_e64 v13, s[0:1], v15, v13, s[0:1]
	v_mov_b32_e32 v15, 0
	v_mov_b32_e32 v16, 0xc61c4000
	;; [unrolled: 1-line block ×3, first 2 shown]
.LBB275_8:                              ; =>This Inner Loop Header: Depth=1
	v_cmp_gt_f32_e64 s[0:1], v5, v4
	v_cndmask_b32_e64 v20, v4, v5, s[0:1]
	v_cndmask_b32_e64 v18, 0, 1, s[0:1]
	;; [unrolled: 1-line block ×3, first 2 shown]
	v_cmp_gt_f32_e64 s[0:1], v6, v20
	v_cndmask_b32_e64 v20, v20, v6, s[0:1]
	v_cndmask_b32_e64 v18, v18, 2, s[0:1]
	;; [unrolled: 1-line block ×3, first 2 shown]
	v_cmp_gt_f32_e64 s[0:1], v7, v20
	v_cndmask_b32_e64 v18, v18, 3, s[0:1]
	v_cndmask_b32_e64 v19, v19, v3, s[0:1]
	v_cmp_le_i32_e64 s[0:1], s9, v18
	v_cmp_gt_i32_e64 s[2:3], s10, v18
	s_and_b64 s[0:1], s[0:1], s[2:3]
	v_subrev_u32_e32 v20, s9, v18
	s_and_b64 s[0:1], s[14:15], s[0:1]
	global_store_dword v[8:9], v19, off
	v_cndmask_b32_e64 v20, 4, v20, s[0:1]
	v_add_f32_e32 v19, v15, v19
	v_cmp_ne_u32_e64 s[0:1], 0, v18
	v_cndmask_b32_e32 v15, v15, v19, vcc
	v_cndmask_b32_e64 v19, v16, v4, s[0:1]
	v_cmp_ne_u32_e64 s[0:1], 1, v18
	global_store_dword v[10:11], v20, off
	global_store_dword v[12:13], v17, off
	s_add_i32 s11, s11, 1
	v_cndmask_b32_e64 v20, v16, v5, s[0:1]
	v_cmp_ne_u32_e64 s[0:1], 2, v18
	s_cmp_lt_i32 s11, s8
	v_cndmask_b32_e64 v21, v16, v6, s[0:1]
	v_cmp_ne_u32_e64 s[0:1], 3, v18
	v_cndmask_b32_e64 v18, v16, v7, s[0:1]
	s_cselect_b64 s[0:1], -1, 0
	v_cndmask_b32_e64 v7, v7, v18, s[0:1]
	v_cndmask_b32_e64 v6, v6, v21, s[0:1]
	;; [unrolled: 1-line block ×4, first 2 shown]
	v_add_co_u32_e64 v8, s[0:1], 4, v8
	v_addc_co_u32_e64 v9, s[0:1], 0, v9, s[0:1]
	v_add_co_u32_e64 v10, s[0:1], 4, v10
	v_addc_co_u32_e64 v11, s[0:1], 0, v11, s[0:1]
	v_add_co_u32_e64 v12, s[0:1], 4, v12
	v_add_u32_e32 v17, s16, v17
	s_cmp_eq_u32 s8, s11
	v_addc_co_u32_e64 v13, s[0:1], 0, v13, s[0:1]
	s_cbranch_scc0 .LBB275_8
; %bb.9:
	s_and_b64 vcc, exec, vcc
	s_cbranch_vccnz .LBB275_12
	s_branch .LBB275_20
.LBB275_10:
                                        ; implicit-def: $vgpr4_vgpr5_vgpr6_vgpr7
	s_andn2_b64 vcc, exec, s[8:9]
	s_cbranch_vccz .LBB275_5
	s_branch .LBB275_6
.LBB275_11:
	v_mov_b32_e32 v15, 0
	s_and_b64 vcc, exec, vcc
	s_cbranch_vccz .LBB275_20
.LBB275_12:
	s_andn2_b64 vcc, exec, s[6:7]
	s_cbranch_vccnz .LBB275_20
; %bb.13:
	v_cmp_lt_f32_e32 vcc, 0, v15
	s_mov_b32 s2, 0
	v_cndmask_b32_e32 v0, 1.0, v15, vcc
	v_mul_lo_u32 v4, v14, s8
	s_cmp_eq_u32 s8, 1
	s_mov_b64 s[0:1], -1
	s_cbranch_scc1 .LBB275_17
; %bb.14:
	s_and_b32 s2, s8, 0x7ffffffe
	v_mov_b32_e32 v1, v0
	v_mov_b32_e32 v5, s13
	s_mov_b32 s3, s2
	v_mov_b32_e32 v2, v4
.LBB275_15:                             ; =>This Inner Loop Header: Depth=1
	v_ashrrev_i32_e32 v3, 31, v2
	v_lshlrev_b64 v[6:7], 2, v[2:3]
	v_add_co_u32_e32 v6, vcc, s12, v6
	v_addc_co_u32_e32 v7, vcc, v5, v7, vcc
	global_load_dwordx2 v[8:9], v[6:7], off
	s_add_i32 s3, s3, -2
	s_cmp_lg_u32 s3, 0
	v_add_u32_e32 v2, 2, v2
	s_waitcnt vmcnt(0)
	v_div_scale_f32 v3, s[0:1], v1, v1, v9
	v_div_scale_f32 v11, s[0:1], v0, v0, v8
	v_rcp_f32_e32 v12, v3
	v_rcp_f32_e32 v13, v11
	v_div_scale_f32 v10, vcc, v9, v1, v9
	v_fma_f32 v15, -v3, v12, 1.0
	v_fma_f32 v16, -v11, v13, 1.0
	v_fmac_f32_e32 v12, v15, v12
	v_div_scale_f32 v14, s[0:1], v8, v0, v8
	v_fmac_f32_e32 v13, v16, v13
	v_mul_f32_e32 v15, v10, v12
	v_mul_f32_e32 v16, v14, v13
	v_fma_f32 v17, -v3, v15, v10
	v_fma_f32 v18, -v11, v16, v14
	v_fmac_f32_e32 v15, v17, v12
	v_fmac_f32_e32 v16, v18, v13
	v_fma_f32 v3, -v3, v15, v10
	v_fma_f32 v10, -v11, v16, v14
	v_div_fmas_f32 v3, v3, v12, v15
	s_mov_b64 vcc, s[0:1]
	v_div_fixup_f32 v9, v3, v1, v9
	v_div_fmas_f32 v3, v10, v13, v16
	v_div_fixup_f32 v8, v3, v0, v8
	global_store_dwordx2 v[6:7], v[8:9], off
	s_cbranch_scc1 .LBB275_15
; %bb.16:
	s_cmp_lg_u32 s2, s8
	s_cselect_b64 s[0:1], -1, 0
.LBB275_17:
	s_and_b64 vcc, exec, s[0:1]
	s_cbranch_vccz .LBB275_20
; %bb.18:
	v_ashrrev_i32_e32 v1, 31, v4
	v_add_co_u32_e32 v2, vcc, s2, v4
	v_addc_co_u32_e32 v3, vcc, 0, v1, vcc
	v_lshlrev_b64 v[2:3], 2, v[2:3]
	v_mov_b32_e32 v1, s13
	v_add_co_u32_e32 v2, vcc, s12, v2
	s_sub_i32 s0, s8, s2
	v_addc_co_u32_e32 v3, vcc, v1, v3, vcc
.LBB275_19:                             ; =>This Inner Loop Header: Depth=1
	global_load_dword v1, v[2:3], off
	s_add_i32 s0, s0, -1
	s_cmp_lg_u32 s0, 0
	s_waitcnt vmcnt(0)
	v_div_scale_f32 v4, s[2:3], v0, v0, v1
	v_rcp_f32_e32 v5, v4
	v_div_scale_f32 v6, vcc, v1, v0, v1
	v_fma_f32 v7, -v4, v5, 1.0
	v_fmac_f32_e32 v5, v7, v5
	v_mul_f32_e32 v7, v6, v5
	v_fma_f32 v8, -v4, v7, v6
	v_fmac_f32_e32 v7, v8, v5
	v_fma_f32 v4, -v4, v7, v6
	v_div_fmas_f32 v4, v4, v5, v7
	v_div_fixup_f32 v1, v4, v0, v1
	global_store_dword v[2:3], v1, off
	v_add_co_u32_e32 v2, vcc, 4, v2
	v_addc_co_u32_e32 v3, vcc, 0, v3, vcc
	s_cbranch_scc1 .LBB275_19
.LBB275_20:
	s_endpgm
	.section	.rodata,"a",@progbits
	.p2align	6, 0x0
	.amdhsa_kernel _ZN4vllm3moe10topkGatingILi4ELi4ELi4ELi8ELi32Ej6__halfLNS0_11ScoringFuncE1EEEvPKT5_PKbPfiPT4_PiiiibPKf
		.amdhsa_group_segment_fixed_size 0
		.amdhsa_private_segment_fixed_size 0
		.amdhsa_kernarg_size 72
		.amdhsa_user_sgpr_count 6
		.amdhsa_user_sgpr_private_segment_buffer 1
		.amdhsa_user_sgpr_dispatch_ptr 0
		.amdhsa_user_sgpr_queue_ptr 0
		.amdhsa_user_sgpr_kernarg_segment_ptr 1
		.amdhsa_user_sgpr_dispatch_id 0
		.amdhsa_user_sgpr_flat_scratch_init 0
		.amdhsa_user_sgpr_kernarg_preload_length 0
		.amdhsa_user_sgpr_kernarg_preload_offset 0
		.amdhsa_user_sgpr_private_segment_size 0
		.amdhsa_uses_dynamic_stack 0
		.amdhsa_system_sgpr_private_segment_wavefront_offset 0
		.amdhsa_system_sgpr_workgroup_id_x 1
		.amdhsa_system_sgpr_workgroup_id_y 0
		.amdhsa_system_sgpr_workgroup_id_z 0
		.amdhsa_system_sgpr_workgroup_info 0
		.amdhsa_system_vgpr_workitem_id 1
		.amdhsa_next_free_vgpr 26
		.amdhsa_next_free_sgpr 24
		.amdhsa_accum_offset 28
		.amdhsa_reserve_vcc 1
		.amdhsa_reserve_flat_scratch 0
		.amdhsa_float_round_mode_32 0
		.amdhsa_float_round_mode_16_64 0
		.amdhsa_float_denorm_mode_32 3
		.amdhsa_float_denorm_mode_16_64 3
		.amdhsa_dx10_clamp 1
		.amdhsa_ieee_mode 1
		.amdhsa_fp16_overflow 0
		.amdhsa_tg_split 0
		.amdhsa_exception_fp_ieee_invalid_op 0
		.amdhsa_exception_fp_denorm_src 0
		.amdhsa_exception_fp_ieee_div_zero 0
		.amdhsa_exception_fp_ieee_overflow 0
		.amdhsa_exception_fp_ieee_underflow 0
		.amdhsa_exception_fp_ieee_inexact 0
		.amdhsa_exception_int_div_zero 0
	.end_amdhsa_kernel
	.section	.text._ZN4vllm3moe10topkGatingILi4ELi4ELi4ELi8ELi32Ej6__halfLNS0_11ScoringFuncE1EEEvPKT5_PKbPfiPT4_PiiiibPKf,"axG",@progbits,_ZN4vllm3moe10topkGatingILi4ELi4ELi4ELi8ELi32Ej6__halfLNS0_11ScoringFuncE1EEEvPKT5_PKbPfiPT4_PiiiibPKf,comdat
.Lfunc_end275:
	.size	_ZN4vllm3moe10topkGatingILi4ELi4ELi4ELi8ELi32Ej6__halfLNS0_11ScoringFuncE1EEEvPKT5_PKbPfiPT4_PiiiibPKf, .Lfunc_end275-_ZN4vllm3moe10topkGatingILi4ELi4ELi4ELi8ELi32Ej6__halfLNS0_11ScoringFuncE1EEEvPKT5_PKbPfiPT4_PiiiibPKf
                                        ; -- End function
	.section	.AMDGPU.csdata,"",@progbits
; Kernel info:
; codeLenInByte = 1632
; NumSgprs: 28
; NumVgprs: 26
; NumAgprs: 0
; TotalNumVgprs: 26
; ScratchSize: 0
; MemoryBound: 1
; FloatMode: 240
; IeeeMode: 1
; LDSByteSize: 0 bytes/workgroup (compile time only)
; SGPRBlocks: 3
; VGPRBlocks: 3
; NumSGPRsForWavesPerEU: 28
; NumVGPRsForWavesPerEU: 26
; AccumOffset: 28
; Occupancy: 8
; WaveLimiterHint : 0
; COMPUTE_PGM_RSRC2:SCRATCH_EN: 0
; COMPUTE_PGM_RSRC2:USER_SGPR: 6
; COMPUTE_PGM_RSRC2:TRAP_HANDLER: 0
; COMPUTE_PGM_RSRC2:TGID_X_EN: 1
; COMPUTE_PGM_RSRC2:TGID_Y_EN: 0
; COMPUTE_PGM_RSRC2:TGID_Z_EN: 0
; COMPUTE_PGM_RSRC2:TIDIG_COMP_CNT: 1
; COMPUTE_PGM_RSRC3_GFX90A:ACCUM_OFFSET: 6
; COMPUTE_PGM_RSRC3_GFX90A:TG_SPLIT: 0
	.section	.text._ZN4vllm3moe10topkGatingILi8ELi8ELi4ELi16ELi64Ej6__halfLNS0_11ScoringFuncE1EEEvPKT5_PKbPfiPT4_PiiiibPKf,"axG",@progbits,_ZN4vllm3moe10topkGatingILi8ELi8ELi4ELi16ELi64Ej6__halfLNS0_11ScoringFuncE1EEEvPKT5_PKbPfiPT4_PiiiibPKf,comdat
	.protected	_ZN4vllm3moe10topkGatingILi8ELi8ELi4ELi16ELi64Ej6__halfLNS0_11ScoringFuncE1EEEvPKT5_PKbPfiPT4_PiiiibPKf ; -- Begin function _ZN4vllm3moe10topkGatingILi8ELi8ELi4ELi16ELi64Ej6__halfLNS0_11ScoringFuncE1EEEvPKT5_PKbPfiPT4_PiiiibPKf
	.globl	_ZN4vllm3moe10topkGatingILi8ELi8ELi4ELi16ELi64Ej6__halfLNS0_11ScoringFuncE1EEEvPKT5_PKbPfiPT4_PiiiibPKf
	.p2align	8
	.type	_ZN4vllm3moe10topkGatingILi8ELi8ELi4ELi16ELi64Ej6__halfLNS0_11ScoringFuncE1EEEvPKT5_PKbPfiPT4_PiiiibPKf,@function
_ZN4vllm3moe10topkGatingILi8ELi8ELi4ELi16ELi64Ej6__halfLNS0_11ScoringFuncE1EEEvPKT5_PKbPfiPT4_PiiiibPKf: ; @_ZN4vllm3moe10topkGatingILi8ELi8ELi4ELi16ELi64Ej6__halfLNS0_11ScoringFuncE1EEEvPKT5_PKbPfiPT4_PiiiibPKf
; %bb.0:
	s_load_dword s18, s[4:5], 0x18
	v_bfe_u32 v1, v0, 10, 10
	s_lshl_b32 s0, s6, 8
	v_lshlrev_b32_e32 v1, 6, v1
	v_and_b32_e32 v0, 0x3ff, v0
	v_add3_u32 v16, v1, v0, s0
	s_waitcnt lgkmcnt(0)
	v_cmp_gt_i32_e32 vcc, s18, v16
	s_and_saveexec_b64 s[0:1], vcc
	s_cbranch_execz .LBB276_20
; %bb.1:
	s_load_dwordx4 s[0:3], s[4:5], 0x0
	s_load_dwordx2 s[12:13], s[4:5], 0x10
	s_mov_b64 s[10:11], -1
	s_mov_b64 s[14:15], -1
	s_waitcnt lgkmcnt(0)
	s_cmp_eq_u64 s[2:3], 0
	s_cbranch_scc1 .LBB276_3
; %bb.2:
	v_ashrrev_i32_e32 v1, 31, v16
	v_mov_b32_e32 v2, s3
	v_add_co_u32_e32 v0, vcc, s2, v16
	v_addc_co_u32_e32 v1, vcc, v2, v1, vcc
	global_load_ubyte v0, v[0:1], off
	s_waitcnt vmcnt(0)
	v_and_b32_e32 v0, 1, v0
	v_cmp_eq_u32_e32 vcc, 1, v0
	s_xor_b64 s[2:3], vcc, -1
	s_orn2_b64 s[14:15], s[2:3], exec
.LBB276_3:
	v_lshlrev_b32_e32 v0, 3, v16
	v_ashrrev_i32_e32 v1, 31, v0
	v_lshlrev_b64 v[0:1], 1, v[0:1]
	v_mov_b32_e32 v2, s1
	v_add_co_u32_e32 v0, vcc, s0, v0
	v_addc_co_u32_e32 v1, vcc, v2, v1, vcc
	global_load_dwordx4 v[0:3], v[0:1], off
	v_mov_b32_e32 v8, 0x207
	s_load_dwordx2 s[16:17], s[4:5], 0x40
	s_waitcnt lgkmcnt(0)
	s_cmp_eq_u64 s[16:17], 0
	s_waitcnt vmcnt(0)
	v_cvt_f32_f16_e32 v4, v0
	v_cvt_f32_f16_sdwa v0, v0 dst_sel:DWORD dst_unused:UNUSED_PAD src0_sel:WORD_1
	v_cvt_f32_f16_e32 v5, v1
	v_cvt_f32_f16_sdwa v1, v1 dst_sel:DWORD dst_unused:UNUSED_PAD src0_sel:WORD_1
	v_mul_f32_e32 v4, 0xbfb8aa3b, v4
	v_mul_f32_e32 v9, 0xbfb8aa3b, v0
	v_cvt_f32_f16_e32 v6, v2
	v_cvt_f32_f16_sdwa v2, v2 dst_sel:DWORD dst_unused:UNUSED_PAD src0_sel:WORD_1
	v_cvt_f32_f16_e32 v7, v3
	v_cvt_f32_f16_sdwa v3, v3 dst_sel:DWORD dst_unused:UNUSED_PAD src0_sel:WORD_1
	v_mul_f32_e32 v10, 0xbfb8aa3b, v1
	v_exp_f32_e32 v0, v4
	v_exp_f32_e32 v1, v9
	v_mul_f32_e32 v5, 0xbfb8aa3b, v5
	v_mul_f32_e32 v11, 0xbfb8aa3b, v2
	;; [unrolled: 1-line block ×3, first 2 shown]
	v_exp_f32_e32 v2, v5
	v_exp_f32_e32 v3, v10
	v_pk_add_f32 v[0:1], v[0:1], 1.0 op_sel_hi:[1,0]
	v_div_scale_f32 v9, s[0:1], v1, v1, 1.0
	v_rcp_f32_e32 v20, v9
	v_exp_f32_e32 v5, v11
	v_div_scale_f32 v11, s[0:1], v0, v0, 1.0
	v_pk_add_f32 v[2:3], v[2:3], 1.0 op_sel_hi:[1,0]
	v_rcp_f32_e32 v21, v11
	v_mul_f32_e32 v6, 0xbfb8aa3b, v6
	v_div_scale_f32 v13, s[2:3], v3, v3, 1.0
	v_exp_f32_e32 v4, v6
	v_rcp_f32_e32 v22, v13
	v_fma_f32 v25, -v9, v20, 1.0
	v_div_scale_f32 v10, vcc, 1.0, v1, 1.0
	v_div_scale_f32 v15, s[6:7], v2, v2, 1.0
	v_fmac_f32_e32 v20, v25, v20
	v_mul_f32_e32 v7, 0xbfb8aa3b, v7
	v_rcp_f32_e32 v23, v15
	v_fma_f32 v26, -v11, v21, 1.0
	v_mul_f32_e32 v25, v10, v20
	v_exp_f32_e32 v6, v7
	v_exp_f32_e32 v7, v12
	v_div_scale_f32 v12, s[0:1], 1.0, v0, 1.0
	v_fmac_f32_e32 v21, v26, v21
	v_fma_f32 v30, -v9, v25, v10
	v_pk_add_f32 v[4:5], v[4:5], 1.0 op_sel_hi:[1,0]
	v_fma_f32 v27, -v13, v22, 1.0
	v_mul_f32_e32 v26, v12, v21
	v_fmac_f32_e32 v25, v30, v20
	v_div_scale_f32 v14, s[2:3], 1.0, v3, 1.0
	v_div_scale_f32 v18, s[8:9], v5, v5, 1.0
	v_fmac_f32_e32 v22, v27, v22
	v_fma_f32 v31, -v11, v26, v12
	v_fma_f32 v9, -v9, v25, v10
	v_rcp_f32_e32 v24, v18
	v_fma_f32 v28, -v15, v23, 1.0
	v_mul_f32_e32 v27, v14, v22
	v_fmac_f32_e32 v26, v31, v21
	v_div_fmas_f32 v9, v9, v20, v25
	v_div_scale_f32 v17, s[6:7], 1.0, v2, 1.0
	v_fmac_f32_e32 v23, v28, v23
	v_fma_f32 v32, -v13, v27, v14
	v_fma_f32 v10, -v11, v26, v12
	v_div_fixup_f32 v1, v9, v1, 1.0
	s_mov_b64 vcc, s[0:1]
	v_mul_f32_e32 v28, v17, v23
	v_fmac_f32_e32 v27, v32, v22
	v_div_fmas_f32 v9, v10, v21, v26
	v_cmp_class_f32_e32 vcc, v1, v8
	v_fma_f32 v33, -v15, v28, v17
	v_fma_f32 v11, -v13, v27, v14
	v_div_fixup_f32 v0, v9, v0, 1.0
	v_cndmask_b32_e64 v1, v1, 0, vcc
	s_mov_b64 vcc, s[2:3]
	v_fma_f32 v29, -v18, v24, 1.0
	v_fmac_f32_e32 v28, v33, v23
	v_div_fmas_f32 v9, v11, v22, v27
	v_cmp_class_f32_e32 vcc, v0, v8
	v_div_scale_f32 v19, s[8:9], 1.0, v5, 1.0
	v_fmac_f32_e32 v24, v29, v24
	v_fma_f32 v12, -v15, v28, v17
	v_cndmask_b32_e64 v0, v0, 0, vcc
	s_mov_b64 vcc, s[6:7]
	v_mul_f32_e32 v29, v19, v24
	v_div_fixup_f32 v3, v9, v3, 1.0
	v_div_fmas_f32 v9, v12, v23, v28
	v_div_scale_f32 v10, s[0:1], v4, v4, 1.0
	v_fma_f32 v34, -v18, v29, v19
	v_div_fixup_f32 v2, v9, v2, 1.0
	v_cmp_class_f32_e32 vcc, v3, v8
	v_rcp_f32_e32 v11, v10
	v_cndmask_b32_e64 v3, v3, 0, vcc
	v_cmp_class_f32_e32 vcc, v2, v8
	v_fmac_f32_e32 v29, v34, v24
	v_cndmask_b32_e64 v2, v2, 0, vcc
	v_fma_f32 v9, -v18, v29, v19
	s_mov_b64 vcc, s[8:9]
	v_div_fmas_f32 v9, v9, v24, v29
	v_div_fixup_f32 v5, v9, v5, 1.0
	v_fma_f32 v9, -v10, v11, 1.0
	v_fmac_f32_e32 v11, v9, v11
	v_div_scale_f32 v9, vcc, 1.0, v4, 1.0
	v_mul_f32_e32 v12, v9, v11
	v_fma_f32 v13, -v10, v12, v9
	v_fmac_f32_e32 v12, v13, v11
	v_fma_f32 v9, -v10, v12, v9
	v_div_fmas_f32 v9, v9, v11, v12
	v_pk_add_f32 v[6:7], v[6:7], 1.0 op_sel_hi:[1,0]
	v_div_fixup_f32 v4, v9, v4, 1.0
	v_div_scale_f32 v9, s[0:1], v7, v7, 1.0
	v_rcp_f32_e32 v10, v9
	v_cmp_class_f32_e32 vcc, v5, v8
	v_cndmask_b32_e64 v5, v5, 0, vcc
	v_cmp_class_f32_e32 vcc, v4, v8
	v_fma_f32 v11, -v9, v10, 1.0
	v_cndmask_b32_e64 v4, v4, 0, vcc
	v_fmac_f32_e32 v10, v11, v10
	v_div_scale_f32 v11, vcc, 1.0, v7, 1.0
	v_mul_f32_e32 v12, v11, v10
	v_fma_f32 v13, -v9, v12, v11
	v_fmac_f32_e32 v12, v13, v10
	v_fma_f32 v9, -v9, v12, v11
	v_div_scale_f32 v11, s[0:1], v6, v6, 1.0
	v_rcp_f32_e32 v13, v11
	v_div_fmas_f32 v9, v9, v10, v12
	v_div_fixup_f32 v7, v9, v7, 1.0
	v_fma_f32 v9, -v11, v13, 1.0
	v_fmac_f32_e32 v13, v9, v13
	v_div_scale_f32 v9, vcc, 1.0, v6, 1.0
	v_mul_f32_e32 v10, v9, v13
	v_fma_f32 v12, -v11, v10, v9
	v_fmac_f32_e32 v10, v12, v13
	v_fma_f32 v9, -v11, v10, v9
	v_div_fmas_f32 v9, v9, v13, v10
	v_div_fixup_f32 v6, v9, v6, 1.0
	v_cmp_class_f32_e32 vcc, v7, v8
	v_cndmask_b32_e64 v7, v7, 0, vcc
	v_cmp_class_f32_e32 vcc, v6, v8
	v_cndmask_b32_e64 v6, v6, 0, vcc
	s_cbranch_scc1 .LBB276_10
; %bb.4:
	s_load_dwordx8 s[20:27], s[16:17], 0x0
	s_waitcnt lgkmcnt(0)
	v_pk_add_f32 v[8:9], s[20:21], v[0:1]
	v_pk_add_f32 v[10:11], s[22:23], v[2:3]
	;; [unrolled: 1-line block ×4, first 2 shown]
	s_cbranch_execnz .LBB276_6
.LBB276_5:
	v_pk_mov_b32 v[14:15], v[6:7], v[6:7] op_sel:[0,1]
	v_pk_mov_b32 v[12:13], v[4:5], v[4:5] op_sel:[0,1]
	;; [unrolled: 1-line block ×4, first 2 shown]
.LBB276_6:
	s_load_dwordx4 s[8:11], s[4:5], 0x30
	s_waitcnt lgkmcnt(0)
	s_bitcmp1_b32 s11, 0
	s_cselect_b64 vcc, -1, 0
	s_cmp_gt_i32 s8, 0
	s_cselect_b64 s[16:17], -1, 0
	s_cmp_lt_i32 s8, 1
	s_mov_b32 s11, 0
	s_cbranch_scc1 .LBB276_11
; %bb.7:
	s_load_dwordx4 s[4:7], s[4:5], 0x20
	v_mul_lo_u32 v18, v16, s8
	v_mov_b32_e32 v17, 0
	v_mov_b32_e32 v19, s13
	;; [unrolled: 1-line block ×3, first 2 shown]
	s_waitcnt lgkmcnt(0)
	v_mov_b32_e32 v20, s5
	v_mov_b32_e32 v21, s7
	;; [unrolled: 1-line block ×3, first 2 shown]
.LBB276_8:                              ; =>This Inner Loop Header: Depth=1
	v_cmp_gt_f32_e64 s[0:1], v9, v8
	v_cndmask_b32_e64 v26, v8, v9, s[0:1]
	v_cndmask_b32_e64 v24, 0, 1, s[0:1]
	v_cndmask_b32_e64 v25, v0, v1, s[0:1]
	v_cmp_gt_f32_e64 s[0:1], v10, v26
	v_cndmask_b32_e64 v26, v26, v10, s[0:1]
	v_cndmask_b32_e64 v24, v24, 2, s[0:1]
	v_cndmask_b32_e64 v25, v25, v2, s[0:1]
	;; [unrolled: 4-line block ×6, first 2 shown]
	v_cmp_gt_f32_e64 s[0:1], v15, v26
	v_cndmask_b32_e64 v28, v24, 7, s[0:1]
	v_add_u32_e32 v24, s11, v18
	v_cndmask_b32_e64 v29, v25, v7, s[0:1]
	v_ashrrev_i32_e32 v25, 31, v24
	v_cmp_le_i32_e64 s[0:1], s9, v28
	v_cmp_gt_i32_e64 s[2:3], s10, v28
	v_lshlrev_b64 v[24:25], 2, v[24:25]
	s_and_b64 s[2:3], s[0:1], s[2:3]
	v_add_co_u32_e64 v26, s[0:1], s12, v24
	v_addc_co_u32_e64 v27, s[0:1], v19, v25, s[0:1]
	global_store_dword v[26:27], v29, off
	v_subrev_u32_e32 v26, s9, v28
	s_and_b64 s[0:1], s[14:15], s[2:3]
	v_cndmask_b32_e64 v30, 8, v26, s[0:1]
	v_add_co_u32_e64 v26, s[0:1], s4, v24
	v_addc_co_u32_e64 v27, s[0:1], v20, v25, s[0:1]
	v_add_co_u32_e64 v24, s[0:1], s6, v24
	v_addc_co_u32_e64 v25, s[0:1], v21, v25, s[0:1]
	global_store_dword v[26:27], v30, off
	global_store_dword v[24:25], v23, off
	v_add_f32_e32 v24, v17, v29
	v_cmp_ne_u32_e64 s[0:1], 0, v28
	v_cndmask_b32_e32 v17, v17, v24, vcc
	v_cndmask_b32_e64 v24, v22, v8, s[0:1]
	v_cmp_ne_u32_e64 s[0:1], 1, v28
	v_cndmask_b32_e64 v25, v22, v9, s[0:1]
	v_cmp_ne_u32_e64 s[0:1], 2, v28
	;; [unrolled: 2-line block ×5, first 2 shown]
	s_add_i32 s11, s11, 1
	v_cndmask_b32_e64 v30, v22, v13, s[0:1]
	v_cmp_ne_u32_e64 s[0:1], 6, v28
	s_cmp_lt_i32 s11, s8
	v_cndmask_b32_e64 v31, v22, v14, s[0:1]
	v_cmp_ne_u32_e64 s[0:1], 7, v28
	v_cndmask_b32_e64 v28, v22, v15, s[0:1]
	s_cselect_b64 s[0:1], -1, 0
	v_cndmask_b32_e64 v15, v15, v28, s[0:1]
	v_cndmask_b32_e64 v14, v14, v31, s[0:1]
	;; [unrolled: 1-line block ×8, first 2 shown]
	s_cmp_eq_u32 s8, s11
	v_add_u32_e32 v23, s18, v23
	s_cbranch_scc0 .LBB276_8
; %bb.9:
	s_and_b64 vcc, exec, vcc
	s_cbranch_vccnz .LBB276_12
	s_branch .LBB276_20
.LBB276_10:
                                        ; implicit-def: $vgpr8_vgpr9_vgpr10_vgpr11_vgpr12_vgpr13_vgpr14_vgpr15
	s_andn2_b64 vcc, exec, s[10:11]
	s_cbranch_vccz .LBB276_5
	s_branch .LBB276_6
.LBB276_11:
	v_mov_b32_e32 v17, 0
	s_and_b64 vcc, exec, vcc
	s_cbranch_vccz .LBB276_20
.LBB276_12:
	s_andn2_b64 vcc, exec, s[16:17]
	s_cbranch_vccnz .LBB276_20
; %bb.13:
	v_cmp_lt_f32_e32 vcc, 0, v17
	s_mov_b32 s2, 0
	v_cndmask_b32_e32 v0, 1.0, v17, vcc
	v_mul_lo_u32 v4, v16, s8
	s_cmp_eq_u32 s8, 1
	s_mov_b64 s[0:1], -1
	s_cbranch_scc1 .LBB276_17
; %bb.14:
	s_and_b32 s2, s8, 0x7ffffffe
	v_mov_b32_e32 v1, v0
	v_mov_b32_e32 v5, s13
	s_mov_b32 s3, s2
	v_mov_b32_e32 v2, v4
.LBB276_15:                             ; =>This Inner Loop Header: Depth=1
	v_ashrrev_i32_e32 v3, 31, v2
	v_lshlrev_b64 v[6:7], 2, v[2:3]
	v_add_co_u32_e32 v6, vcc, s12, v6
	v_addc_co_u32_e32 v7, vcc, v5, v7, vcc
	global_load_dwordx2 v[8:9], v[6:7], off
	s_add_i32 s3, s3, -2
	s_cmp_lg_u32 s3, 0
	v_add_u32_e32 v2, 2, v2
	s_waitcnt vmcnt(0)
	v_div_scale_f32 v3, s[0:1], v1, v1, v9
	v_div_scale_f32 v11, s[0:1], v0, v0, v8
	v_rcp_f32_e32 v12, v3
	v_rcp_f32_e32 v13, v11
	v_div_scale_f32 v10, vcc, v9, v1, v9
	v_fma_f32 v15, -v3, v12, 1.0
	v_fma_f32 v16, -v11, v13, 1.0
	v_fmac_f32_e32 v12, v15, v12
	v_div_scale_f32 v14, s[0:1], v8, v0, v8
	v_fmac_f32_e32 v13, v16, v13
	v_mul_f32_e32 v15, v10, v12
	v_mul_f32_e32 v16, v14, v13
	v_fma_f32 v17, -v3, v15, v10
	v_fma_f32 v18, -v11, v16, v14
	v_fmac_f32_e32 v15, v17, v12
	v_fmac_f32_e32 v16, v18, v13
	v_fma_f32 v3, -v3, v15, v10
	v_fma_f32 v10, -v11, v16, v14
	v_div_fmas_f32 v3, v3, v12, v15
	s_mov_b64 vcc, s[0:1]
	v_div_fixup_f32 v9, v3, v1, v9
	v_div_fmas_f32 v3, v10, v13, v16
	v_div_fixup_f32 v8, v3, v0, v8
	global_store_dwordx2 v[6:7], v[8:9], off
	s_cbranch_scc1 .LBB276_15
; %bb.16:
	s_cmp_lg_u32 s2, s8
	s_cselect_b64 s[0:1], -1, 0
.LBB276_17:
	s_and_b64 vcc, exec, s[0:1]
	s_cbranch_vccz .LBB276_20
; %bb.18:
	v_ashrrev_i32_e32 v1, 31, v4
	v_add_co_u32_e32 v2, vcc, s2, v4
	v_addc_co_u32_e32 v3, vcc, 0, v1, vcc
	v_lshlrev_b64 v[2:3], 2, v[2:3]
	v_mov_b32_e32 v1, s13
	v_add_co_u32_e32 v2, vcc, s12, v2
	s_sub_i32 s0, s8, s2
	v_addc_co_u32_e32 v3, vcc, v1, v3, vcc
.LBB276_19:                             ; =>This Inner Loop Header: Depth=1
	global_load_dword v1, v[2:3], off
	s_add_i32 s0, s0, -1
	s_cmp_lg_u32 s0, 0
	s_waitcnt vmcnt(0)
	v_div_scale_f32 v4, s[2:3], v0, v0, v1
	v_rcp_f32_e32 v5, v4
	v_div_scale_f32 v6, vcc, v1, v0, v1
	v_fma_f32 v7, -v4, v5, 1.0
	v_fmac_f32_e32 v5, v7, v5
	v_mul_f32_e32 v7, v6, v5
	v_fma_f32 v8, -v4, v7, v6
	v_fmac_f32_e32 v7, v8, v5
	v_fma_f32 v4, -v4, v7, v6
	v_div_fmas_f32 v4, v4, v5, v7
	v_div_fixup_f32 v1, v4, v0, v1
	global_store_dword v[2:3], v1, off
	v_add_co_u32_e32 v2, vcc, 4, v2
	v_addc_co_u32_e32 v3, vcc, 0, v3, vcc
	s_cbranch_scc1 .LBB276_19
.LBB276_20:
	s_endpgm
	.section	.rodata,"a",@progbits
	.p2align	6, 0x0
	.amdhsa_kernel _ZN4vllm3moe10topkGatingILi8ELi8ELi4ELi16ELi64Ej6__halfLNS0_11ScoringFuncE1EEEvPKT5_PKbPfiPT4_PiiiibPKf
		.amdhsa_group_segment_fixed_size 0
		.amdhsa_private_segment_fixed_size 0
		.amdhsa_kernarg_size 72
		.amdhsa_user_sgpr_count 6
		.amdhsa_user_sgpr_private_segment_buffer 1
		.amdhsa_user_sgpr_dispatch_ptr 0
		.amdhsa_user_sgpr_queue_ptr 0
		.amdhsa_user_sgpr_kernarg_segment_ptr 1
		.amdhsa_user_sgpr_dispatch_id 0
		.amdhsa_user_sgpr_flat_scratch_init 0
		.amdhsa_user_sgpr_kernarg_preload_length 0
		.amdhsa_user_sgpr_kernarg_preload_offset 0
		.amdhsa_user_sgpr_private_segment_size 0
		.amdhsa_uses_dynamic_stack 0
		.amdhsa_system_sgpr_private_segment_wavefront_offset 0
		.amdhsa_system_sgpr_workgroup_id_x 1
		.amdhsa_system_sgpr_workgroup_id_y 0
		.amdhsa_system_sgpr_workgroup_id_z 0
		.amdhsa_system_sgpr_workgroup_info 0
		.amdhsa_system_vgpr_workitem_id 1
		.amdhsa_next_free_vgpr 35
		.amdhsa_next_free_sgpr 28
		.amdhsa_accum_offset 36
		.amdhsa_reserve_vcc 1
		.amdhsa_reserve_flat_scratch 0
		.amdhsa_float_round_mode_32 0
		.amdhsa_float_round_mode_16_64 0
		.amdhsa_float_denorm_mode_32 3
		.amdhsa_float_denorm_mode_16_64 3
		.amdhsa_dx10_clamp 1
		.amdhsa_ieee_mode 1
		.amdhsa_fp16_overflow 0
		.amdhsa_tg_split 0
		.amdhsa_exception_fp_ieee_invalid_op 0
		.amdhsa_exception_fp_denorm_src 0
		.amdhsa_exception_fp_ieee_div_zero 0
		.amdhsa_exception_fp_ieee_overflow 0
		.amdhsa_exception_fp_ieee_underflow 0
		.amdhsa_exception_fp_ieee_inexact 0
		.amdhsa_exception_int_div_zero 0
	.end_amdhsa_kernel
	.section	.text._ZN4vllm3moe10topkGatingILi8ELi8ELi4ELi16ELi64Ej6__halfLNS0_11ScoringFuncE1EEEvPKT5_PKbPfiPT4_PiiiibPKf,"axG",@progbits,_ZN4vllm3moe10topkGatingILi8ELi8ELi4ELi16ELi64Ej6__halfLNS0_11ScoringFuncE1EEEvPKT5_PKbPfiPT4_PiiiibPKf,comdat
.Lfunc_end276:
	.size	_ZN4vllm3moe10topkGatingILi8ELi8ELi4ELi16ELi64Ej6__halfLNS0_11ScoringFuncE1EEEvPKT5_PKbPfiPT4_PiiiibPKf, .Lfunc_end276-_ZN4vllm3moe10topkGatingILi8ELi8ELi4ELi16ELi64Ej6__halfLNS0_11ScoringFuncE1EEEvPKT5_PKbPfiPT4_PiiiibPKf
                                        ; -- End function
	.section	.AMDGPU.csdata,"",@progbits
; Kernel info:
; codeLenInByte = 2272
; NumSgprs: 32
; NumVgprs: 35
; NumAgprs: 0
; TotalNumVgprs: 35
; ScratchSize: 0
; MemoryBound: 1
; FloatMode: 240
; IeeeMode: 1
; LDSByteSize: 0 bytes/workgroup (compile time only)
; SGPRBlocks: 3
; VGPRBlocks: 4
; NumSGPRsForWavesPerEU: 32
; NumVGPRsForWavesPerEU: 35
; AccumOffset: 36
; Occupancy: 8
; WaveLimiterHint : 0
; COMPUTE_PGM_RSRC2:SCRATCH_EN: 0
; COMPUTE_PGM_RSRC2:USER_SGPR: 6
; COMPUTE_PGM_RSRC2:TRAP_HANDLER: 0
; COMPUTE_PGM_RSRC2:TGID_X_EN: 1
; COMPUTE_PGM_RSRC2:TGID_Y_EN: 0
; COMPUTE_PGM_RSRC2:TGID_Z_EN: 0
; COMPUTE_PGM_RSRC2:TIDIG_COMP_CNT: 1
; COMPUTE_PGM_RSRC3_GFX90A:ACCUM_OFFSET: 8
; COMPUTE_PGM_RSRC3_GFX90A:TG_SPLIT: 0
	.section	.text._ZN4vllm3moe10topkGatingILi8ELi8ELi4ELi16ELi32Ej6__halfLNS0_11ScoringFuncE1EEEvPKT5_PKbPfiPT4_PiiiibPKf,"axG",@progbits,_ZN4vllm3moe10topkGatingILi8ELi8ELi4ELi16ELi32Ej6__halfLNS0_11ScoringFuncE1EEEvPKT5_PKbPfiPT4_PiiiibPKf,comdat
	.protected	_ZN4vllm3moe10topkGatingILi8ELi8ELi4ELi16ELi32Ej6__halfLNS0_11ScoringFuncE1EEEvPKT5_PKbPfiPT4_PiiiibPKf ; -- Begin function _ZN4vllm3moe10topkGatingILi8ELi8ELi4ELi16ELi32Ej6__halfLNS0_11ScoringFuncE1EEEvPKT5_PKbPfiPT4_PiiiibPKf
	.globl	_ZN4vllm3moe10topkGatingILi8ELi8ELi4ELi16ELi32Ej6__halfLNS0_11ScoringFuncE1EEEvPKT5_PKbPfiPT4_PiiiibPKf
	.p2align	8
	.type	_ZN4vllm3moe10topkGatingILi8ELi8ELi4ELi16ELi32Ej6__halfLNS0_11ScoringFuncE1EEEvPKT5_PKbPfiPT4_PiiiibPKf,@function
_ZN4vllm3moe10topkGatingILi8ELi8ELi4ELi16ELi32Ej6__halfLNS0_11ScoringFuncE1EEEvPKT5_PKbPfiPT4_PiiiibPKf: ; @_ZN4vllm3moe10topkGatingILi8ELi8ELi4ELi16ELi32Ej6__halfLNS0_11ScoringFuncE1EEEvPKT5_PKbPfiPT4_PiiiibPKf
; %bb.0:
	s_load_dword s18, s[4:5], 0x18
	v_bfe_u32 v1, v0, 10, 10
	s_lshl_b32 s0, s6, 7
	v_lshlrev_b32_e32 v1, 5, v1
	v_and_b32_e32 v0, 0x3ff, v0
	v_add3_u32 v16, v1, v0, s0
	s_waitcnt lgkmcnt(0)
	v_cmp_gt_i32_e32 vcc, s18, v16
	s_and_saveexec_b64 s[0:1], vcc
	s_cbranch_execz .LBB277_20
; %bb.1:
	s_load_dwordx4 s[0:3], s[4:5], 0x0
	s_load_dwordx2 s[12:13], s[4:5], 0x10
	s_mov_b64 s[10:11], -1
	s_mov_b64 s[14:15], -1
	s_waitcnt lgkmcnt(0)
	s_cmp_eq_u64 s[2:3], 0
	s_cbranch_scc1 .LBB277_3
; %bb.2:
	v_ashrrev_i32_e32 v1, 31, v16
	v_mov_b32_e32 v2, s3
	v_add_co_u32_e32 v0, vcc, s2, v16
	v_addc_co_u32_e32 v1, vcc, v2, v1, vcc
	global_load_ubyte v0, v[0:1], off
	s_waitcnt vmcnt(0)
	v_and_b32_e32 v0, 1, v0
	v_cmp_eq_u32_e32 vcc, 1, v0
	s_xor_b64 s[2:3], vcc, -1
	s_orn2_b64 s[14:15], s[2:3], exec
.LBB277_3:
	v_lshlrev_b32_e32 v0, 3, v16
	v_ashrrev_i32_e32 v1, 31, v0
	v_lshlrev_b64 v[0:1], 1, v[0:1]
	v_mov_b32_e32 v2, s1
	v_add_co_u32_e32 v0, vcc, s0, v0
	v_addc_co_u32_e32 v1, vcc, v2, v1, vcc
	global_load_dwordx4 v[0:3], v[0:1], off
	v_mov_b32_e32 v8, 0x207
	s_load_dwordx2 s[16:17], s[4:5], 0x40
	s_waitcnt lgkmcnt(0)
	s_cmp_eq_u64 s[16:17], 0
	s_waitcnt vmcnt(0)
	v_cvt_f32_f16_e32 v4, v0
	v_cvt_f32_f16_sdwa v0, v0 dst_sel:DWORD dst_unused:UNUSED_PAD src0_sel:WORD_1
	v_cvt_f32_f16_e32 v5, v1
	v_cvt_f32_f16_sdwa v1, v1 dst_sel:DWORD dst_unused:UNUSED_PAD src0_sel:WORD_1
	v_mul_f32_e32 v4, 0xbfb8aa3b, v4
	v_mul_f32_e32 v9, 0xbfb8aa3b, v0
	v_cvt_f32_f16_e32 v6, v2
	v_cvt_f32_f16_sdwa v2, v2 dst_sel:DWORD dst_unused:UNUSED_PAD src0_sel:WORD_1
	v_cvt_f32_f16_e32 v7, v3
	v_cvt_f32_f16_sdwa v3, v3 dst_sel:DWORD dst_unused:UNUSED_PAD src0_sel:WORD_1
	v_mul_f32_e32 v10, 0xbfb8aa3b, v1
	v_exp_f32_e32 v0, v4
	v_exp_f32_e32 v1, v9
	v_mul_f32_e32 v5, 0xbfb8aa3b, v5
	v_mul_f32_e32 v11, 0xbfb8aa3b, v2
	;; [unrolled: 1-line block ×3, first 2 shown]
	v_exp_f32_e32 v2, v5
	v_exp_f32_e32 v3, v10
	v_pk_add_f32 v[0:1], v[0:1], 1.0 op_sel_hi:[1,0]
	v_div_scale_f32 v9, s[0:1], v1, v1, 1.0
	v_rcp_f32_e32 v20, v9
	v_exp_f32_e32 v5, v11
	v_div_scale_f32 v11, s[0:1], v0, v0, 1.0
	v_pk_add_f32 v[2:3], v[2:3], 1.0 op_sel_hi:[1,0]
	v_rcp_f32_e32 v21, v11
	v_mul_f32_e32 v6, 0xbfb8aa3b, v6
	v_div_scale_f32 v13, s[2:3], v3, v3, 1.0
	v_exp_f32_e32 v4, v6
	v_rcp_f32_e32 v22, v13
	v_fma_f32 v25, -v9, v20, 1.0
	v_div_scale_f32 v10, vcc, 1.0, v1, 1.0
	v_div_scale_f32 v15, s[6:7], v2, v2, 1.0
	v_fmac_f32_e32 v20, v25, v20
	v_mul_f32_e32 v7, 0xbfb8aa3b, v7
	v_rcp_f32_e32 v23, v15
	v_fma_f32 v26, -v11, v21, 1.0
	v_mul_f32_e32 v25, v10, v20
	v_exp_f32_e32 v6, v7
	v_exp_f32_e32 v7, v12
	v_div_scale_f32 v12, s[0:1], 1.0, v0, 1.0
	v_fmac_f32_e32 v21, v26, v21
	v_fma_f32 v30, -v9, v25, v10
	v_pk_add_f32 v[4:5], v[4:5], 1.0 op_sel_hi:[1,0]
	v_fma_f32 v27, -v13, v22, 1.0
	v_mul_f32_e32 v26, v12, v21
	v_fmac_f32_e32 v25, v30, v20
	v_div_scale_f32 v14, s[2:3], 1.0, v3, 1.0
	v_div_scale_f32 v18, s[8:9], v5, v5, 1.0
	v_fmac_f32_e32 v22, v27, v22
	v_fma_f32 v31, -v11, v26, v12
	v_fma_f32 v9, -v9, v25, v10
	v_rcp_f32_e32 v24, v18
	v_fma_f32 v28, -v15, v23, 1.0
	v_mul_f32_e32 v27, v14, v22
	v_fmac_f32_e32 v26, v31, v21
	v_div_fmas_f32 v9, v9, v20, v25
	v_div_scale_f32 v17, s[6:7], 1.0, v2, 1.0
	v_fmac_f32_e32 v23, v28, v23
	v_fma_f32 v32, -v13, v27, v14
	v_fma_f32 v10, -v11, v26, v12
	v_div_fixup_f32 v1, v9, v1, 1.0
	s_mov_b64 vcc, s[0:1]
	v_mul_f32_e32 v28, v17, v23
	v_fmac_f32_e32 v27, v32, v22
	v_div_fmas_f32 v9, v10, v21, v26
	v_cmp_class_f32_e32 vcc, v1, v8
	v_fma_f32 v33, -v15, v28, v17
	v_fma_f32 v11, -v13, v27, v14
	v_div_fixup_f32 v0, v9, v0, 1.0
	v_cndmask_b32_e64 v1, v1, 0, vcc
	s_mov_b64 vcc, s[2:3]
	v_fma_f32 v29, -v18, v24, 1.0
	v_fmac_f32_e32 v28, v33, v23
	v_div_fmas_f32 v9, v11, v22, v27
	v_cmp_class_f32_e32 vcc, v0, v8
	v_div_scale_f32 v19, s[8:9], 1.0, v5, 1.0
	v_fmac_f32_e32 v24, v29, v24
	v_fma_f32 v12, -v15, v28, v17
	v_cndmask_b32_e64 v0, v0, 0, vcc
	s_mov_b64 vcc, s[6:7]
	v_mul_f32_e32 v29, v19, v24
	v_div_fixup_f32 v3, v9, v3, 1.0
	v_div_fmas_f32 v9, v12, v23, v28
	v_div_scale_f32 v10, s[0:1], v4, v4, 1.0
	v_fma_f32 v34, -v18, v29, v19
	v_div_fixup_f32 v2, v9, v2, 1.0
	v_cmp_class_f32_e32 vcc, v3, v8
	v_rcp_f32_e32 v11, v10
	v_cndmask_b32_e64 v3, v3, 0, vcc
	v_cmp_class_f32_e32 vcc, v2, v8
	v_fmac_f32_e32 v29, v34, v24
	v_cndmask_b32_e64 v2, v2, 0, vcc
	v_fma_f32 v9, -v18, v29, v19
	s_mov_b64 vcc, s[8:9]
	v_div_fmas_f32 v9, v9, v24, v29
	v_div_fixup_f32 v5, v9, v5, 1.0
	v_fma_f32 v9, -v10, v11, 1.0
	v_fmac_f32_e32 v11, v9, v11
	v_div_scale_f32 v9, vcc, 1.0, v4, 1.0
	v_mul_f32_e32 v12, v9, v11
	v_fma_f32 v13, -v10, v12, v9
	v_fmac_f32_e32 v12, v13, v11
	v_fma_f32 v9, -v10, v12, v9
	v_div_fmas_f32 v9, v9, v11, v12
	v_pk_add_f32 v[6:7], v[6:7], 1.0 op_sel_hi:[1,0]
	v_div_fixup_f32 v4, v9, v4, 1.0
	v_div_scale_f32 v9, s[0:1], v7, v7, 1.0
	v_rcp_f32_e32 v10, v9
	v_cmp_class_f32_e32 vcc, v5, v8
	v_cndmask_b32_e64 v5, v5, 0, vcc
	v_cmp_class_f32_e32 vcc, v4, v8
	v_fma_f32 v11, -v9, v10, 1.0
	v_cndmask_b32_e64 v4, v4, 0, vcc
	v_fmac_f32_e32 v10, v11, v10
	v_div_scale_f32 v11, vcc, 1.0, v7, 1.0
	v_mul_f32_e32 v12, v11, v10
	v_fma_f32 v13, -v9, v12, v11
	v_fmac_f32_e32 v12, v13, v10
	v_fma_f32 v9, -v9, v12, v11
	v_div_scale_f32 v11, s[0:1], v6, v6, 1.0
	v_rcp_f32_e32 v13, v11
	v_div_fmas_f32 v9, v9, v10, v12
	v_div_fixup_f32 v7, v9, v7, 1.0
	v_fma_f32 v9, -v11, v13, 1.0
	v_fmac_f32_e32 v13, v9, v13
	v_div_scale_f32 v9, vcc, 1.0, v6, 1.0
	v_mul_f32_e32 v10, v9, v13
	v_fma_f32 v12, -v11, v10, v9
	v_fmac_f32_e32 v10, v12, v13
	v_fma_f32 v9, -v11, v10, v9
	v_div_fmas_f32 v9, v9, v13, v10
	v_div_fixup_f32 v6, v9, v6, 1.0
	v_cmp_class_f32_e32 vcc, v7, v8
	v_cndmask_b32_e64 v7, v7, 0, vcc
	v_cmp_class_f32_e32 vcc, v6, v8
	v_cndmask_b32_e64 v6, v6, 0, vcc
	s_cbranch_scc1 .LBB277_10
; %bb.4:
	s_load_dwordx8 s[20:27], s[16:17], 0x0
	s_waitcnt lgkmcnt(0)
	v_pk_add_f32 v[8:9], s[20:21], v[0:1]
	v_pk_add_f32 v[10:11], s[22:23], v[2:3]
	;; [unrolled: 1-line block ×4, first 2 shown]
	s_cbranch_execnz .LBB277_6
.LBB277_5:
	v_pk_mov_b32 v[14:15], v[6:7], v[6:7] op_sel:[0,1]
	v_pk_mov_b32 v[12:13], v[4:5], v[4:5] op_sel:[0,1]
	;; [unrolled: 1-line block ×4, first 2 shown]
.LBB277_6:
	s_load_dwordx4 s[8:11], s[4:5], 0x30
	s_waitcnt lgkmcnt(0)
	s_bitcmp1_b32 s11, 0
	s_cselect_b64 vcc, -1, 0
	s_cmp_gt_i32 s8, 0
	s_cselect_b64 s[16:17], -1, 0
	s_cmp_lt_i32 s8, 1
	s_mov_b32 s11, 0
	s_cbranch_scc1 .LBB277_11
; %bb.7:
	s_load_dwordx4 s[4:7], s[4:5], 0x20
	v_mul_lo_u32 v18, v16, s8
	v_mov_b32_e32 v17, 0
	v_mov_b32_e32 v19, s13
	;; [unrolled: 1-line block ×3, first 2 shown]
	s_waitcnt lgkmcnt(0)
	v_mov_b32_e32 v20, s5
	v_mov_b32_e32 v21, s7
	;; [unrolled: 1-line block ×3, first 2 shown]
.LBB277_8:                              ; =>This Inner Loop Header: Depth=1
	v_cmp_gt_f32_e64 s[0:1], v9, v8
	v_cndmask_b32_e64 v26, v8, v9, s[0:1]
	v_cndmask_b32_e64 v24, 0, 1, s[0:1]
	v_cndmask_b32_e64 v25, v0, v1, s[0:1]
	v_cmp_gt_f32_e64 s[0:1], v10, v26
	v_cndmask_b32_e64 v26, v26, v10, s[0:1]
	v_cndmask_b32_e64 v24, v24, 2, s[0:1]
	v_cndmask_b32_e64 v25, v25, v2, s[0:1]
	;; [unrolled: 4-line block ×6, first 2 shown]
	v_cmp_gt_f32_e64 s[0:1], v15, v26
	v_cndmask_b32_e64 v28, v24, 7, s[0:1]
	v_add_u32_e32 v24, s11, v18
	v_cndmask_b32_e64 v29, v25, v7, s[0:1]
	v_ashrrev_i32_e32 v25, 31, v24
	v_cmp_le_i32_e64 s[0:1], s9, v28
	v_cmp_gt_i32_e64 s[2:3], s10, v28
	v_lshlrev_b64 v[24:25], 2, v[24:25]
	s_and_b64 s[2:3], s[0:1], s[2:3]
	v_add_co_u32_e64 v26, s[0:1], s12, v24
	v_addc_co_u32_e64 v27, s[0:1], v19, v25, s[0:1]
	global_store_dword v[26:27], v29, off
	v_subrev_u32_e32 v26, s9, v28
	s_and_b64 s[0:1], s[14:15], s[2:3]
	v_cndmask_b32_e64 v30, 8, v26, s[0:1]
	v_add_co_u32_e64 v26, s[0:1], s4, v24
	v_addc_co_u32_e64 v27, s[0:1], v20, v25, s[0:1]
	v_add_co_u32_e64 v24, s[0:1], s6, v24
	v_addc_co_u32_e64 v25, s[0:1], v21, v25, s[0:1]
	global_store_dword v[26:27], v30, off
	global_store_dword v[24:25], v23, off
	v_add_f32_e32 v24, v17, v29
	v_cmp_ne_u32_e64 s[0:1], 0, v28
	v_cndmask_b32_e32 v17, v17, v24, vcc
	v_cndmask_b32_e64 v24, v22, v8, s[0:1]
	v_cmp_ne_u32_e64 s[0:1], 1, v28
	v_cndmask_b32_e64 v25, v22, v9, s[0:1]
	v_cmp_ne_u32_e64 s[0:1], 2, v28
	v_cndmask_b32_e64 v26, v22, v10, s[0:1]
	v_cmp_ne_u32_e64 s[0:1], 3, v28
	v_cndmask_b32_e64 v27, v22, v11, s[0:1]
	v_cmp_ne_u32_e64 s[0:1], 4, v28
	v_cndmask_b32_e64 v29, v22, v12, s[0:1]
	v_cmp_ne_u32_e64 s[0:1], 5, v28
	s_add_i32 s11, s11, 1
	v_cndmask_b32_e64 v30, v22, v13, s[0:1]
	v_cmp_ne_u32_e64 s[0:1], 6, v28
	s_cmp_lt_i32 s11, s8
	v_cndmask_b32_e64 v31, v22, v14, s[0:1]
	v_cmp_ne_u32_e64 s[0:1], 7, v28
	v_cndmask_b32_e64 v28, v22, v15, s[0:1]
	s_cselect_b64 s[0:1], -1, 0
	v_cndmask_b32_e64 v15, v15, v28, s[0:1]
	v_cndmask_b32_e64 v14, v14, v31, s[0:1]
	;; [unrolled: 1-line block ×8, first 2 shown]
	s_cmp_eq_u32 s8, s11
	v_add_u32_e32 v23, s18, v23
	s_cbranch_scc0 .LBB277_8
; %bb.9:
	s_and_b64 vcc, exec, vcc
	s_cbranch_vccnz .LBB277_12
	s_branch .LBB277_20
.LBB277_10:
                                        ; implicit-def: $vgpr8_vgpr9_vgpr10_vgpr11_vgpr12_vgpr13_vgpr14_vgpr15
	s_andn2_b64 vcc, exec, s[10:11]
	s_cbranch_vccz .LBB277_5
	s_branch .LBB277_6
.LBB277_11:
	v_mov_b32_e32 v17, 0
	s_and_b64 vcc, exec, vcc
	s_cbranch_vccz .LBB277_20
.LBB277_12:
	s_andn2_b64 vcc, exec, s[16:17]
	s_cbranch_vccnz .LBB277_20
; %bb.13:
	v_cmp_lt_f32_e32 vcc, 0, v17
	s_mov_b32 s2, 0
	v_cndmask_b32_e32 v0, 1.0, v17, vcc
	v_mul_lo_u32 v4, v16, s8
	s_cmp_eq_u32 s8, 1
	s_mov_b64 s[0:1], -1
	s_cbranch_scc1 .LBB277_17
; %bb.14:
	s_and_b32 s2, s8, 0x7ffffffe
	v_mov_b32_e32 v1, v0
	v_mov_b32_e32 v5, s13
	s_mov_b32 s3, s2
	v_mov_b32_e32 v2, v4
.LBB277_15:                             ; =>This Inner Loop Header: Depth=1
	v_ashrrev_i32_e32 v3, 31, v2
	v_lshlrev_b64 v[6:7], 2, v[2:3]
	v_add_co_u32_e32 v6, vcc, s12, v6
	v_addc_co_u32_e32 v7, vcc, v5, v7, vcc
	global_load_dwordx2 v[8:9], v[6:7], off
	s_add_i32 s3, s3, -2
	s_cmp_lg_u32 s3, 0
	v_add_u32_e32 v2, 2, v2
	s_waitcnt vmcnt(0)
	v_div_scale_f32 v3, s[0:1], v1, v1, v9
	v_div_scale_f32 v11, s[0:1], v0, v0, v8
	v_rcp_f32_e32 v12, v3
	v_rcp_f32_e32 v13, v11
	v_div_scale_f32 v10, vcc, v9, v1, v9
	v_fma_f32 v15, -v3, v12, 1.0
	v_fma_f32 v16, -v11, v13, 1.0
	v_fmac_f32_e32 v12, v15, v12
	v_div_scale_f32 v14, s[0:1], v8, v0, v8
	v_fmac_f32_e32 v13, v16, v13
	v_mul_f32_e32 v15, v10, v12
	v_mul_f32_e32 v16, v14, v13
	v_fma_f32 v17, -v3, v15, v10
	v_fma_f32 v18, -v11, v16, v14
	v_fmac_f32_e32 v15, v17, v12
	v_fmac_f32_e32 v16, v18, v13
	v_fma_f32 v3, -v3, v15, v10
	v_fma_f32 v10, -v11, v16, v14
	v_div_fmas_f32 v3, v3, v12, v15
	s_mov_b64 vcc, s[0:1]
	v_div_fixup_f32 v9, v3, v1, v9
	v_div_fmas_f32 v3, v10, v13, v16
	v_div_fixup_f32 v8, v3, v0, v8
	global_store_dwordx2 v[6:7], v[8:9], off
	s_cbranch_scc1 .LBB277_15
; %bb.16:
	s_cmp_lg_u32 s2, s8
	s_cselect_b64 s[0:1], -1, 0
.LBB277_17:
	s_and_b64 vcc, exec, s[0:1]
	s_cbranch_vccz .LBB277_20
; %bb.18:
	v_ashrrev_i32_e32 v1, 31, v4
	v_add_co_u32_e32 v2, vcc, s2, v4
	v_addc_co_u32_e32 v3, vcc, 0, v1, vcc
	v_lshlrev_b64 v[2:3], 2, v[2:3]
	v_mov_b32_e32 v1, s13
	v_add_co_u32_e32 v2, vcc, s12, v2
	s_sub_i32 s0, s8, s2
	v_addc_co_u32_e32 v3, vcc, v1, v3, vcc
.LBB277_19:                             ; =>This Inner Loop Header: Depth=1
	global_load_dword v1, v[2:3], off
	s_add_i32 s0, s0, -1
	s_cmp_lg_u32 s0, 0
	s_waitcnt vmcnt(0)
	v_div_scale_f32 v4, s[2:3], v0, v0, v1
	v_rcp_f32_e32 v5, v4
	v_div_scale_f32 v6, vcc, v1, v0, v1
	v_fma_f32 v7, -v4, v5, 1.0
	v_fmac_f32_e32 v5, v7, v5
	v_mul_f32_e32 v7, v6, v5
	v_fma_f32 v8, -v4, v7, v6
	v_fmac_f32_e32 v7, v8, v5
	v_fma_f32 v4, -v4, v7, v6
	v_div_fmas_f32 v4, v4, v5, v7
	v_div_fixup_f32 v1, v4, v0, v1
	global_store_dword v[2:3], v1, off
	v_add_co_u32_e32 v2, vcc, 4, v2
	v_addc_co_u32_e32 v3, vcc, 0, v3, vcc
	s_cbranch_scc1 .LBB277_19
.LBB277_20:
	s_endpgm
	.section	.rodata,"a",@progbits
	.p2align	6, 0x0
	.amdhsa_kernel _ZN4vllm3moe10topkGatingILi8ELi8ELi4ELi16ELi32Ej6__halfLNS0_11ScoringFuncE1EEEvPKT5_PKbPfiPT4_PiiiibPKf
		.amdhsa_group_segment_fixed_size 0
		.amdhsa_private_segment_fixed_size 0
		.amdhsa_kernarg_size 72
		.amdhsa_user_sgpr_count 6
		.amdhsa_user_sgpr_private_segment_buffer 1
		.amdhsa_user_sgpr_dispatch_ptr 0
		.amdhsa_user_sgpr_queue_ptr 0
		.amdhsa_user_sgpr_kernarg_segment_ptr 1
		.amdhsa_user_sgpr_dispatch_id 0
		.amdhsa_user_sgpr_flat_scratch_init 0
		.amdhsa_user_sgpr_kernarg_preload_length 0
		.amdhsa_user_sgpr_kernarg_preload_offset 0
		.amdhsa_user_sgpr_private_segment_size 0
		.amdhsa_uses_dynamic_stack 0
		.amdhsa_system_sgpr_private_segment_wavefront_offset 0
		.amdhsa_system_sgpr_workgroup_id_x 1
		.amdhsa_system_sgpr_workgroup_id_y 0
		.amdhsa_system_sgpr_workgroup_id_z 0
		.amdhsa_system_sgpr_workgroup_info 0
		.amdhsa_system_vgpr_workitem_id 1
		.amdhsa_next_free_vgpr 35
		.amdhsa_next_free_sgpr 28
		.amdhsa_accum_offset 36
		.amdhsa_reserve_vcc 1
		.amdhsa_reserve_flat_scratch 0
		.amdhsa_float_round_mode_32 0
		.amdhsa_float_round_mode_16_64 0
		.amdhsa_float_denorm_mode_32 3
		.amdhsa_float_denorm_mode_16_64 3
		.amdhsa_dx10_clamp 1
		.amdhsa_ieee_mode 1
		.amdhsa_fp16_overflow 0
		.amdhsa_tg_split 0
		.amdhsa_exception_fp_ieee_invalid_op 0
		.amdhsa_exception_fp_denorm_src 0
		.amdhsa_exception_fp_ieee_div_zero 0
		.amdhsa_exception_fp_ieee_overflow 0
		.amdhsa_exception_fp_ieee_underflow 0
		.amdhsa_exception_fp_ieee_inexact 0
		.amdhsa_exception_int_div_zero 0
	.end_amdhsa_kernel
	.section	.text._ZN4vllm3moe10topkGatingILi8ELi8ELi4ELi16ELi32Ej6__halfLNS0_11ScoringFuncE1EEEvPKT5_PKbPfiPT4_PiiiibPKf,"axG",@progbits,_ZN4vllm3moe10topkGatingILi8ELi8ELi4ELi16ELi32Ej6__halfLNS0_11ScoringFuncE1EEEvPKT5_PKbPfiPT4_PiiiibPKf,comdat
.Lfunc_end277:
	.size	_ZN4vllm3moe10topkGatingILi8ELi8ELi4ELi16ELi32Ej6__halfLNS0_11ScoringFuncE1EEEvPKT5_PKbPfiPT4_PiiiibPKf, .Lfunc_end277-_ZN4vllm3moe10topkGatingILi8ELi8ELi4ELi16ELi32Ej6__halfLNS0_11ScoringFuncE1EEEvPKT5_PKbPfiPT4_PiiiibPKf
                                        ; -- End function
	.section	.AMDGPU.csdata,"",@progbits
; Kernel info:
; codeLenInByte = 2272
; NumSgprs: 32
; NumVgprs: 35
; NumAgprs: 0
; TotalNumVgprs: 35
; ScratchSize: 0
; MemoryBound: 1
; FloatMode: 240
; IeeeMode: 1
; LDSByteSize: 0 bytes/workgroup (compile time only)
; SGPRBlocks: 3
; VGPRBlocks: 4
; NumSGPRsForWavesPerEU: 32
; NumVGPRsForWavesPerEU: 35
; AccumOffset: 36
; Occupancy: 8
; WaveLimiterHint : 0
; COMPUTE_PGM_RSRC2:SCRATCH_EN: 0
; COMPUTE_PGM_RSRC2:USER_SGPR: 6
; COMPUTE_PGM_RSRC2:TRAP_HANDLER: 0
; COMPUTE_PGM_RSRC2:TGID_X_EN: 1
; COMPUTE_PGM_RSRC2:TGID_Y_EN: 0
; COMPUTE_PGM_RSRC2:TGID_Z_EN: 0
; COMPUTE_PGM_RSRC2:TIDIG_COMP_CNT: 1
; COMPUTE_PGM_RSRC3_GFX90A:ACCUM_OFFSET: 8
; COMPUTE_PGM_RSRC3_GFX90A:TG_SPLIT: 0
	.section	.text._ZN4vllm3moe10topkGatingILi8ELi16ELi4ELi16ELi64Ej6__halfLNS0_11ScoringFuncE1EEEvPKT5_PKbPfiPT4_PiiiibPKf,"axG",@progbits,_ZN4vllm3moe10topkGatingILi8ELi16ELi4ELi16ELi64Ej6__halfLNS0_11ScoringFuncE1EEEvPKT5_PKbPfiPT4_PiiiibPKf,comdat
	.protected	_ZN4vllm3moe10topkGatingILi8ELi16ELi4ELi16ELi64Ej6__halfLNS0_11ScoringFuncE1EEEvPKT5_PKbPfiPT4_PiiiibPKf ; -- Begin function _ZN4vllm3moe10topkGatingILi8ELi16ELi4ELi16ELi64Ej6__halfLNS0_11ScoringFuncE1EEEvPKT5_PKbPfiPT4_PiiiibPKf
	.globl	_ZN4vllm3moe10topkGatingILi8ELi16ELi4ELi16ELi64Ej6__halfLNS0_11ScoringFuncE1EEEvPKT5_PKbPfiPT4_PiiiibPKf
	.p2align	8
	.type	_ZN4vllm3moe10topkGatingILi8ELi16ELi4ELi16ELi64Ej6__halfLNS0_11ScoringFuncE1EEEvPKT5_PKbPfiPT4_PiiiibPKf,@function
_ZN4vllm3moe10topkGatingILi8ELi16ELi4ELi16ELi64Ej6__halfLNS0_11ScoringFuncE1EEEvPKT5_PKbPfiPT4_PiiiibPKf: ; @_ZN4vllm3moe10topkGatingILi8ELi16ELi4ELi16ELi64Ej6__halfLNS0_11ScoringFuncE1EEEvPKT5_PKbPfiPT4_PiiiibPKf
; %bb.0:
	s_load_dword s24, s[4:5], 0x18
	v_bfe_u32 v1, v0, 10, 10
	v_and_b32_e32 v0, 0x3ff, v0
	s_lshl_b32 s0, s6, 7
	v_lshlrev_b32_e32 v1, 5, v1
	v_lshrrev_b32_e32 v2, 1, v0
	v_add3_u32 v16, s0, v1, v2
	s_waitcnt lgkmcnt(0)
	v_cmp_gt_i32_e32 vcc, s24, v16
	s_and_saveexec_b64 s[0:1], vcc
	s_cbranch_execz .LBB278_30
; %bb.1:
	s_load_dwordx4 s[0:3], s[4:5], 0x0
	s_load_dwordx2 s[16:17], s[4:5], 0x10
	s_mov_b64 s[8:9], -1
	s_mov_b64 s[18:19], -1
	s_waitcnt lgkmcnt(0)
	s_cmp_eq_u64 s[2:3], 0
	s_cbranch_scc1 .LBB278_3
; %bb.2:
	v_ashrrev_i32_e32 v1, 31, v16
	v_mov_b32_e32 v3, s3
	v_add_co_u32_e32 v2, vcc, s2, v16
	v_addc_co_u32_e32 v3, vcc, v3, v1, vcc
	global_load_ubyte v1, v[2:3], off
	s_waitcnt vmcnt(0)
	v_and_b32_e32 v1, 1, v1
	v_cmp_eq_u32_e32 vcc, 1, v1
	s_xor_b64 s[2:3], vcc, -1
	s_orn2_b64 s[18:19], s[2:3], exec
.LBB278_3:
	v_lshlrev_b32_e32 v2, 4, v16
	v_ashrrev_i32_e32 v3, 31, v2
	v_lshlrev_b64 v[2:3], 1, v[2:3]
	v_mov_b32_e32 v1, s1
	v_add_co_u32_e32 v2, vcc, s0, v2
	v_and_b32_e32 v17, 1, v0
	v_addc_co_u32_e32 v1, vcc, v1, v3, vcc
	v_lshlrev_b32_e32 v0, 4, v17
	v_add_co_u32_e32 v0, vcc, v2, v0
	v_addc_co_u32_e32 v1, vcc, 0, v1, vcc
	global_load_dwordx4 v[0:3], v[0:1], off
	v_mov_b32_e32 v8, 0x207
	s_load_dwordx2 s[10:11], s[4:5], 0x40
	v_lshlrev_b32_e32 v18, 3, v17
	s_waitcnt lgkmcnt(0)
	s_cmp_eq_u64 s[10:11], 0
	s_waitcnt vmcnt(0)
	v_cvt_f32_f16_e32 v4, v0
	v_cvt_f32_f16_sdwa v0, v0 dst_sel:DWORD dst_unused:UNUSED_PAD src0_sel:WORD_1
	v_cvt_f32_f16_e32 v5, v1
	v_cvt_f32_f16_sdwa v1, v1 dst_sel:DWORD dst_unused:UNUSED_PAD src0_sel:WORD_1
	v_mul_f32_e32 v4, 0xbfb8aa3b, v4
	v_mul_f32_e32 v9, 0xbfb8aa3b, v0
	v_cvt_f32_f16_e32 v6, v2
	v_cvt_f32_f16_sdwa v2, v2 dst_sel:DWORD dst_unused:UNUSED_PAD src0_sel:WORD_1
	v_cvt_f32_f16_e32 v7, v3
	v_cvt_f32_f16_sdwa v3, v3 dst_sel:DWORD dst_unused:UNUSED_PAD src0_sel:WORD_1
	v_mul_f32_e32 v10, 0xbfb8aa3b, v1
	v_exp_f32_e32 v0, v4
	v_exp_f32_e32 v1, v9
	v_mul_f32_e32 v5, 0xbfb8aa3b, v5
	v_mul_f32_e32 v11, 0xbfb8aa3b, v2
	v_mul_f32_e32 v12, 0xbfb8aa3b, v3
	v_exp_f32_e32 v2, v5
	v_exp_f32_e32 v3, v10
	v_pk_add_f32 v[0:1], v[0:1], 1.0 op_sel_hi:[1,0]
	v_div_scale_f32 v9, s[0:1], v1, v1, 1.0
	v_rcp_f32_e32 v21, v9
	v_exp_f32_e32 v5, v11
	v_div_scale_f32 v11, s[0:1], v0, v0, 1.0
	v_pk_add_f32 v[2:3], v[2:3], 1.0 op_sel_hi:[1,0]
	v_rcp_f32_e32 v22, v11
	v_div_scale_f32 v13, s[2:3], v3, v3, 1.0
	v_rcp_f32_e32 v23, v13
	v_fma_f32 v26, -v9, v21, 1.0
	v_div_scale_f32 v10, vcc, 1.0, v1, 1.0
	v_div_scale_f32 v15, s[6:7], v2, v2, 1.0
	v_fmac_f32_e32 v21, v26, v21
	v_mul_f32_e32 v6, 0xbfb8aa3b, v6
	v_mul_f32_e32 v7, 0xbfb8aa3b, v7
	v_rcp_f32_e32 v24, v15
	v_fma_f32 v27, -v11, v22, 1.0
	v_mul_f32_e32 v26, v10, v21
	v_exp_f32_e32 v4, v6
	v_exp_f32_e32 v6, v7
	;; [unrolled: 1-line block ×3, first 2 shown]
	v_div_scale_f32 v12, s[0:1], 1.0, v0, 1.0
	v_fmac_f32_e32 v22, v27, v22
	v_fma_f32 v30, -v9, v26, v10
	v_fma_f32 v28, -v13, v23, 1.0
	v_mul_f32_e32 v27, v12, v22
	v_fmac_f32_e32 v26, v30, v21
	v_div_scale_f32 v14, s[2:3], 1.0, v3, 1.0
	v_fmac_f32_e32 v23, v28, v23
	v_fma_f32 v31, -v11, v27, v12
	v_fma_f32 v9, -v9, v26, v10
	v_fma_f32 v29, -v15, v24, 1.0
	v_mul_f32_e32 v28, v14, v23
	v_fmac_f32_e32 v27, v31, v22
	v_div_fmas_f32 v9, v9, v21, v26
	v_div_scale_f32 v19, s[6:7], 1.0, v2, 1.0
	v_fmac_f32_e32 v24, v29, v24
	v_fma_f32 v32, -v13, v28, v14
	v_fma_f32 v10, -v11, v27, v12
	v_div_fixup_f32 v1, v9, v1, 1.0
	s_mov_b64 vcc, s[0:1]
	v_pk_add_f32 v[4:5], v[4:5], 1.0 op_sel_hi:[1,0]
	v_mul_f32_e32 v29, v19, v24
	v_fmac_f32_e32 v28, v32, v23
	v_div_fmas_f32 v9, v10, v22, v27
	v_cmp_class_f32_e32 vcc, v1, v8
	v_div_scale_f32 v20, s[12:13], v5, v5, 1.0
	v_fma_f32 v33, -v15, v29, v19
	v_fma_f32 v11, -v13, v28, v14
	v_div_fixup_f32 v0, v9, v0, 1.0
	v_cndmask_b32_e64 v1, v1, 0, vcc
	s_mov_b64 vcc, s[2:3]
	v_rcp_f32_e32 v25, v20
	v_fmac_f32_e32 v29, v33, v24
	v_div_fmas_f32 v9, v11, v23, v28
	v_cmp_class_f32_e32 vcc, v0, v8
	v_fma_f32 v12, -v15, v29, v19
	v_cndmask_b32_e64 v0, v0, 0, vcc
	s_mov_b64 vcc, s[6:7]
	v_div_fixup_f32 v3, v9, v3, 1.0
	v_div_fmas_f32 v9, v12, v24, v29
	v_div_fixup_f32 v2, v9, v2, 1.0
	v_cmp_class_f32_e32 vcc, v3, v8
	v_cndmask_b32_e64 v3, v3, 0, vcc
	v_cmp_class_f32_e32 vcc, v2, v8
	v_fma_f32 v9, -v20, v25, 1.0
	v_cndmask_b32_e64 v2, v2, 0, vcc
	v_fmac_f32_e32 v25, v9, v25
	v_div_scale_f32 v9, vcc, 1.0, v5, 1.0
	v_mul_f32_e32 v10, v9, v25
	v_fma_f32 v11, -v20, v10, v9
	v_fmac_f32_e32 v10, v11, v25
	v_div_scale_f32 v11, s[0:1], v4, v4, 1.0
	v_rcp_f32_e32 v12, v11
	v_fma_f32 v9, -v20, v10, v9
	v_div_fmas_f32 v9, v9, v25, v10
	v_div_fixup_f32 v5, v9, v5, 1.0
	v_fma_f32 v9, -v11, v12, 1.0
	v_fmac_f32_e32 v12, v9, v12
	v_div_scale_f32 v9, vcc, 1.0, v4, 1.0
	v_mul_f32_e32 v10, v9, v12
	v_fma_f32 v13, -v11, v10, v9
	v_fmac_f32_e32 v10, v13, v12
	v_fma_f32 v9, -v11, v10, v9
	v_div_fmas_f32 v9, v9, v12, v10
	v_pk_add_f32 v[6:7], v[6:7], 1.0 op_sel_hi:[1,0]
	v_div_fixup_f32 v4, v9, v4, 1.0
	v_div_scale_f32 v9, s[0:1], v7, v7, 1.0
	v_rcp_f32_e32 v10, v9
	v_cmp_class_f32_e32 vcc, v5, v8
	v_cndmask_b32_e64 v5, v5, 0, vcc
	v_cmp_class_f32_e32 vcc, v4, v8
	v_fma_f32 v11, -v9, v10, 1.0
	v_cndmask_b32_e64 v4, v4, 0, vcc
	v_fmac_f32_e32 v10, v11, v10
	v_div_scale_f32 v11, vcc, 1.0, v7, 1.0
	v_mul_f32_e32 v12, v11, v10
	v_fma_f32 v13, -v9, v12, v11
	v_fmac_f32_e32 v12, v13, v10
	v_fma_f32 v9, -v9, v12, v11
	v_div_scale_f32 v11, s[0:1], v6, v6, 1.0
	v_rcp_f32_e32 v13, v11
	v_div_fmas_f32 v9, v9, v10, v12
	v_div_fixup_f32 v7, v9, v7, 1.0
	v_fma_f32 v9, -v11, v13, 1.0
	v_fmac_f32_e32 v13, v9, v13
	v_div_scale_f32 v9, vcc, 1.0, v6, 1.0
	v_mul_f32_e32 v10, v9, v13
	v_fma_f32 v12, -v11, v10, v9
	v_fmac_f32_e32 v10, v12, v13
	v_fma_f32 v9, -v11, v10, v9
	v_div_fmas_f32 v9, v9, v13, v10
	v_div_fixup_f32 v6, v9, v6, 1.0
	v_cmp_class_f32_e32 vcc, v7, v8
	v_cndmask_b32_e64 v7, v7, 0, vcc
	v_cmp_class_f32_e32 vcc, v6, v8
	v_cndmask_b32_e64 v6, v6, 0, vcc
	s_cbranch_scc1 .LBB278_19
; %bb.4:
	v_lshlrev_b32_e32 v19, 2, v18
	global_load_dwordx4 v[8:11], v19, s[10:11]
	global_load_dwordx4 v[12:15], v19, s[10:11] offset:16
	s_waitcnt vmcnt(1)
	v_pk_add_f32 v[8:9], v[8:9], v[0:1]
	v_pk_add_f32 v[10:11], v[10:11], v[2:3]
	s_waitcnt vmcnt(0)
	v_pk_add_f32 v[12:13], v[12:13], v[4:5]
	v_pk_add_f32 v[14:15], v[14:15], v[6:7]
	s_cbranch_execnz .LBB278_6
.LBB278_5:
	v_pk_mov_b32 v[14:15], v[6:7], v[6:7] op_sel:[0,1]
	v_pk_mov_b32 v[12:13], v[4:5], v[4:5] op_sel:[0,1]
	;; [unrolled: 1-line block ×4, first 2 shown]
.LBB278_6:
	s_load_dwordx4 s[8:11], s[4:5], 0x30
	s_mov_b32 s25, 0
	v_cmp_eq_u32_e64 s[0:1], 0, v17
	s_waitcnt lgkmcnt(0)
	s_bitcmp1_b32 s11, 0
	s_cselect_b64 vcc, -1, 0
	s_cmp_gt_i32 s8, 0
	s_cselect_b64 s[6:7], -1, 0
	s_cmp_lt_i32 s8, 1
	s_cbranch_scc1 .LBB278_20
; %bb.7:
	v_mbcnt_lo_u32_b32 v19, -1, 0
	v_mbcnt_hi_u32_b32 v19, -1, v19
	s_load_dwordx4 s[12:15], s[4:5], 0x20
	v_and_b32_e32 v21, 0x7e, v19
	v_xor_b32_e32 v20, 1, v19
	v_add_u32_e32 v21, 2, v21
	v_cmp_lt_i32_e64 s[2:3], v20, v21
	v_cndmask_b32_e64 v19, v19, v20, s[2:3]
	v_lshlrev_b32_e32 v20, 2, v19
	v_mul_lo_u32 v21, v16, s8
	v_mov_b32_e32 v19, 0
	v_mov_b32_e32 v22, 0xc61c4000
	;; [unrolled: 1-line block ×3, first 2 shown]
	s_branch .LBB278_10
.LBB278_8:                              ;   in Loop: Header=BB278_10 Depth=1
	s_or_b64 exec, exec, s[4:5]
.LBB278_9:                              ;   in Loop: Header=BB278_10 Depth=1
	s_cmp_eq_u32 s8, s25
	v_add_u32_e32 v23, s24, v23
	s_cbranch_scc1 .LBB278_21
.LBB278_10:                             ; =>This Inner Loop Header: Depth=1
	v_cmp_gt_f32_e64 s[2:3], v9, v8
	v_cndmask_b32_e64 v26, v8, v9, s[2:3]
	v_cndmask_b32_e64 v24, 0, 1, s[2:3]
	v_cndmask_b32_e64 v25, v0, v1, s[2:3]
	v_cmp_gt_f32_e64 s[2:3], v10, v26
	v_cndmask_b32_e64 v26, v26, v10, s[2:3]
	v_cndmask_b32_e64 v24, v24, 2, s[2:3]
	v_cndmask_b32_e64 v25, v25, v2, s[2:3]
	;; [unrolled: 4-line block ×6, first 2 shown]
	v_cmp_gt_f32_e64 s[2:3], v15, v26
	v_cndmask_b32_e64 v24, v24, 7, s[2:3]
	v_cndmask_b32_e64 v28, v26, v15, s[2:3]
	v_or_b32_e32 v24, v18, v24
	v_cndmask_b32_e64 v25, v25, v7, s[2:3]
	ds_bpermute_b32 v29, v20, v28
	ds_bpermute_b32 v26, v20, v25
	;; [unrolled: 1-line block ×3, first 2 shown]
	s_waitcnt lgkmcnt(0)
	v_cmp_lt_f32_e64 s[20:21], v28, v29
	v_cmp_nlt_f32_e64 s[2:3], v28, v29
	s_and_saveexec_b64 s[22:23], s[2:3]
	s_cbranch_execnz .LBB278_14
; %bb.11:                               ;   in Loop: Header=BB278_10 Depth=1
	s_or_b64 exec, exec, s[22:23]
	s_and_saveexec_b64 s[2:3], s[20:21]
	s_cbranch_execnz .LBB278_15
.LBB278_12:                             ;   in Loop: Header=BB278_10 Depth=1
	s_or_b64 exec, exec, s[2:3]
	s_and_saveexec_b64 s[20:21], s[0:1]
	s_cbranch_execnz .LBB278_16
.LBB278_13:                             ;   in Loop: Header=BB278_10 Depth=1
	s_or_b64 exec, exec, s[20:21]
	s_add_i32 s25, s25, 1
	s_cmp_ge_i32 s25, s8
	s_cbranch_scc1 .LBB278_9
	s_branch .LBB278_17
.LBB278_14:                             ;   in Loop: Header=BB278_10 Depth=1
	v_cmp_eq_f32_e64 s[2:3], v28, v29
	v_cmp_lt_i32_e64 s[4:5], v27, v24
	s_and_b64 s[2:3], s[2:3], s[4:5]
	s_andn2_b64 s[4:5], s[20:21], exec
	s_and_b64 s[2:3], s[2:3], exec
	s_or_b64 s[20:21], s[4:5], s[2:3]
	s_or_b64 exec, exec, s[22:23]
	s_and_saveexec_b64 s[2:3], s[20:21]
	s_cbranch_execz .LBB278_12
.LBB278_15:                             ;   in Loop: Header=BB278_10 Depth=1
	v_mov_b32_e32 v24, v27
	v_mov_b32_e32 v25, v26
	s_or_b64 exec, exec, s[2:3]
	s_and_saveexec_b64 s[20:21], s[0:1]
	s_cbranch_execz .LBB278_13
.LBB278_16:                             ;   in Loop: Header=BB278_10 Depth=1
	v_add_u32_e32 v26, s25, v21
	v_ashrrev_i32_e32 v27, 31, v26
	v_cmp_le_i32_e64 s[2:3], s9, v24
	v_cmp_gt_i32_e64 s[4:5], s10, v24
	v_lshlrev_b64 v[26:27], 2, v[26:27]
	s_and_b64 s[4:5], s[2:3], s[4:5]
	v_mov_b32_e32 v29, s17
	v_add_co_u32_e64 v28, s[2:3], s16, v26
	v_addc_co_u32_e64 v29, s[2:3], v29, v27, s[2:3]
	global_store_dword v[28:29], v25, off
	v_subrev_u32_e32 v28, s9, v24
	s_and_b64 s[2:3], s[18:19], s[4:5]
	v_cndmask_b32_e64 v30, 16, v28, s[2:3]
	v_mov_b32_e32 v29, s13
	v_add_co_u32_e64 v28, s[2:3], s12, v26
	v_addc_co_u32_e64 v29, s[2:3], v29, v27, s[2:3]
	global_store_dword v[28:29], v30, off
	v_mov_b32_e32 v28, s15
	v_add_co_u32_e64 v26, s[2:3], s14, v26
	v_add_f32_e32 v25, v19, v25
	v_addc_co_u32_e64 v27, s[2:3], v28, v27, s[2:3]
	v_cndmask_b32_e32 v19, v19, v25, vcc
	global_store_dword v[26:27], v23, off
	s_or_b64 exec, exec, s[20:21]
	s_add_i32 s25, s25, 1
	s_cmp_ge_i32 s25, s8
	s_cbranch_scc1 .LBB278_9
.LBB278_17:                             ;   in Loop: Header=BB278_10 Depth=1
	v_ashrrev_i32_e32 v26, 31, v24
	v_lshrrev_b32_e32 v25, 29, v26
	v_add_u32_e32 v27, v24, v25
	v_ashrrev_i32_e32 v25, 3, v27
	v_lshrrev_b32_e32 v27, 31, v27
	v_add_u32_e32 v27, v25, v27
	v_and_b32_e32 v27, -2, v27
	v_sub_u32_e32 v27, v25, v27
	v_cmp_eq_u32_e64 s[2:3], v17, v27
	s_and_saveexec_b64 s[4:5], s[2:3]
	s_cbranch_execz .LBB278_8
; %bb.18:                               ;   in Loop: Header=BB278_10 Depth=1
	v_lshrrev_b32_e32 v26, 28, v26
	v_add_u32_e32 v26, v24, v26
	v_lshlrev_b32_e32 v25, 3, v25
	v_ashrrev_i32_e32 v26, 4, v26
	v_sub_u32_e32 v24, v24, v25
	v_lshl_add_u32 v24, v26, 3, v24
	v_cmp_ne_u32_e64 s[2:3], 7, v24
	v_cndmask_b32_e64 v15, v22, v15, s[2:3]
	v_cmp_ne_u32_e64 s[2:3], 6, v24
	v_cndmask_b32_e64 v14, v22, v14, s[2:3]
	;; [unrolled: 2-line block ×8, first 2 shown]
	s_branch .LBB278_8
.LBB278_19:
                                        ; implicit-def: $vgpr8_vgpr9_vgpr10_vgpr11_vgpr12_vgpr13_vgpr14_vgpr15
	s_andn2_b64 vcc, exec, s[8:9]
	s_cbranch_vccz .LBB278_5
	s_branch .LBB278_6
.LBB278_20:
	v_mov_b32_e32 v19, 0
.LBB278_21:
	v_cmp_eq_u32_e64 s[0:1], 0, v17
	s_and_b64 s[0:1], s[0:1], vcc
	s_and_b64 exec, exec, s[0:1]
	s_cbranch_execz .LBB278_30
; %bb.22:
	s_andn2_b64 vcc, exec, s[6:7]
	s_cbranch_vccnz .LBB278_30
; %bb.23:
	v_cmp_lt_f32_e32 vcc, 0, v19
	s_mov_b32 s2, 0
	v_cndmask_b32_e32 v0, 1.0, v19, vcc
	v_mul_lo_u32 v4, v16, s8
	s_cmp_eq_u32 s8, 1
	s_mov_b64 s[0:1], -1
	s_cbranch_scc1 .LBB278_27
; %bb.24:
	s_and_b32 s2, s8, 0x7ffffffe
	v_mov_b32_e32 v1, v0
	v_mov_b32_e32 v5, s17
	s_mov_b32 s3, s2
	v_mov_b32_e32 v2, v4
.LBB278_25:                             ; =>This Inner Loop Header: Depth=1
	v_ashrrev_i32_e32 v3, 31, v2
	v_lshlrev_b64 v[6:7], 2, v[2:3]
	v_add_co_u32_e32 v6, vcc, s16, v6
	v_addc_co_u32_e32 v7, vcc, v5, v7, vcc
	global_load_dwordx2 v[8:9], v[6:7], off
	s_add_i32 s3, s3, -2
	s_cmp_lg_u32 s3, 0
	v_add_u32_e32 v2, 2, v2
	s_waitcnt vmcnt(0)
	v_div_scale_f32 v3, s[0:1], v1, v1, v9
	v_div_scale_f32 v11, s[0:1], v0, v0, v8
	v_rcp_f32_e32 v12, v3
	v_rcp_f32_e32 v13, v11
	v_div_scale_f32 v10, vcc, v9, v1, v9
	v_fma_f32 v15, -v3, v12, 1.0
	v_fma_f32 v16, -v11, v13, 1.0
	v_fmac_f32_e32 v12, v15, v12
	v_div_scale_f32 v14, s[0:1], v8, v0, v8
	v_fmac_f32_e32 v13, v16, v13
	v_mul_f32_e32 v15, v10, v12
	v_mul_f32_e32 v16, v14, v13
	v_fma_f32 v17, -v3, v15, v10
	v_fma_f32 v18, -v11, v16, v14
	v_fmac_f32_e32 v15, v17, v12
	v_fmac_f32_e32 v16, v18, v13
	v_fma_f32 v3, -v3, v15, v10
	v_fma_f32 v10, -v11, v16, v14
	v_div_fmas_f32 v3, v3, v12, v15
	s_mov_b64 vcc, s[0:1]
	v_div_fixup_f32 v9, v3, v1, v9
	v_div_fmas_f32 v3, v10, v13, v16
	v_div_fixup_f32 v8, v3, v0, v8
	global_store_dwordx2 v[6:7], v[8:9], off
	s_cbranch_scc1 .LBB278_25
; %bb.26:
	s_cmp_lg_u32 s2, s8
	s_cselect_b64 s[0:1], -1, 0
.LBB278_27:
	s_and_b64 vcc, exec, s[0:1]
	s_cbranch_vccz .LBB278_30
; %bb.28:
	v_ashrrev_i32_e32 v1, 31, v4
	v_add_co_u32_e32 v2, vcc, s2, v4
	v_addc_co_u32_e32 v3, vcc, 0, v1, vcc
	v_lshlrev_b64 v[2:3], 2, v[2:3]
	v_mov_b32_e32 v1, s17
	v_add_co_u32_e32 v2, vcc, s16, v2
	s_sub_i32 s0, s8, s2
	v_addc_co_u32_e32 v3, vcc, v1, v3, vcc
.LBB278_29:                             ; =>This Inner Loop Header: Depth=1
	global_load_dword v1, v[2:3], off
	s_add_i32 s0, s0, -1
	s_cmp_lg_u32 s0, 0
	s_waitcnt vmcnt(0)
	v_div_scale_f32 v4, s[2:3], v0, v0, v1
	v_rcp_f32_e32 v5, v4
	v_div_scale_f32 v6, vcc, v1, v0, v1
	v_fma_f32 v7, -v4, v5, 1.0
	v_fmac_f32_e32 v5, v7, v5
	v_mul_f32_e32 v7, v6, v5
	v_fma_f32 v8, -v4, v7, v6
	v_fmac_f32_e32 v7, v8, v5
	v_fma_f32 v4, -v4, v7, v6
	v_div_fmas_f32 v4, v4, v5, v7
	v_div_fixup_f32 v1, v4, v0, v1
	global_store_dword v[2:3], v1, off
	v_add_co_u32_e32 v2, vcc, 4, v2
	v_addc_co_u32_e32 v3, vcc, 0, v3, vcc
	s_cbranch_scc1 .LBB278_29
.LBB278_30:
	s_endpgm
	.section	.rodata,"a",@progbits
	.p2align	6, 0x0
	.amdhsa_kernel _ZN4vllm3moe10topkGatingILi8ELi16ELi4ELi16ELi64Ej6__halfLNS0_11ScoringFuncE1EEEvPKT5_PKbPfiPT4_PiiiibPKf
		.amdhsa_group_segment_fixed_size 0
		.amdhsa_private_segment_fixed_size 0
		.amdhsa_kernarg_size 72
		.amdhsa_user_sgpr_count 6
		.amdhsa_user_sgpr_private_segment_buffer 1
		.amdhsa_user_sgpr_dispatch_ptr 0
		.amdhsa_user_sgpr_queue_ptr 0
		.amdhsa_user_sgpr_kernarg_segment_ptr 1
		.amdhsa_user_sgpr_dispatch_id 0
		.amdhsa_user_sgpr_flat_scratch_init 0
		.amdhsa_user_sgpr_kernarg_preload_length 0
		.amdhsa_user_sgpr_kernarg_preload_offset 0
		.amdhsa_user_sgpr_private_segment_size 0
		.amdhsa_uses_dynamic_stack 0
		.amdhsa_system_sgpr_private_segment_wavefront_offset 0
		.amdhsa_system_sgpr_workgroup_id_x 1
		.amdhsa_system_sgpr_workgroup_id_y 0
		.amdhsa_system_sgpr_workgroup_id_z 0
		.amdhsa_system_sgpr_workgroup_info 0
		.amdhsa_system_vgpr_workitem_id 1
		.amdhsa_next_free_vgpr 34
		.amdhsa_next_free_sgpr 26
		.amdhsa_accum_offset 36
		.amdhsa_reserve_vcc 1
		.amdhsa_reserve_flat_scratch 0
		.amdhsa_float_round_mode_32 0
		.amdhsa_float_round_mode_16_64 0
		.amdhsa_float_denorm_mode_32 3
		.amdhsa_float_denorm_mode_16_64 3
		.amdhsa_dx10_clamp 1
		.amdhsa_ieee_mode 1
		.amdhsa_fp16_overflow 0
		.amdhsa_tg_split 0
		.amdhsa_exception_fp_ieee_invalid_op 0
		.amdhsa_exception_fp_denorm_src 0
		.amdhsa_exception_fp_ieee_div_zero 0
		.amdhsa_exception_fp_ieee_overflow 0
		.amdhsa_exception_fp_ieee_underflow 0
		.amdhsa_exception_fp_ieee_inexact 0
		.amdhsa_exception_int_div_zero 0
	.end_amdhsa_kernel
	.section	.text._ZN4vllm3moe10topkGatingILi8ELi16ELi4ELi16ELi64Ej6__halfLNS0_11ScoringFuncE1EEEvPKT5_PKbPfiPT4_PiiiibPKf,"axG",@progbits,_ZN4vllm3moe10topkGatingILi8ELi16ELi4ELi16ELi64Ej6__halfLNS0_11ScoringFuncE1EEEvPKT5_PKbPfiPT4_PiiiibPKf,comdat
.Lfunc_end278:
	.size	_ZN4vllm3moe10topkGatingILi8ELi16ELi4ELi16ELi64Ej6__halfLNS0_11ScoringFuncE1EEEvPKT5_PKbPfiPT4_PiiiibPKf, .Lfunc_end278-_ZN4vllm3moe10topkGatingILi8ELi16ELi4ELi16ELi64Ej6__halfLNS0_11ScoringFuncE1EEEvPKT5_PKbPfiPT4_PiiiibPKf
                                        ; -- End function
	.section	.AMDGPU.csdata,"",@progbits
; Kernel info:
; codeLenInByte = 2564
; NumSgprs: 30
; NumVgprs: 34
; NumAgprs: 0
; TotalNumVgprs: 34
; ScratchSize: 0
; MemoryBound: 0
; FloatMode: 240
; IeeeMode: 1
; LDSByteSize: 0 bytes/workgroup (compile time only)
; SGPRBlocks: 3
; VGPRBlocks: 4
; NumSGPRsForWavesPerEU: 30
; NumVGPRsForWavesPerEU: 34
; AccumOffset: 36
; Occupancy: 8
; WaveLimiterHint : 0
; COMPUTE_PGM_RSRC2:SCRATCH_EN: 0
; COMPUTE_PGM_RSRC2:USER_SGPR: 6
; COMPUTE_PGM_RSRC2:TRAP_HANDLER: 0
; COMPUTE_PGM_RSRC2:TGID_X_EN: 1
; COMPUTE_PGM_RSRC2:TGID_Y_EN: 0
; COMPUTE_PGM_RSRC2:TGID_Z_EN: 0
; COMPUTE_PGM_RSRC2:TIDIG_COMP_CNT: 1
; COMPUTE_PGM_RSRC3_GFX90A:ACCUM_OFFSET: 8
; COMPUTE_PGM_RSRC3_GFX90A:TG_SPLIT: 0
	.section	.text._ZN4vllm3moe10topkGatingILi8ELi16ELi4ELi16ELi32Ej6__halfLNS0_11ScoringFuncE1EEEvPKT5_PKbPfiPT4_PiiiibPKf,"axG",@progbits,_ZN4vllm3moe10topkGatingILi8ELi16ELi4ELi16ELi32Ej6__halfLNS0_11ScoringFuncE1EEEvPKT5_PKbPfiPT4_PiiiibPKf,comdat
	.protected	_ZN4vllm3moe10topkGatingILi8ELi16ELi4ELi16ELi32Ej6__halfLNS0_11ScoringFuncE1EEEvPKT5_PKbPfiPT4_PiiiibPKf ; -- Begin function _ZN4vllm3moe10topkGatingILi8ELi16ELi4ELi16ELi32Ej6__halfLNS0_11ScoringFuncE1EEEvPKT5_PKbPfiPT4_PiiiibPKf
	.globl	_ZN4vllm3moe10topkGatingILi8ELi16ELi4ELi16ELi32Ej6__halfLNS0_11ScoringFuncE1EEEvPKT5_PKbPfiPT4_PiiiibPKf
	.p2align	8
	.type	_ZN4vllm3moe10topkGatingILi8ELi16ELi4ELi16ELi32Ej6__halfLNS0_11ScoringFuncE1EEEvPKT5_PKbPfiPT4_PiiiibPKf,@function
_ZN4vllm3moe10topkGatingILi8ELi16ELi4ELi16ELi32Ej6__halfLNS0_11ScoringFuncE1EEEvPKT5_PKbPfiPT4_PiiiibPKf: ; @_ZN4vllm3moe10topkGatingILi8ELi16ELi4ELi16ELi32Ej6__halfLNS0_11ScoringFuncE1EEEvPKT5_PKbPfiPT4_PiiiibPKf
; %bb.0:
	s_load_dword s24, s[4:5], 0x18
	v_bfe_u32 v1, v0, 10, 10
	v_and_b32_e32 v0, 0x3ff, v0
	s_lshl_b32 s0, s6, 6
	v_lshlrev_b32_e32 v1, 4, v1
	v_lshrrev_b32_e32 v2, 1, v0
	v_add3_u32 v16, s0, v1, v2
	s_waitcnt lgkmcnt(0)
	v_cmp_gt_i32_e32 vcc, s24, v16
	s_and_saveexec_b64 s[0:1], vcc
	s_cbranch_execz .LBB279_30
; %bb.1:
	s_load_dwordx4 s[0:3], s[4:5], 0x0
	s_load_dwordx2 s[16:17], s[4:5], 0x10
	s_mov_b64 s[8:9], -1
	s_mov_b64 s[18:19], -1
	s_waitcnt lgkmcnt(0)
	s_cmp_eq_u64 s[2:3], 0
	s_cbranch_scc1 .LBB279_3
; %bb.2:
	v_ashrrev_i32_e32 v1, 31, v16
	v_mov_b32_e32 v3, s3
	v_add_co_u32_e32 v2, vcc, s2, v16
	v_addc_co_u32_e32 v3, vcc, v3, v1, vcc
	global_load_ubyte v1, v[2:3], off
	s_waitcnt vmcnt(0)
	v_and_b32_e32 v1, 1, v1
	v_cmp_eq_u32_e32 vcc, 1, v1
	s_xor_b64 s[2:3], vcc, -1
	s_orn2_b64 s[18:19], s[2:3], exec
.LBB279_3:
	v_lshlrev_b32_e32 v2, 4, v16
	v_ashrrev_i32_e32 v3, 31, v2
	v_lshlrev_b64 v[2:3], 1, v[2:3]
	v_mov_b32_e32 v1, s1
	v_add_co_u32_e32 v2, vcc, s0, v2
	v_and_b32_e32 v17, 1, v0
	v_addc_co_u32_e32 v1, vcc, v1, v3, vcc
	v_lshlrev_b32_e32 v0, 4, v17
	v_add_co_u32_e32 v0, vcc, v2, v0
	v_addc_co_u32_e32 v1, vcc, 0, v1, vcc
	global_load_dwordx4 v[0:3], v[0:1], off
	v_mov_b32_e32 v8, 0x207
	s_load_dwordx2 s[10:11], s[4:5], 0x40
	v_lshlrev_b32_e32 v18, 3, v17
	s_waitcnt lgkmcnt(0)
	s_cmp_eq_u64 s[10:11], 0
	s_waitcnt vmcnt(0)
	v_cvt_f32_f16_e32 v4, v0
	v_cvt_f32_f16_sdwa v0, v0 dst_sel:DWORD dst_unused:UNUSED_PAD src0_sel:WORD_1
	v_cvt_f32_f16_e32 v5, v1
	v_cvt_f32_f16_sdwa v1, v1 dst_sel:DWORD dst_unused:UNUSED_PAD src0_sel:WORD_1
	v_mul_f32_e32 v4, 0xbfb8aa3b, v4
	v_mul_f32_e32 v9, 0xbfb8aa3b, v0
	v_cvt_f32_f16_e32 v6, v2
	v_cvt_f32_f16_sdwa v2, v2 dst_sel:DWORD dst_unused:UNUSED_PAD src0_sel:WORD_1
	v_cvt_f32_f16_e32 v7, v3
	v_cvt_f32_f16_sdwa v3, v3 dst_sel:DWORD dst_unused:UNUSED_PAD src0_sel:WORD_1
	v_mul_f32_e32 v10, 0xbfb8aa3b, v1
	v_exp_f32_e32 v0, v4
	v_exp_f32_e32 v1, v9
	v_mul_f32_e32 v5, 0xbfb8aa3b, v5
	v_mul_f32_e32 v11, 0xbfb8aa3b, v2
	;; [unrolled: 1-line block ×3, first 2 shown]
	v_exp_f32_e32 v2, v5
	v_exp_f32_e32 v3, v10
	v_pk_add_f32 v[0:1], v[0:1], 1.0 op_sel_hi:[1,0]
	v_div_scale_f32 v9, s[0:1], v1, v1, 1.0
	v_rcp_f32_e32 v21, v9
	v_exp_f32_e32 v5, v11
	v_div_scale_f32 v11, s[0:1], v0, v0, 1.0
	v_pk_add_f32 v[2:3], v[2:3], 1.0 op_sel_hi:[1,0]
	v_rcp_f32_e32 v22, v11
	v_div_scale_f32 v13, s[2:3], v3, v3, 1.0
	v_rcp_f32_e32 v23, v13
	v_fma_f32 v26, -v9, v21, 1.0
	v_div_scale_f32 v10, vcc, 1.0, v1, 1.0
	v_div_scale_f32 v15, s[6:7], v2, v2, 1.0
	v_fmac_f32_e32 v21, v26, v21
	v_mul_f32_e32 v6, 0xbfb8aa3b, v6
	v_mul_f32_e32 v7, 0xbfb8aa3b, v7
	v_rcp_f32_e32 v24, v15
	v_fma_f32 v27, -v11, v22, 1.0
	v_mul_f32_e32 v26, v10, v21
	v_exp_f32_e32 v4, v6
	v_exp_f32_e32 v6, v7
	v_exp_f32_e32 v7, v12
	v_div_scale_f32 v12, s[0:1], 1.0, v0, 1.0
	v_fmac_f32_e32 v22, v27, v22
	v_fma_f32 v30, -v9, v26, v10
	v_fma_f32 v28, -v13, v23, 1.0
	v_mul_f32_e32 v27, v12, v22
	v_fmac_f32_e32 v26, v30, v21
	v_div_scale_f32 v14, s[2:3], 1.0, v3, 1.0
	v_fmac_f32_e32 v23, v28, v23
	v_fma_f32 v31, -v11, v27, v12
	v_fma_f32 v9, -v9, v26, v10
	v_fma_f32 v29, -v15, v24, 1.0
	v_mul_f32_e32 v28, v14, v23
	v_fmac_f32_e32 v27, v31, v22
	v_div_fmas_f32 v9, v9, v21, v26
	v_div_scale_f32 v19, s[6:7], 1.0, v2, 1.0
	v_fmac_f32_e32 v24, v29, v24
	v_fma_f32 v32, -v13, v28, v14
	v_fma_f32 v10, -v11, v27, v12
	v_div_fixup_f32 v1, v9, v1, 1.0
	s_mov_b64 vcc, s[0:1]
	v_pk_add_f32 v[4:5], v[4:5], 1.0 op_sel_hi:[1,0]
	v_mul_f32_e32 v29, v19, v24
	v_fmac_f32_e32 v28, v32, v23
	v_div_fmas_f32 v9, v10, v22, v27
	v_cmp_class_f32_e32 vcc, v1, v8
	v_div_scale_f32 v20, s[12:13], v5, v5, 1.0
	v_fma_f32 v33, -v15, v29, v19
	v_fma_f32 v11, -v13, v28, v14
	v_div_fixup_f32 v0, v9, v0, 1.0
	v_cndmask_b32_e64 v1, v1, 0, vcc
	s_mov_b64 vcc, s[2:3]
	v_rcp_f32_e32 v25, v20
	v_fmac_f32_e32 v29, v33, v24
	v_div_fmas_f32 v9, v11, v23, v28
	v_cmp_class_f32_e32 vcc, v0, v8
	v_fma_f32 v12, -v15, v29, v19
	v_cndmask_b32_e64 v0, v0, 0, vcc
	s_mov_b64 vcc, s[6:7]
	v_div_fixup_f32 v3, v9, v3, 1.0
	v_div_fmas_f32 v9, v12, v24, v29
	v_div_fixup_f32 v2, v9, v2, 1.0
	v_cmp_class_f32_e32 vcc, v3, v8
	v_cndmask_b32_e64 v3, v3, 0, vcc
	v_cmp_class_f32_e32 vcc, v2, v8
	v_fma_f32 v9, -v20, v25, 1.0
	v_cndmask_b32_e64 v2, v2, 0, vcc
	v_fmac_f32_e32 v25, v9, v25
	v_div_scale_f32 v9, vcc, 1.0, v5, 1.0
	v_mul_f32_e32 v10, v9, v25
	v_fma_f32 v11, -v20, v10, v9
	v_fmac_f32_e32 v10, v11, v25
	v_div_scale_f32 v11, s[0:1], v4, v4, 1.0
	v_rcp_f32_e32 v12, v11
	v_fma_f32 v9, -v20, v10, v9
	v_div_fmas_f32 v9, v9, v25, v10
	v_div_fixup_f32 v5, v9, v5, 1.0
	v_fma_f32 v9, -v11, v12, 1.0
	v_fmac_f32_e32 v12, v9, v12
	v_div_scale_f32 v9, vcc, 1.0, v4, 1.0
	v_mul_f32_e32 v10, v9, v12
	v_fma_f32 v13, -v11, v10, v9
	v_fmac_f32_e32 v10, v13, v12
	v_fma_f32 v9, -v11, v10, v9
	v_div_fmas_f32 v9, v9, v12, v10
	v_pk_add_f32 v[6:7], v[6:7], 1.0 op_sel_hi:[1,0]
	v_div_fixup_f32 v4, v9, v4, 1.0
	v_div_scale_f32 v9, s[0:1], v7, v7, 1.0
	v_rcp_f32_e32 v10, v9
	v_cmp_class_f32_e32 vcc, v5, v8
	v_cndmask_b32_e64 v5, v5, 0, vcc
	v_cmp_class_f32_e32 vcc, v4, v8
	v_fma_f32 v11, -v9, v10, 1.0
	v_cndmask_b32_e64 v4, v4, 0, vcc
	v_fmac_f32_e32 v10, v11, v10
	v_div_scale_f32 v11, vcc, 1.0, v7, 1.0
	v_mul_f32_e32 v12, v11, v10
	v_fma_f32 v13, -v9, v12, v11
	v_fmac_f32_e32 v12, v13, v10
	v_fma_f32 v9, -v9, v12, v11
	v_div_scale_f32 v11, s[0:1], v6, v6, 1.0
	v_rcp_f32_e32 v13, v11
	v_div_fmas_f32 v9, v9, v10, v12
	v_div_fixup_f32 v7, v9, v7, 1.0
	v_fma_f32 v9, -v11, v13, 1.0
	v_fmac_f32_e32 v13, v9, v13
	v_div_scale_f32 v9, vcc, 1.0, v6, 1.0
	v_mul_f32_e32 v10, v9, v13
	v_fma_f32 v12, -v11, v10, v9
	v_fmac_f32_e32 v10, v12, v13
	v_fma_f32 v9, -v11, v10, v9
	v_div_fmas_f32 v9, v9, v13, v10
	v_div_fixup_f32 v6, v9, v6, 1.0
	v_cmp_class_f32_e32 vcc, v7, v8
	v_cndmask_b32_e64 v7, v7, 0, vcc
	v_cmp_class_f32_e32 vcc, v6, v8
	v_cndmask_b32_e64 v6, v6, 0, vcc
	s_cbranch_scc1 .LBB279_19
; %bb.4:
	v_lshlrev_b32_e32 v19, 2, v18
	global_load_dwordx4 v[8:11], v19, s[10:11]
	global_load_dwordx4 v[12:15], v19, s[10:11] offset:16
	s_waitcnt vmcnt(1)
	v_pk_add_f32 v[8:9], v[8:9], v[0:1]
	v_pk_add_f32 v[10:11], v[10:11], v[2:3]
	s_waitcnt vmcnt(0)
	v_pk_add_f32 v[12:13], v[12:13], v[4:5]
	v_pk_add_f32 v[14:15], v[14:15], v[6:7]
	s_cbranch_execnz .LBB279_6
.LBB279_5:
	v_pk_mov_b32 v[14:15], v[6:7], v[6:7] op_sel:[0,1]
	v_pk_mov_b32 v[12:13], v[4:5], v[4:5] op_sel:[0,1]
	;; [unrolled: 1-line block ×4, first 2 shown]
.LBB279_6:
	s_load_dwordx4 s[8:11], s[4:5], 0x30
	s_mov_b32 s25, 0
	v_cmp_eq_u32_e64 s[0:1], 0, v17
	s_waitcnt lgkmcnt(0)
	s_bitcmp1_b32 s11, 0
	s_cselect_b64 vcc, -1, 0
	s_cmp_gt_i32 s8, 0
	s_cselect_b64 s[6:7], -1, 0
	s_cmp_lt_i32 s8, 1
	s_cbranch_scc1 .LBB279_20
; %bb.7:
	v_mbcnt_lo_u32_b32 v19, -1, 0
	v_mbcnt_hi_u32_b32 v19, -1, v19
	s_load_dwordx4 s[12:15], s[4:5], 0x20
	v_and_b32_e32 v21, 0x7e, v19
	v_xor_b32_e32 v20, 1, v19
	v_add_u32_e32 v21, 2, v21
	v_cmp_lt_i32_e64 s[2:3], v20, v21
	v_cndmask_b32_e64 v19, v19, v20, s[2:3]
	v_lshlrev_b32_e32 v20, 2, v19
	v_mul_lo_u32 v21, v16, s8
	v_mov_b32_e32 v19, 0
	v_mov_b32_e32 v22, 0xc61c4000
	;; [unrolled: 1-line block ×3, first 2 shown]
	s_branch .LBB279_10
.LBB279_8:                              ;   in Loop: Header=BB279_10 Depth=1
	s_or_b64 exec, exec, s[4:5]
.LBB279_9:                              ;   in Loop: Header=BB279_10 Depth=1
	s_cmp_eq_u32 s8, s25
	v_add_u32_e32 v23, s24, v23
	s_cbranch_scc1 .LBB279_21
.LBB279_10:                             ; =>This Inner Loop Header: Depth=1
	v_cmp_gt_f32_e64 s[2:3], v9, v8
	v_cndmask_b32_e64 v26, v8, v9, s[2:3]
	v_cndmask_b32_e64 v24, 0, 1, s[2:3]
	v_cndmask_b32_e64 v25, v0, v1, s[2:3]
	v_cmp_gt_f32_e64 s[2:3], v10, v26
	v_cndmask_b32_e64 v26, v26, v10, s[2:3]
	v_cndmask_b32_e64 v24, v24, 2, s[2:3]
	v_cndmask_b32_e64 v25, v25, v2, s[2:3]
	;; [unrolled: 4-line block ×6, first 2 shown]
	v_cmp_gt_f32_e64 s[2:3], v15, v26
	v_cndmask_b32_e64 v24, v24, 7, s[2:3]
	v_cndmask_b32_e64 v28, v26, v15, s[2:3]
	v_or_b32_e32 v24, v18, v24
	v_cndmask_b32_e64 v25, v25, v7, s[2:3]
	ds_bpermute_b32 v29, v20, v28
	ds_bpermute_b32 v26, v20, v25
	;; [unrolled: 1-line block ×3, first 2 shown]
	s_waitcnt lgkmcnt(0)
	v_cmp_lt_f32_e64 s[20:21], v28, v29
	v_cmp_nlt_f32_e64 s[2:3], v28, v29
	s_and_saveexec_b64 s[22:23], s[2:3]
	s_cbranch_execnz .LBB279_14
; %bb.11:                               ;   in Loop: Header=BB279_10 Depth=1
	s_or_b64 exec, exec, s[22:23]
	s_and_saveexec_b64 s[2:3], s[20:21]
	s_cbranch_execnz .LBB279_15
.LBB279_12:                             ;   in Loop: Header=BB279_10 Depth=1
	s_or_b64 exec, exec, s[2:3]
	s_and_saveexec_b64 s[20:21], s[0:1]
	s_cbranch_execnz .LBB279_16
.LBB279_13:                             ;   in Loop: Header=BB279_10 Depth=1
	s_or_b64 exec, exec, s[20:21]
	s_add_i32 s25, s25, 1
	s_cmp_ge_i32 s25, s8
	s_cbranch_scc1 .LBB279_9
	s_branch .LBB279_17
.LBB279_14:                             ;   in Loop: Header=BB279_10 Depth=1
	v_cmp_eq_f32_e64 s[2:3], v28, v29
	v_cmp_lt_i32_e64 s[4:5], v27, v24
	s_and_b64 s[2:3], s[2:3], s[4:5]
	s_andn2_b64 s[4:5], s[20:21], exec
	s_and_b64 s[2:3], s[2:3], exec
	s_or_b64 s[20:21], s[4:5], s[2:3]
	s_or_b64 exec, exec, s[22:23]
	s_and_saveexec_b64 s[2:3], s[20:21]
	s_cbranch_execz .LBB279_12
.LBB279_15:                             ;   in Loop: Header=BB279_10 Depth=1
	v_mov_b32_e32 v24, v27
	v_mov_b32_e32 v25, v26
	s_or_b64 exec, exec, s[2:3]
	s_and_saveexec_b64 s[20:21], s[0:1]
	s_cbranch_execz .LBB279_13
.LBB279_16:                             ;   in Loop: Header=BB279_10 Depth=1
	v_add_u32_e32 v26, s25, v21
	v_ashrrev_i32_e32 v27, 31, v26
	v_cmp_le_i32_e64 s[2:3], s9, v24
	v_cmp_gt_i32_e64 s[4:5], s10, v24
	v_lshlrev_b64 v[26:27], 2, v[26:27]
	s_and_b64 s[4:5], s[2:3], s[4:5]
	v_mov_b32_e32 v29, s17
	v_add_co_u32_e64 v28, s[2:3], s16, v26
	v_addc_co_u32_e64 v29, s[2:3], v29, v27, s[2:3]
	global_store_dword v[28:29], v25, off
	v_subrev_u32_e32 v28, s9, v24
	s_and_b64 s[2:3], s[18:19], s[4:5]
	v_cndmask_b32_e64 v30, 16, v28, s[2:3]
	v_mov_b32_e32 v29, s13
	v_add_co_u32_e64 v28, s[2:3], s12, v26
	v_addc_co_u32_e64 v29, s[2:3], v29, v27, s[2:3]
	global_store_dword v[28:29], v30, off
	v_mov_b32_e32 v28, s15
	v_add_co_u32_e64 v26, s[2:3], s14, v26
	v_add_f32_e32 v25, v19, v25
	v_addc_co_u32_e64 v27, s[2:3], v28, v27, s[2:3]
	v_cndmask_b32_e32 v19, v19, v25, vcc
	global_store_dword v[26:27], v23, off
	s_or_b64 exec, exec, s[20:21]
	s_add_i32 s25, s25, 1
	s_cmp_ge_i32 s25, s8
	s_cbranch_scc1 .LBB279_9
.LBB279_17:                             ;   in Loop: Header=BB279_10 Depth=1
	v_ashrrev_i32_e32 v26, 31, v24
	v_lshrrev_b32_e32 v25, 29, v26
	v_add_u32_e32 v27, v24, v25
	v_ashrrev_i32_e32 v25, 3, v27
	v_lshrrev_b32_e32 v27, 31, v27
	v_add_u32_e32 v27, v25, v27
	v_and_b32_e32 v27, -2, v27
	v_sub_u32_e32 v27, v25, v27
	v_cmp_eq_u32_e64 s[2:3], v17, v27
	s_and_saveexec_b64 s[4:5], s[2:3]
	s_cbranch_execz .LBB279_8
; %bb.18:                               ;   in Loop: Header=BB279_10 Depth=1
	v_lshrrev_b32_e32 v26, 28, v26
	v_add_u32_e32 v26, v24, v26
	v_lshlrev_b32_e32 v25, 3, v25
	v_ashrrev_i32_e32 v26, 4, v26
	v_sub_u32_e32 v24, v24, v25
	v_lshl_add_u32 v24, v26, 3, v24
	v_cmp_ne_u32_e64 s[2:3], 7, v24
	v_cndmask_b32_e64 v15, v22, v15, s[2:3]
	v_cmp_ne_u32_e64 s[2:3], 6, v24
	v_cndmask_b32_e64 v14, v22, v14, s[2:3]
	;; [unrolled: 2-line block ×8, first 2 shown]
	s_branch .LBB279_8
.LBB279_19:
                                        ; implicit-def: $vgpr8_vgpr9_vgpr10_vgpr11_vgpr12_vgpr13_vgpr14_vgpr15
	s_andn2_b64 vcc, exec, s[8:9]
	s_cbranch_vccz .LBB279_5
	s_branch .LBB279_6
.LBB279_20:
	v_mov_b32_e32 v19, 0
.LBB279_21:
	v_cmp_eq_u32_e64 s[0:1], 0, v17
	s_and_b64 s[0:1], s[0:1], vcc
	s_and_b64 exec, exec, s[0:1]
	s_cbranch_execz .LBB279_30
; %bb.22:
	s_andn2_b64 vcc, exec, s[6:7]
	s_cbranch_vccnz .LBB279_30
; %bb.23:
	v_cmp_lt_f32_e32 vcc, 0, v19
	s_mov_b32 s2, 0
	v_cndmask_b32_e32 v0, 1.0, v19, vcc
	v_mul_lo_u32 v4, v16, s8
	s_cmp_eq_u32 s8, 1
	s_mov_b64 s[0:1], -1
	s_cbranch_scc1 .LBB279_27
; %bb.24:
	s_and_b32 s2, s8, 0x7ffffffe
	v_mov_b32_e32 v1, v0
	v_mov_b32_e32 v5, s17
	s_mov_b32 s3, s2
	v_mov_b32_e32 v2, v4
.LBB279_25:                             ; =>This Inner Loop Header: Depth=1
	v_ashrrev_i32_e32 v3, 31, v2
	v_lshlrev_b64 v[6:7], 2, v[2:3]
	v_add_co_u32_e32 v6, vcc, s16, v6
	v_addc_co_u32_e32 v7, vcc, v5, v7, vcc
	global_load_dwordx2 v[8:9], v[6:7], off
	s_add_i32 s3, s3, -2
	s_cmp_lg_u32 s3, 0
	v_add_u32_e32 v2, 2, v2
	s_waitcnt vmcnt(0)
	v_div_scale_f32 v3, s[0:1], v1, v1, v9
	v_div_scale_f32 v11, s[0:1], v0, v0, v8
	v_rcp_f32_e32 v12, v3
	v_rcp_f32_e32 v13, v11
	v_div_scale_f32 v10, vcc, v9, v1, v9
	v_fma_f32 v15, -v3, v12, 1.0
	v_fma_f32 v16, -v11, v13, 1.0
	v_fmac_f32_e32 v12, v15, v12
	v_div_scale_f32 v14, s[0:1], v8, v0, v8
	v_fmac_f32_e32 v13, v16, v13
	v_mul_f32_e32 v15, v10, v12
	v_mul_f32_e32 v16, v14, v13
	v_fma_f32 v17, -v3, v15, v10
	v_fma_f32 v18, -v11, v16, v14
	v_fmac_f32_e32 v15, v17, v12
	v_fmac_f32_e32 v16, v18, v13
	v_fma_f32 v3, -v3, v15, v10
	v_fma_f32 v10, -v11, v16, v14
	v_div_fmas_f32 v3, v3, v12, v15
	s_mov_b64 vcc, s[0:1]
	v_div_fixup_f32 v9, v3, v1, v9
	v_div_fmas_f32 v3, v10, v13, v16
	v_div_fixup_f32 v8, v3, v0, v8
	global_store_dwordx2 v[6:7], v[8:9], off
	s_cbranch_scc1 .LBB279_25
; %bb.26:
	s_cmp_lg_u32 s2, s8
	s_cselect_b64 s[0:1], -1, 0
.LBB279_27:
	s_and_b64 vcc, exec, s[0:1]
	s_cbranch_vccz .LBB279_30
; %bb.28:
	v_ashrrev_i32_e32 v1, 31, v4
	v_add_co_u32_e32 v2, vcc, s2, v4
	v_addc_co_u32_e32 v3, vcc, 0, v1, vcc
	v_lshlrev_b64 v[2:3], 2, v[2:3]
	v_mov_b32_e32 v1, s17
	v_add_co_u32_e32 v2, vcc, s16, v2
	s_sub_i32 s0, s8, s2
	v_addc_co_u32_e32 v3, vcc, v1, v3, vcc
.LBB279_29:                             ; =>This Inner Loop Header: Depth=1
	global_load_dword v1, v[2:3], off
	s_add_i32 s0, s0, -1
	s_cmp_lg_u32 s0, 0
	s_waitcnt vmcnt(0)
	v_div_scale_f32 v4, s[2:3], v0, v0, v1
	v_rcp_f32_e32 v5, v4
	v_div_scale_f32 v6, vcc, v1, v0, v1
	v_fma_f32 v7, -v4, v5, 1.0
	v_fmac_f32_e32 v5, v7, v5
	v_mul_f32_e32 v7, v6, v5
	v_fma_f32 v8, -v4, v7, v6
	v_fmac_f32_e32 v7, v8, v5
	v_fma_f32 v4, -v4, v7, v6
	v_div_fmas_f32 v4, v4, v5, v7
	v_div_fixup_f32 v1, v4, v0, v1
	global_store_dword v[2:3], v1, off
	v_add_co_u32_e32 v2, vcc, 4, v2
	v_addc_co_u32_e32 v3, vcc, 0, v3, vcc
	s_cbranch_scc1 .LBB279_29
.LBB279_30:
	s_endpgm
	.section	.rodata,"a",@progbits
	.p2align	6, 0x0
	.amdhsa_kernel _ZN4vllm3moe10topkGatingILi8ELi16ELi4ELi16ELi32Ej6__halfLNS0_11ScoringFuncE1EEEvPKT5_PKbPfiPT4_PiiiibPKf
		.amdhsa_group_segment_fixed_size 0
		.amdhsa_private_segment_fixed_size 0
		.amdhsa_kernarg_size 72
		.amdhsa_user_sgpr_count 6
		.amdhsa_user_sgpr_private_segment_buffer 1
		.amdhsa_user_sgpr_dispatch_ptr 0
		.amdhsa_user_sgpr_queue_ptr 0
		.amdhsa_user_sgpr_kernarg_segment_ptr 1
		.amdhsa_user_sgpr_dispatch_id 0
		.amdhsa_user_sgpr_flat_scratch_init 0
		.amdhsa_user_sgpr_kernarg_preload_length 0
		.amdhsa_user_sgpr_kernarg_preload_offset 0
		.amdhsa_user_sgpr_private_segment_size 0
		.amdhsa_uses_dynamic_stack 0
		.amdhsa_system_sgpr_private_segment_wavefront_offset 0
		.amdhsa_system_sgpr_workgroup_id_x 1
		.amdhsa_system_sgpr_workgroup_id_y 0
		.amdhsa_system_sgpr_workgroup_id_z 0
		.amdhsa_system_sgpr_workgroup_info 0
		.amdhsa_system_vgpr_workitem_id 1
		.amdhsa_next_free_vgpr 34
		.amdhsa_next_free_sgpr 26
		.amdhsa_accum_offset 36
		.amdhsa_reserve_vcc 1
		.amdhsa_reserve_flat_scratch 0
		.amdhsa_float_round_mode_32 0
		.amdhsa_float_round_mode_16_64 0
		.amdhsa_float_denorm_mode_32 3
		.amdhsa_float_denorm_mode_16_64 3
		.amdhsa_dx10_clamp 1
		.amdhsa_ieee_mode 1
		.amdhsa_fp16_overflow 0
		.amdhsa_tg_split 0
		.amdhsa_exception_fp_ieee_invalid_op 0
		.amdhsa_exception_fp_denorm_src 0
		.amdhsa_exception_fp_ieee_div_zero 0
		.amdhsa_exception_fp_ieee_overflow 0
		.amdhsa_exception_fp_ieee_underflow 0
		.amdhsa_exception_fp_ieee_inexact 0
		.amdhsa_exception_int_div_zero 0
	.end_amdhsa_kernel
	.section	.text._ZN4vllm3moe10topkGatingILi8ELi16ELi4ELi16ELi32Ej6__halfLNS0_11ScoringFuncE1EEEvPKT5_PKbPfiPT4_PiiiibPKf,"axG",@progbits,_ZN4vllm3moe10topkGatingILi8ELi16ELi4ELi16ELi32Ej6__halfLNS0_11ScoringFuncE1EEEvPKT5_PKbPfiPT4_PiiiibPKf,comdat
.Lfunc_end279:
	.size	_ZN4vllm3moe10topkGatingILi8ELi16ELi4ELi16ELi32Ej6__halfLNS0_11ScoringFuncE1EEEvPKT5_PKbPfiPT4_PiiiibPKf, .Lfunc_end279-_ZN4vllm3moe10topkGatingILi8ELi16ELi4ELi16ELi32Ej6__halfLNS0_11ScoringFuncE1EEEvPKT5_PKbPfiPT4_PiiiibPKf
                                        ; -- End function
	.section	.AMDGPU.csdata,"",@progbits
; Kernel info:
; codeLenInByte = 2564
; NumSgprs: 30
; NumVgprs: 34
; NumAgprs: 0
; TotalNumVgprs: 34
; ScratchSize: 0
; MemoryBound: 0
; FloatMode: 240
; IeeeMode: 1
; LDSByteSize: 0 bytes/workgroup (compile time only)
; SGPRBlocks: 3
; VGPRBlocks: 4
; NumSGPRsForWavesPerEU: 30
; NumVGPRsForWavesPerEU: 34
; AccumOffset: 36
; Occupancy: 8
; WaveLimiterHint : 0
; COMPUTE_PGM_RSRC2:SCRATCH_EN: 0
; COMPUTE_PGM_RSRC2:USER_SGPR: 6
; COMPUTE_PGM_RSRC2:TRAP_HANDLER: 0
; COMPUTE_PGM_RSRC2:TGID_X_EN: 1
; COMPUTE_PGM_RSRC2:TGID_Y_EN: 0
; COMPUTE_PGM_RSRC2:TGID_Z_EN: 0
; COMPUTE_PGM_RSRC2:TIDIG_COMP_CNT: 1
; COMPUTE_PGM_RSRC3_GFX90A:ACCUM_OFFSET: 8
; COMPUTE_PGM_RSRC3_GFX90A:TG_SPLIT: 0
	.section	.text._ZN4vllm3moe10topkGatingILi8ELi32ELi4ELi16ELi64Ej6__halfLNS0_11ScoringFuncE1EEEvPKT5_PKbPfiPT4_PiiiibPKf,"axG",@progbits,_ZN4vllm3moe10topkGatingILi8ELi32ELi4ELi16ELi64Ej6__halfLNS0_11ScoringFuncE1EEEvPKT5_PKbPfiPT4_PiiiibPKf,comdat
	.protected	_ZN4vllm3moe10topkGatingILi8ELi32ELi4ELi16ELi64Ej6__halfLNS0_11ScoringFuncE1EEEvPKT5_PKbPfiPT4_PiiiibPKf ; -- Begin function _ZN4vllm3moe10topkGatingILi8ELi32ELi4ELi16ELi64Ej6__halfLNS0_11ScoringFuncE1EEEvPKT5_PKbPfiPT4_PiiiibPKf
	.globl	_ZN4vllm3moe10topkGatingILi8ELi32ELi4ELi16ELi64Ej6__halfLNS0_11ScoringFuncE1EEEvPKT5_PKbPfiPT4_PiiiibPKf
	.p2align	8
	.type	_ZN4vllm3moe10topkGatingILi8ELi32ELi4ELi16ELi64Ej6__halfLNS0_11ScoringFuncE1EEEvPKT5_PKbPfiPT4_PiiiibPKf,@function
_ZN4vllm3moe10topkGatingILi8ELi32ELi4ELi16ELi64Ej6__halfLNS0_11ScoringFuncE1EEEvPKT5_PKbPfiPT4_PiiiibPKf: ; @_ZN4vllm3moe10topkGatingILi8ELi32ELi4ELi16ELi64Ej6__halfLNS0_11ScoringFuncE1EEEvPKT5_PKbPfiPT4_PiiiibPKf
; %bb.0:
	s_load_dword s24, s[4:5], 0x18
	v_bfe_u32 v1, v0, 10, 10
	v_and_b32_e32 v0, 0x3ff, v0
	s_lshl_b32 s0, s6, 6
	v_lshlrev_b32_e32 v1, 4, v1
	v_lshrrev_b32_e32 v2, 2, v0
	v_add3_u32 v16, s0, v1, v2
	s_waitcnt lgkmcnt(0)
	v_cmp_gt_i32_e32 vcc, s24, v16
	s_and_saveexec_b64 s[0:1], vcc
	s_cbranch_execz .LBB280_34
; %bb.1:
	s_load_dwordx4 s[0:3], s[4:5], 0x0
	s_load_dwordx2 s[16:17], s[4:5], 0x10
	s_mov_b64 s[8:9], -1
	s_mov_b64 s[18:19], -1
	s_waitcnt lgkmcnt(0)
	s_cmp_eq_u64 s[2:3], 0
	s_cbranch_scc1 .LBB280_3
; %bb.2:
	v_ashrrev_i32_e32 v1, 31, v16
	v_mov_b32_e32 v3, s3
	v_add_co_u32_e32 v2, vcc, s2, v16
	v_addc_co_u32_e32 v3, vcc, v3, v1, vcc
	global_load_ubyte v1, v[2:3], off
	s_waitcnt vmcnt(0)
	v_and_b32_e32 v1, 1, v1
	v_cmp_eq_u32_e32 vcc, 1, v1
	s_xor_b64 s[2:3], vcc, -1
	s_orn2_b64 s[18:19], s[2:3], exec
.LBB280_3:
	v_lshlrev_b32_e32 v2, 5, v16
	v_ashrrev_i32_e32 v3, 31, v2
	v_lshlrev_b64 v[2:3], 1, v[2:3]
	v_mov_b32_e32 v1, s1
	v_add_co_u32_e32 v2, vcc, s0, v2
	v_and_b32_e32 v17, 3, v0
	v_addc_co_u32_e32 v1, vcc, v1, v3, vcc
	v_lshlrev_b32_e32 v0, 4, v17
	v_add_co_u32_e32 v0, vcc, v2, v0
	v_addc_co_u32_e32 v1, vcc, 0, v1, vcc
	global_load_dwordx4 v[0:3], v[0:1], off
	v_mov_b32_e32 v8, 0x207
	s_load_dwordx2 s[10:11], s[4:5], 0x40
	v_lshlrev_b32_e32 v18, 3, v17
	s_waitcnt lgkmcnt(0)
	s_cmp_eq_u64 s[10:11], 0
	s_waitcnt vmcnt(0)
	v_cvt_f32_f16_e32 v4, v0
	v_cvt_f32_f16_sdwa v0, v0 dst_sel:DWORD dst_unused:UNUSED_PAD src0_sel:WORD_1
	v_cvt_f32_f16_e32 v5, v1
	v_cvt_f32_f16_sdwa v1, v1 dst_sel:DWORD dst_unused:UNUSED_PAD src0_sel:WORD_1
	v_mul_f32_e32 v4, 0xbfb8aa3b, v4
	v_mul_f32_e32 v9, 0xbfb8aa3b, v0
	v_cvt_f32_f16_e32 v6, v2
	v_cvt_f32_f16_sdwa v2, v2 dst_sel:DWORD dst_unused:UNUSED_PAD src0_sel:WORD_1
	v_cvt_f32_f16_e32 v7, v3
	v_cvt_f32_f16_sdwa v3, v3 dst_sel:DWORD dst_unused:UNUSED_PAD src0_sel:WORD_1
	v_mul_f32_e32 v10, 0xbfb8aa3b, v1
	v_exp_f32_e32 v0, v4
	v_exp_f32_e32 v1, v9
	v_mul_f32_e32 v5, 0xbfb8aa3b, v5
	v_mul_f32_e32 v11, 0xbfb8aa3b, v2
	;; [unrolled: 1-line block ×3, first 2 shown]
	v_exp_f32_e32 v2, v5
	v_exp_f32_e32 v3, v10
	v_pk_add_f32 v[0:1], v[0:1], 1.0 op_sel_hi:[1,0]
	v_div_scale_f32 v9, s[0:1], v1, v1, 1.0
	v_rcp_f32_e32 v21, v9
	v_exp_f32_e32 v5, v11
	v_div_scale_f32 v11, s[0:1], v0, v0, 1.0
	v_pk_add_f32 v[2:3], v[2:3], 1.0 op_sel_hi:[1,0]
	v_rcp_f32_e32 v22, v11
	v_div_scale_f32 v13, s[2:3], v3, v3, 1.0
	v_rcp_f32_e32 v23, v13
	v_fma_f32 v26, -v9, v21, 1.0
	v_div_scale_f32 v10, vcc, 1.0, v1, 1.0
	v_div_scale_f32 v15, s[6:7], v2, v2, 1.0
	v_fmac_f32_e32 v21, v26, v21
	v_mul_f32_e32 v6, 0xbfb8aa3b, v6
	v_mul_f32_e32 v7, 0xbfb8aa3b, v7
	v_rcp_f32_e32 v24, v15
	v_fma_f32 v27, -v11, v22, 1.0
	v_mul_f32_e32 v26, v10, v21
	v_exp_f32_e32 v4, v6
	v_exp_f32_e32 v6, v7
	;; [unrolled: 1-line block ×3, first 2 shown]
	v_div_scale_f32 v12, s[0:1], 1.0, v0, 1.0
	v_fmac_f32_e32 v22, v27, v22
	v_fma_f32 v30, -v9, v26, v10
	v_fma_f32 v28, -v13, v23, 1.0
	v_mul_f32_e32 v27, v12, v22
	v_fmac_f32_e32 v26, v30, v21
	v_div_scale_f32 v14, s[2:3], 1.0, v3, 1.0
	v_fmac_f32_e32 v23, v28, v23
	v_fma_f32 v31, -v11, v27, v12
	v_fma_f32 v9, -v9, v26, v10
	v_fma_f32 v29, -v15, v24, 1.0
	v_mul_f32_e32 v28, v14, v23
	v_fmac_f32_e32 v27, v31, v22
	v_div_fmas_f32 v9, v9, v21, v26
	v_div_scale_f32 v19, s[6:7], 1.0, v2, 1.0
	v_fmac_f32_e32 v24, v29, v24
	v_fma_f32 v32, -v13, v28, v14
	v_fma_f32 v10, -v11, v27, v12
	v_div_fixup_f32 v1, v9, v1, 1.0
	s_mov_b64 vcc, s[0:1]
	v_pk_add_f32 v[4:5], v[4:5], 1.0 op_sel_hi:[1,0]
	v_mul_f32_e32 v29, v19, v24
	v_fmac_f32_e32 v28, v32, v23
	v_div_fmas_f32 v9, v10, v22, v27
	v_cmp_class_f32_e32 vcc, v1, v8
	v_div_scale_f32 v20, s[12:13], v5, v5, 1.0
	v_fma_f32 v33, -v15, v29, v19
	v_fma_f32 v11, -v13, v28, v14
	v_div_fixup_f32 v0, v9, v0, 1.0
	v_cndmask_b32_e64 v1, v1, 0, vcc
	s_mov_b64 vcc, s[2:3]
	v_rcp_f32_e32 v25, v20
	v_fmac_f32_e32 v29, v33, v24
	v_div_fmas_f32 v9, v11, v23, v28
	v_cmp_class_f32_e32 vcc, v0, v8
	v_fma_f32 v12, -v15, v29, v19
	v_cndmask_b32_e64 v0, v0, 0, vcc
	s_mov_b64 vcc, s[6:7]
	v_div_fixup_f32 v3, v9, v3, 1.0
	v_div_fmas_f32 v9, v12, v24, v29
	v_div_fixup_f32 v2, v9, v2, 1.0
	v_cmp_class_f32_e32 vcc, v3, v8
	v_cndmask_b32_e64 v3, v3, 0, vcc
	v_cmp_class_f32_e32 vcc, v2, v8
	v_fma_f32 v9, -v20, v25, 1.0
	v_cndmask_b32_e64 v2, v2, 0, vcc
	v_fmac_f32_e32 v25, v9, v25
	v_div_scale_f32 v9, vcc, 1.0, v5, 1.0
	v_mul_f32_e32 v10, v9, v25
	v_fma_f32 v11, -v20, v10, v9
	v_fmac_f32_e32 v10, v11, v25
	v_div_scale_f32 v11, s[0:1], v4, v4, 1.0
	v_rcp_f32_e32 v12, v11
	v_fma_f32 v9, -v20, v10, v9
	v_div_fmas_f32 v9, v9, v25, v10
	v_div_fixup_f32 v5, v9, v5, 1.0
	v_fma_f32 v9, -v11, v12, 1.0
	v_fmac_f32_e32 v12, v9, v12
	v_div_scale_f32 v9, vcc, 1.0, v4, 1.0
	v_mul_f32_e32 v10, v9, v12
	v_fma_f32 v13, -v11, v10, v9
	v_fmac_f32_e32 v10, v13, v12
	v_fma_f32 v9, -v11, v10, v9
	v_div_fmas_f32 v9, v9, v12, v10
	v_pk_add_f32 v[6:7], v[6:7], 1.0 op_sel_hi:[1,0]
	v_div_fixup_f32 v4, v9, v4, 1.0
	v_div_scale_f32 v9, s[0:1], v7, v7, 1.0
	v_rcp_f32_e32 v10, v9
	v_cmp_class_f32_e32 vcc, v5, v8
	v_cndmask_b32_e64 v5, v5, 0, vcc
	v_cmp_class_f32_e32 vcc, v4, v8
	v_fma_f32 v11, -v9, v10, 1.0
	v_cndmask_b32_e64 v4, v4, 0, vcc
	v_fmac_f32_e32 v10, v11, v10
	v_div_scale_f32 v11, vcc, 1.0, v7, 1.0
	v_mul_f32_e32 v12, v11, v10
	v_fma_f32 v13, -v9, v12, v11
	v_fmac_f32_e32 v12, v13, v10
	v_fma_f32 v9, -v9, v12, v11
	v_div_scale_f32 v11, s[0:1], v6, v6, 1.0
	v_rcp_f32_e32 v13, v11
	v_div_fmas_f32 v9, v9, v10, v12
	v_div_fixup_f32 v7, v9, v7, 1.0
	v_fma_f32 v9, -v11, v13, 1.0
	v_fmac_f32_e32 v13, v9, v13
	v_div_scale_f32 v9, vcc, 1.0, v6, 1.0
	v_mul_f32_e32 v10, v9, v13
	v_fma_f32 v12, -v11, v10, v9
	v_fmac_f32_e32 v10, v12, v13
	v_fma_f32 v9, -v11, v10, v9
	v_div_fmas_f32 v9, v9, v13, v10
	v_div_fixup_f32 v6, v9, v6, 1.0
	v_cmp_class_f32_e32 vcc, v7, v8
	v_cndmask_b32_e64 v7, v7, 0, vcc
	v_cmp_class_f32_e32 vcc, v6, v8
	v_cndmask_b32_e64 v6, v6, 0, vcc
	s_cbranch_scc1 .LBB280_23
; %bb.4:
	v_lshlrev_b32_e32 v19, 2, v18
	global_load_dwordx4 v[8:11], v19, s[10:11]
	global_load_dwordx4 v[12:15], v19, s[10:11] offset:16
	s_waitcnt vmcnt(1)
	v_pk_add_f32 v[8:9], v[8:9], v[0:1]
	v_pk_add_f32 v[10:11], v[10:11], v[2:3]
	s_waitcnt vmcnt(0)
	v_pk_add_f32 v[12:13], v[12:13], v[4:5]
	v_pk_add_f32 v[14:15], v[14:15], v[6:7]
	s_cbranch_execnz .LBB280_6
.LBB280_5:
	v_pk_mov_b32 v[14:15], v[6:7], v[6:7] op_sel:[0,1]
	v_pk_mov_b32 v[12:13], v[4:5], v[4:5] op_sel:[0,1]
	;; [unrolled: 1-line block ×4, first 2 shown]
.LBB280_6:
	s_load_dwordx4 s[8:11], s[4:5], 0x30
	s_mov_b32 s25, 0
	v_cmp_eq_u32_e64 s[0:1], 0, v17
	s_waitcnt lgkmcnt(0)
	s_bitcmp1_b32 s11, 0
	s_cselect_b64 vcc, -1, 0
	s_cmp_gt_i32 s8, 0
	s_cselect_b64 s[6:7], -1, 0
	s_cmp_lt_i32 s8, 1
	s_cbranch_scc1 .LBB280_24
; %bb.7:
	v_mbcnt_lo_u32_b32 v19, -1, 0
	v_mbcnt_hi_u32_b32 v19, -1, v19
	v_and_b32_e32 v20, 0x7c, v19
	s_load_dwordx4 s[12:15], s[4:5], 0x20
	v_add_u32_e32 v22, 4, v20
	v_xor_b32_e32 v21, 2, v19
	v_cmp_lt_i32_e64 s[2:3], v21, v22
	v_xor_b32_e32 v23, 1, v19
	v_cndmask_b32_e64 v21, v19, v21, s[2:3]
	v_cmp_lt_i32_e64 s[2:3], v23, v22
	v_cndmask_b32_e64 v19, v19, v23, s[2:3]
	v_mul_lo_u32 v20, v16, s8
	v_lshlrev_b32_e32 v21, 2, v21
	v_lshlrev_b32_e32 v22, 2, v19
	v_mov_b32_e32 v19, 0
	v_mov_b32_e32 v23, 0xc61c4000
	;; [unrolled: 1-line block ×3, first 2 shown]
	s_branch .LBB280_10
.LBB280_8:                              ;   in Loop: Header=BB280_10 Depth=1
	s_or_b64 exec, exec, s[4:5]
.LBB280_9:                              ;   in Loop: Header=BB280_10 Depth=1
	s_cmp_eq_u32 s8, s25
	v_add_u32_e32 v24, s24, v24
	s_cbranch_scc1 .LBB280_25
.LBB280_10:                             ; =>This Inner Loop Header: Depth=1
	v_cmp_gt_f32_e64 s[2:3], v9, v8
	v_cndmask_b32_e64 v27, v8, v9, s[2:3]
	v_cndmask_b32_e64 v25, 0, 1, s[2:3]
	v_cndmask_b32_e64 v26, v0, v1, s[2:3]
	v_cmp_gt_f32_e64 s[2:3], v10, v27
	v_cndmask_b32_e64 v27, v27, v10, s[2:3]
	v_cndmask_b32_e64 v25, v25, 2, s[2:3]
	v_cndmask_b32_e64 v26, v26, v2, s[2:3]
	;; [unrolled: 4-line block ×6, first 2 shown]
	v_cmp_gt_f32_e64 s[2:3], v15, v27
	v_cndmask_b32_e64 v25, v25, 7, s[2:3]
	v_cndmask_b32_e64 v27, v27, v15, s[2:3]
	v_or_b32_e32 v25, v18, v25
	v_cndmask_b32_e64 v26, v26, v7, s[2:3]
	s_waitcnt lgkmcnt(0)
	ds_bpermute_b32 v28, v21, v27
	ds_bpermute_b32 v30, v21, v26
	;; [unrolled: 1-line block ×3, first 2 shown]
	s_waitcnt lgkmcnt(0)
	v_cmp_lt_f32_e64 s[20:21], v27, v28
	v_cmp_nlt_f32_e64 s[2:3], v27, v28
	s_and_saveexec_b64 s[22:23], s[2:3]
; %bb.11:                               ;   in Loop: Header=BB280_10 Depth=1
	v_cmp_eq_f32_e64 s[2:3], v27, v28
	v_cmp_lt_i32_e64 s[4:5], v29, v25
	s_and_b64 s[2:3], s[2:3], s[4:5]
	s_andn2_b64 s[4:5], s[20:21], exec
	s_and_b64 s[2:3], s[2:3], exec
	s_or_b64 s[20:21], s[4:5], s[2:3]
; %bb.12:                               ;   in Loop: Header=BB280_10 Depth=1
	s_or_b64 exec, exec, s[22:23]
	s_and_saveexec_b64 s[2:3], s[20:21]
; %bb.13:                               ;   in Loop: Header=BB280_10 Depth=1
	v_mov_b32_e32 v26, v30
	v_mov_b32_e32 v27, v28
	;; [unrolled: 1-line block ×3, first 2 shown]
; %bb.14:                               ;   in Loop: Header=BB280_10 Depth=1
	s_or_b64 exec, exec, s[2:3]
	ds_bpermute_b32 v30, v22, v27
	ds_bpermute_b32 v28, v22, v26
	;; [unrolled: 1-line block ×3, first 2 shown]
	s_waitcnt lgkmcnt(2)
	v_cmp_lt_f32_e64 s[20:21], v27, v30
	v_cmp_nlt_f32_e64 s[2:3], v27, v30
	s_and_saveexec_b64 s[22:23], s[2:3]
	s_cbranch_execnz .LBB280_18
; %bb.15:                               ;   in Loop: Header=BB280_10 Depth=1
	s_or_b64 exec, exec, s[22:23]
	s_and_saveexec_b64 s[2:3], s[20:21]
	s_cbranch_execnz .LBB280_19
.LBB280_16:                             ;   in Loop: Header=BB280_10 Depth=1
	s_or_b64 exec, exec, s[2:3]
	s_and_saveexec_b64 s[20:21], s[0:1]
	s_cbranch_execnz .LBB280_20
.LBB280_17:                             ;   in Loop: Header=BB280_10 Depth=1
	s_or_b64 exec, exec, s[20:21]
	s_add_i32 s25, s25, 1
	s_cmp_ge_i32 s25, s8
	s_cbranch_scc1 .LBB280_9
	s_branch .LBB280_21
.LBB280_18:                             ;   in Loop: Header=BB280_10 Depth=1
	v_cmp_eq_f32_e64 s[2:3], v27, v30
	s_waitcnt lgkmcnt(0)
	v_cmp_lt_i32_e64 s[4:5], v29, v25
	s_and_b64 s[2:3], s[2:3], s[4:5]
	s_andn2_b64 s[4:5], s[20:21], exec
	s_and_b64 s[2:3], s[2:3], exec
	s_or_b64 s[20:21], s[4:5], s[2:3]
	s_or_b64 exec, exec, s[22:23]
	s_and_saveexec_b64 s[2:3], s[20:21]
	s_cbranch_execz .LBB280_16
.LBB280_19:                             ;   in Loop: Header=BB280_10 Depth=1
	s_waitcnt lgkmcnt(0)
	v_mov_b32_e32 v25, v29
	v_mov_b32_e32 v26, v28
	s_or_b64 exec, exec, s[2:3]
	s_and_saveexec_b64 s[20:21], s[0:1]
	s_cbranch_execz .LBB280_17
.LBB280_20:                             ;   in Loop: Header=BB280_10 Depth=1
	s_waitcnt lgkmcnt(1)
	v_add_u32_e32 v28, s25, v20
	s_waitcnt lgkmcnt(0)
	v_ashrrev_i32_e32 v29, 31, v28
	v_cmp_le_i32_e64 s[2:3], s9, v25
	v_cmp_gt_i32_e64 s[4:5], s10, v25
	v_lshlrev_b64 v[28:29], 2, v[28:29]
	s_and_b64 s[4:5], s[2:3], s[4:5]
	v_mov_b32_e32 v27, s17
	v_add_co_u32_e64 v30, s[2:3], s16, v28
	v_addc_co_u32_e64 v31, s[2:3], v27, v29, s[2:3]
	v_subrev_u32_e32 v27, s9, v25
	s_and_b64 s[2:3], s[18:19], s[4:5]
	global_store_dword v[30:31], v26, off
	v_cndmask_b32_e64 v27, 32, v27, s[2:3]
	v_mov_b32_e32 v31, s13
	v_add_co_u32_e64 v30, s[2:3], s12, v28
	v_addc_co_u32_e64 v31, s[2:3], v31, v29, s[2:3]
	global_store_dword v[30:31], v27, off
	v_mov_b32_e32 v27, s15
	v_add_co_u32_e64 v28, s[2:3], s14, v28
	v_add_f32_e32 v26, v19, v26
	v_addc_co_u32_e64 v29, s[2:3], v27, v29, s[2:3]
	v_cndmask_b32_e32 v19, v19, v26, vcc
	global_store_dword v[28:29], v24, off
	s_or_b64 exec, exec, s[20:21]
	s_add_i32 s25, s25, 1
	s_cmp_ge_i32 s25, s8
	s_cbranch_scc1 .LBB280_9
.LBB280_21:                             ;   in Loop: Header=BB280_10 Depth=1
	v_ashrrev_i32_e32 v27, 31, v25
	v_lshrrev_b32_e32 v26, 29, v27
	v_add_u32_e32 v26, v25, v26
	v_ashrrev_i32_e32 v26, 3, v26
	s_waitcnt lgkmcnt(1)
	v_lshrrev_b32_e32 v28, 30, v26
	v_add_u32_e32 v28, v26, v28
	v_and_b32_e32 v28, -4, v28
	v_sub_u32_e32 v28, v26, v28
	v_cmp_eq_u32_e64 s[2:3], v17, v28
	s_and_saveexec_b64 s[4:5], s[2:3]
	s_cbranch_execz .LBB280_8
; %bb.22:                               ;   in Loop: Header=BB280_10 Depth=1
	v_lshrrev_b32_e32 v27, 27, v27
	v_add_u32_e32 v27, v25, v27
	v_lshlrev_b32_e32 v26, 3, v26
	v_ashrrev_i32_e32 v27, 5, v27
	v_sub_u32_e32 v25, v25, v26
	v_lshl_add_u32 v25, v27, 3, v25
	v_cmp_ne_u32_e64 s[2:3], 7, v25
	v_cndmask_b32_e64 v15, v23, v15, s[2:3]
	v_cmp_ne_u32_e64 s[2:3], 6, v25
	v_cndmask_b32_e64 v14, v23, v14, s[2:3]
	;; [unrolled: 2-line block ×8, first 2 shown]
	s_branch .LBB280_8
.LBB280_23:
                                        ; implicit-def: $vgpr8_vgpr9_vgpr10_vgpr11_vgpr12_vgpr13_vgpr14_vgpr15
	s_andn2_b64 vcc, exec, s[8:9]
	s_cbranch_vccz .LBB280_5
	s_branch .LBB280_6
.LBB280_24:
	v_mov_b32_e32 v19, 0
.LBB280_25:
	v_cmp_eq_u32_e64 s[0:1], 0, v17
	s_and_b64 s[0:1], s[0:1], vcc
	s_and_b64 exec, exec, s[0:1]
	s_cbranch_execz .LBB280_34
; %bb.26:
	s_andn2_b64 vcc, exec, s[6:7]
	s_cbranch_vccnz .LBB280_34
; %bb.27:
	v_cmp_lt_f32_e32 vcc, 0, v19
	s_mov_b32 s2, 0
	v_cndmask_b32_e32 v0, 1.0, v19, vcc
	v_mul_lo_u32 v4, v16, s8
	s_cmp_eq_u32 s8, 1
	s_mov_b64 s[0:1], -1
	s_cbranch_scc1 .LBB280_31
; %bb.28:
	s_and_b32 s2, s8, 0x7ffffffe
	v_mov_b32_e32 v1, v0
	v_mov_b32_e32 v5, s17
	s_mov_b32 s3, s2
	v_mov_b32_e32 v2, v4
.LBB280_29:                             ; =>This Inner Loop Header: Depth=1
	v_ashrrev_i32_e32 v3, 31, v2
	v_lshlrev_b64 v[6:7], 2, v[2:3]
	v_add_co_u32_e32 v6, vcc, s16, v6
	v_addc_co_u32_e32 v7, vcc, v5, v7, vcc
	global_load_dwordx2 v[8:9], v[6:7], off
	s_add_i32 s3, s3, -2
	s_cmp_lg_u32 s3, 0
	v_add_u32_e32 v2, 2, v2
	s_waitcnt vmcnt(0)
	v_div_scale_f32 v3, s[0:1], v1, v1, v9
	v_div_scale_f32 v11, s[0:1], v0, v0, v8
	v_rcp_f32_e32 v12, v3
	v_rcp_f32_e32 v13, v11
	v_div_scale_f32 v10, vcc, v9, v1, v9
	v_fma_f32 v15, -v3, v12, 1.0
	v_fma_f32 v16, -v11, v13, 1.0
	v_fmac_f32_e32 v12, v15, v12
	v_div_scale_f32 v14, s[0:1], v8, v0, v8
	v_fmac_f32_e32 v13, v16, v13
	v_mul_f32_e32 v15, v10, v12
	v_mul_f32_e32 v16, v14, v13
	v_fma_f32 v17, -v3, v15, v10
	v_fma_f32 v18, -v11, v16, v14
	v_fmac_f32_e32 v15, v17, v12
	v_fmac_f32_e32 v16, v18, v13
	v_fma_f32 v3, -v3, v15, v10
	v_fma_f32 v10, -v11, v16, v14
	v_div_fmas_f32 v3, v3, v12, v15
	s_mov_b64 vcc, s[0:1]
	v_div_fixup_f32 v9, v3, v1, v9
	v_div_fmas_f32 v3, v10, v13, v16
	v_div_fixup_f32 v8, v3, v0, v8
	global_store_dwordx2 v[6:7], v[8:9], off
	s_cbranch_scc1 .LBB280_29
; %bb.30:
	s_cmp_lg_u32 s2, s8
	s_cselect_b64 s[0:1], -1, 0
.LBB280_31:
	s_and_b64 vcc, exec, s[0:1]
	s_cbranch_vccz .LBB280_34
; %bb.32:
	v_ashrrev_i32_e32 v1, 31, v4
	v_add_co_u32_e32 v2, vcc, s2, v4
	v_addc_co_u32_e32 v3, vcc, 0, v1, vcc
	v_lshlrev_b64 v[2:3], 2, v[2:3]
	v_mov_b32_e32 v1, s17
	v_add_co_u32_e32 v2, vcc, s16, v2
	s_sub_i32 s0, s8, s2
	v_addc_co_u32_e32 v3, vcc, v1, v3, vcc
.LBB280_33:                             ; =>This Inner Loop Header: Depth=1
	global_load_dword v1, v[2:3], off
	s_add_i32 s0, s0, -1
	s_cmp_lg_u32 s0, 0
	s_waitcnt vmcnt(0)
	v_div_scale_f32 v4, s[2:3], v0, v0, v1
	v_rcp_f32_e32 v5, v4
	v_div_scale_f32 v6, vcc, v1, v0, v1
	v_fma_f32 v7, -v4, v5, 1.0
	v_fmac_f32_e32 v5, v7, v5
	v_mul_f32_e32 v7, v6, v5
	v_fma_f32 v8, -v4, v7, v6
	v_fmac_f32_e32 v7, v8, v5
	v_fma_f32 v4, -v4, v7, v6
	v_div_fmas_f32 v4, v4, v5, v7
	v_div_fixup_f32 v1, v4, v0, v1
	global_store_dword v[2:3], v1, off
	v_add_co_u32_e32 v2, vcc, 4, v2
	v_addc_co_u32_e32 v3, vcc, 0, v3, vcc
	s_cbranch_scc1 .LBB280_33
.LBB280_34:
	s_endpgm
	.section	.rodata,"a",@progbits
	.p2align	6, 0x0
	.amdhsa_kernel _ZN4vllm3moe10topkGatingILi8ELi32ELi4ELi16ELi64Ej6__halfLNS0_11ScoringFuncE1EEEvPKT5_PKbPfiPT4_PiiiibPKf
		.amdhsa_group_segment_fixed_size 0
		.amdhsa_private_segment_fixed_size 0
		.amdhsa_kernarg_size 72
		.amdhsa_user_sgpr_count 6
		.amdhsa_user_sgpr_private_segment_buffer 1
		.amdhsa_user_sgpr_dispatch_ptr 0
		.amdhsa_user_sgpr_queue_ptr 0
		.amdhsa_user_sgpr_kernarg_segment_ptr 1
		.amdhsa_user_sgpr_dispatch_id 0
		.amdhsa_user_sgpr_flat_scratch_init 0
		.amdhsa_user_sgpr_kernarg_preload_length 0
		.amdhsa_user_sgpr_kernarg_preload_offset 0
		.amdhsa_user_sgpr_private_segment_size 0
		.amdhsa_uses_dynamic_stack 0
		.amdhsa_system_sgpr_private_segment_wavefront_offset 0
		.amdhsa_system_sgpr_workgroup_id_x 1
		.amdhsa_system_sgpr_workgroup_id_y 0
		.amdhsa_system_sgpr_workgroup_id_z 0
		.amdhsa_system_sgpr_workgroup_info 0
		.amdhsa_system_vgpr_workitem_id 1
		.amdhsa_next_free_vgpr 34
		.amdhsa_next_free_sgpr 26
		.amdhsa_accum_offset 36
		.amdhsa_reserve_vcc 1
		.amdhsa_reserve_flat_scratch 0
		.amdhsa_float_round_mode_32 0
		.amdhsa_float_round_mode_16_64 0
		.amdhsa_float_denorm_mode_32 3
		.amdhsa_float_denorm_mode_16_64 3
		.amdhsa_dx10_clamp 1
		.amdhsa_ieee_mode 1
		.amdhsa_fp16_overflow 0
		.amdhsa_tg_split 0
		.amdhsa_exception_fp_ieee_invalid_op 0
		.amdhsa_exception_fp_denorm_src 0
		.amdhsa_exception_fp_ieee_div_zero 0
		.amdhsa_exception_fp_ieee_overflow 0
		.amdhsa_exception_fp_ieee_underflow 0
		.amdhsa_exception_fp_ieee_inexact 0
		.amdhsa_exception_int_div_zero 0
	.end_amdhsa_kernel
	.section	.text._ZN4vllm3moe10topkGatingILi8ELi32ELi4ELi16ELi64Ej6__halfLNS0_11ScoringFuncE1EEEvPKT5_PKbPfiPT4_PiiiibPKf,"axG",@progbits,_ZN4vllm3moe10topkGatingILi8ELi32ELi4ELi16ELi64Ej6__halfLNS0_11ScoringFuncE1EEEvPKT5_PKbPfiPT4_PiiiibPKf,comdat
.Lfunc_end280:
	.size	_ZN4vllm3moe10topkGatingILi8ELi32ELi4ELi16ELi64Ej6__halfLNS0_11ScoringFuncE1EEEvPKT5_PKbPfiPT4_PiiiibPKf, .Lfunc_end280-_ZN4vllm3moe10topkGatingILi8ELi32ELi4ELi16ELi64Ej6__halfLNS0_11ScoringFuncE1EEEvPKT5_PKbPfiPT4_PiiiibPKf
                                        ; -- End function
	.section	.AMDGPU.csdata,"",@progbits
; Kernel info:
; codeLenInByte = 2716
; NumSgprs: 30
; NumVgprs: 34
; NumAgprs: 0
; TotalNumVgprs: 34
; ScratchSize: 0
; MemoryBound: 0
; FloatMode: 240
; IeeeMode: 1
; LDSByteSize: 0 bytes/workgroup (compile time only)
; SGPRBlocks: 3
; VGPRBlocks: 4
; NumSGPRsForWavesPerEU: 30
; NumVGPRsForWavesPerEU: 34
; AccumOffset: 36
; Occupancy: 8
; WaveLimiterHint : 0
; COMPUTE_PGM_RSRC2:SCRATCH_EN: 0
; COMPUTE_PGM_RSRC2:USER_SGPR: 6
; COMPUTE_PGM_RSRC2:TRAP_HANDLER: 0
; COMPUTE_PGM_RSRC2:TGID_X_EN: 1
; COMPUTE_PGM_RSRC2:TGID_Y_EN: 0
; COMPUTE_PGM_RSRC2:TGID_Z_EN: 0
; COMPUTE_PGM_RSRC2:TIDIG_COMP_CNT: 1
; COMPUTE_PGM_RSRC3_GFX90A:ACCUM_OFFSET: 8
; COMPUTE_PGM_RSRC3_GFX90A:TG_SPLIT: 0
	.section	.text._ZN4vllm3moe10topkGatingILi8ELi32ELi4ELi16ELi32Ej6__halfLNS0_11ScoringFuncE1EEEvPKT5_PKbPfiPT4_PiiiibPKf,"axG",@progbits,_ZN4vllm3moe10topkGatingILi8ELi32ELi4ELi16ELi32Ej6__halfLNS0_11ScoringFuncE1EEEvPKT5_PKbPfiPT4_PiiiibPKf,comdat
	.protected	_ZN4vllm3moe10topkGatingILi8ELi32ELi4ELi16ELi32Ej6__halfLNS0_11ScoringFuncE1EEEvPKT5_PKbPfiPT4_PiiiibPKf ; -- Begin function _ZN4vllm3moe10topkGatingILi8ELi32ELi4ELi16ELi32Ej6__halfLNS0_11ScoringFuncE1EEEvPKT5_PKbPfiPT4_PiiiibPKf
	.globl	_ZN4vllm3moe10topkGatingILi8ELi32ELi4ELi16ELi32Ej6__halfLNS0_11ScoringFuncE1EEEvPKT5_PKbPfiPT4_PiiiibPKf
	.p2align	8
	.type	_ZN4vllm3moe10topkGatingILi8ELi32ELi4ELi16ELi32Ej6__halfLNS0_11ScoringFuncE1EEEvPKT5_PKbPfiPT4_PiiiibPKf,@function
_ZN4vllm3moe10topkGatingILi8ELi32ELi4ELi16ELi32Ej6__halfLNS0_11ScoringFuncE1EEEvPKT5_PKbPfiPT4_PiiiibPKf: ; @_ZN4vllm3moe10topkGatingILi8ELi32ELi4ELi16ELi32Ej6__halfLNS0_11ScoringFuncE1EEEvPKT5_PKbPfiPT4_PiiiibPKf
; %bb.0:
	s_load_dword s24, s[4:5], 0x18
	v_bfe_u32 v1, v0, 10, 10
	v_and_b32_e32 v0, 0x3ff, v0
	s_lshl_b32 s0, s6, 5
	v_lshlrev_b32_e32 v1, 3, v1
	v_lshrrev_b32_e32 v2, 2, v0
	v_add3_u32 v16, s0, v1, v2
	s_waitcnt lgkmcnt(0)
	v_cmp_gt_i32_e32 vcc, s24, v16
	s_and_saveexec_b64 s[0:1], vcc
	s_cbranch_execz .LBB281_34
; %bb.1:
	s_load_dwordx4 s[0:3], s[4:5], 0x0
	s_load_dwordx2 s[16:17], s[4:5], 0x10
	s_mov_b64 s[8:9], -1
	s_mov_b64 s[18:19], -1
	s_waitcnt lgkmcnt(0)
	s_cmp_eq_u64 s[2:3], 0
	s_cbranch_scc1 .LBB281_3
; %bb.2:
	v_ashrrev_i32_e32 v1, 31, v16
	v_mov_b32_e32 v3, s3
	v_add_co_u32_e32 v2, vcc, s2, v16
	v_addc_co_u32_e32 v3, vcc, v3, v1, vcc
	global_load_ubyte v1, v[2:3], off
	s_waitcnt vmcnt(0)
	v_and_b32_e32 v1, 1, v1
	v_cmp_eq_u32_e32 vcc, 1, v1
	s_xor_b64 s[2:3], vcc, -1
	s_orn2_b64 s[18:19], s[2:3], exec
.LBB281_3:
	v_lshlrev_b32_e32 v2, 5, v16
	v_ashrrev_i32_e32 v3, 31, v2
	v_lshlrev_b64 v[2:3], 1, v[2:3]
	v_mov_b32_e32 v1, s1
	v_add_co_u32_e32 v2, vcc, s0, v2
	v_and_b32_e32 v17, 3, v0
	v_addc_co_u32_e32 v1, vcc, v1, v3, vcc
	v_lshlrev_b32_e32 v0, 4, v17
	v_add_co_u32_e32 v0, vcc, v2, v0
	v_addc_co_u32_e32 v1, vcc, 0, v1, vcc
	global_load_dwordx4 v[0:3], v[0:1], off
	v_mov_b32_e32 v8, 0x207
	s_load_dwordx2 s[10:11], s[4:5], 0x40
	v_lshlrev_b32_e32 v18, 3, v17
	s_waitcnt lgkmcnt(0)
	s_cmp_eq_u64 s[10:11], 0
	s_waitcnt vmcnt(0)
	v_cvt_f32_f16_e32 v4, v0
	v_cvt_f32_f16_sdwa v0, v0 dst_sel:DWORD dst_unused:UNUSED_PAD src0_sel:WORD_1
	v_cvt_f32_f16_e32 v5, v1
	v_cvt_f32_f16_sdwa v1, v1 dst_sel:DWORD dst_unused:UNUSED_PAD src0_sel:WORD_1
	v_mul_f32_e32 v4, 0xbfb8aa3b, v4
	v_mul_f32_e32 v9, 0xbfb8aa3b, v0
	v_cvt_f32_f16_e32 v6, v2
	v_cvt_f32_f16_sdwa v2, v2 dst_sel:DWORD dst_unused:UNUSED_PAD src0_sel:WORD_1
	v_cvt_f32_f16_e32 v7, v3
	v_cvt_f32_f16_sdwa v3, v3 dst_sel:DWORD dst_unused:UNUSED_PAD src0_sel:WORD_1
	v_mul_f32_e32 v10, 0xbfb8aa3b, v1
	v_exp_f32_e32 v0, v4
	v_exp_f32_e32 v1, v9
	v_mul_f32_e32 v5, 0xbfb8aa3b, v5
	v_mul_f32_e32 v11, 0xbfb8aa3b, v2
	;; [unrolled: 1-line block ×3, first 2 shown]
	v_exp_f32_e32 v2, v5
	v_exp_f32_e32 v3, v10
	v_pk_add_f32 v[0:1], v[0:1], 1.0 op_sel_hi:[1,0]
	v_div_scale_f32 v9, s[0:1], v1, v1, 1.0
	v_rcp_f32_e32 v21, v9
	v_exp_f32_e32 v5, v11
	v_div_scale_f32 v11, s[0:1], v0, v0, 1.0
	v_pk_add_f32 v[2:3], v[2:3], 1.0 op_sel_hi:[1,0]
	v_rcp_f32_e32 v22, v11
	v_div_scale_f32 v13, s[2:3], v3, v3, 1.0
	v_rcp_f32_e32 v23, v13
	v_fma_f32 v26, -v9, v21, 1.0
	v_div_scale_f32 v10, vcc, 1.0, v1, 1.0
	v_div_scale_f32 v15, s[6:7], v2, v2, 1.0
	v_fmac_f32_e32 v21, v26, v21
	v_mul_f32_e32 v6, 0xbfb8aa3b, v6
	v_mul_f32_e32 v7, 0xbfb8aa3b, v7
	v_rcp_f32_e32 v24, v15
	v_fma_f32 v27, -v11, v22, 1.0
	v_mul_f32_e32 v26, v10, v21
	v_exp_f32_e32 v4, v6
	v_exp_f32_e32 v6, v7
	;; [unrolled: 1-line block ×3, first 2 shown]
	v_div_scale_f32 v12, s[0:1], 1.0, v0, 1.0
	v_fmac_f32_e32 v22, v27, v22
	v_fma_f32 v30, -v9, v26, v10
	v_fma_f32 v28, -v13, v23, 1.0
	v_mul_f32_e32 v27, v12, v22
	v_fmac_f32_e32 v26, v30, v21
	v_div_scale_f32 v14, s[2:3], 1.0, v3, 1.0
	v_fmac_f32_e32 v23, v28, v23
	v_fma_f32 v31, -v11, v27, v12
	v_fma_f32 v9, -v9, v26, v10
	v_fma_f32 v29, -v15, v24, 1.0
	v_mul_f32_e32 v28, v14, v23
	v_fmac_f32_e32 v27, v31, v22
	v_div_fmas_f32 v9, v9, v21, v26
	v_div_scale_f32 v19, s[6:7], 1.0, v2, 1.0
	v_fmac_f32_e32 v24, v29, v24
	v_fma_f32 v32, -v13, v28, v14
	v_fma_f32 v10, -v11, v27, v12
	v_div_fixup_f32 v1, v9, v1, 1.0
	s_mov_b64 vcc, s[0:1]
	v_pk_add_f32 v[4:5], v[4:5], 1.0 op_sel_hi:[1,0]
	v_mul_f32_e32 v29, v19, v24
	v_fmac_f32_e32 v28, v32, v23
	v_div_fmas_f32 v9, v10, v22, v27
	v_cmp_class_f32_e32 vcc, v1, v8
	v_div_scale_f32 v20, s[12:13], v5, v5, 1.0
	v_fma_f32 v33, -v15, v29, v19
	v_fma_f32 v11, -v13, v28, v14
	v_div_fixup_f32 v0, v9, v0, 1.0
	v_cndmask_b32_e64 v1, v1, 0, vcc
	s_mov_b64 vcc, s[2:3]
	v_rcp_f32_e32 v25, v20
	v_fmac_f32_e32 v29, v33, v24
	v_div_fmas_f32 v9, v11, v23, v28
	v_cmp_class_f32_e32 vcc, v0, v8
	v_fma_f32 v12, -v15, v29, v19
	v_cndmask_b32_e64 v0, v0, 0, vcc
	s_mov_b64 vcc, s[6:7]
	v_div_fixup_f32 v3, v9, v3, 1.0
	v_div_fmas_f32 v9, v12, v24, v29
	v_div_fixup_f32 v2, v9, v2, 1.0
	v_cmp_class_f32_e32 vcc, v3, v8
	v_cndmask_b32_e64 v3, v3, 0, vcc
	v_cmp_class_f32_e32 vcc, v2, v8
	v_fma_f32 v9, -v20, v25, 1.0
	v_cndmask_b32_e64 v2, v2, 0, vcc
	v_fmac_f32_e32 v25, v9, v25
	v_div_scale_f32 v9, vcc, 1.0, v5, 1.0
	v_mul_f32_e32 v10, v9, v25
	v_fma_f32 v11, -v20, v10, v9
	v_fmac_f32_e32 v10, v11, v25
	v_div_scale_f32 v11, s[0:1], v4, v4, 1.0
	v_rcp_f32_e32 v12, v11
	v_fma_f32 v9, -v20, v10, v9
	v_div_fmas_f32 v9, v9, v25, v10
	v_div_fixup_f32 v5, v9, v5, 1.0
	v_fma_f32 v9, -v11, v12, 1.0
	v_fmac_f32_e32 v12, v9, v12
	v_div_scale_f32 v9, vcc, 1.0, v4, 1.0
	v_mul_f32_e32 v10, v9, v12
	v_fma_f32 v13, -v11, v10, v9
	v_fmac_f32_e32 v10, v13, v12
	v_fma_f32 v9, -v11, v10, v9
	v_div_fmas_f32 v9, v9, v12, v10
	v_pk_add_f32 v[6:7], v[6:7], 1.0 op_sel_hi:[1,0]
	v_div_fixup_f32 v4, v9, v4, 1.0
	v_div_scale_f32 v9, s[0:1], v7, v7, 1.0
	v_rcp_f32_e32 v10, v9
	v_cmp_class_f32_e32 vcc, v5, v8
	v_cndmask_b32_e64 v5, v5, 0, vcc
	v_cmp_class_f32_e32 vcc, v4, v8
	v_fma_f32 v11, -v9, v10, 1.0
	v_cndmask_b32_e64 v4, v4, 0, vcc
	v_fmac_f32_e32 v10, v11, v10
	v_div_scale_f32 v11, vcc, 1.0, v7, 1.0
	v_mul_f32_e32 v12, v11, v10
	v_fma_f32 v13, -v9, v12, v11
	v_fmac_f32_e32 v12, v13, v10
	v_fma_f32 v9, -v9, v12, v11
	v_div_scale_f32 v11, s[0:1], v6, v6, 1.0
	v_rcp_f32_e32 v13, v11
	v_div_fmas_f32 v9, v9, v10, v12
	v_div_fixup_f32 v7, v9, v7, 1.0
	v_fma_f32 v9, -v11, v13, 1.0
	v_fmac_f32_e32 v13, v9, v13
	v_div_scale_f32 v9, vcc, 1.0, v6, 1.0
	v_mul_f32_e32 v10, v9, v13
	v_fma_f32 v12, -v11, v10, v9
	v_fmac_f32_e32 v10, v12, v13
	v_fma_f32 v9, -v11, v10, v9
	v_div_fmas_f32 v9, v9, v13, v10
	v_div_fixup_f32 v6, v9, v6, 1.0
	v_cmp_class_f32_e32 vcc, v7, v8
	v_cndmask_b32_e64 v7, v7, 0, vcc
	v_cmp_class_f32_e32 vcc, v6, v8
	v_cndmask_b32_e64 v6, v6, 0, vcc
	s_cbranch_scc1 .LBB281_23
; %bb.4:
	v_lshlrev_b32_e32 v19, 2, v18
	global_load_dwordx4 v[8:11], v19, s[10:11]
	global_load_dwordx4 v[12:15], v19, s[10:11] offset:16
	s_waitcnt vmcnt(1)
	v_pk_add_f32 v[8:9], v[8:9], v[0:1]
	v_pk_add_f32 v[10:11], v[10:11], v[2:3]
	s_waitcnt vmcnt(0)
	v_pk_add_f32 v[12:13], v[12:13], v[4:5]
	v_pk_add_f32 v[14:15], v[14:15], v[6:7]
	s_cbranch_execnz .LBB281_6
.LBB281_5:
	v_pk_mov_b32 v[14:15], v[6:7], v[6:7] op_sel:[0,1]
	v_pk_mov_b32 v[12:13], v[4:5], v[4:5] op_sel:[0,1]
	;; [unrolled: 1-line block ×4, first 2 shown]
.LBB281_6:
	s_load_dwordx4 s[8:11], s[4:5], 0x30
	s_mov_b32 s25, 0
	v_cmp_eq_u32_e64 s[0:1], 0, v17
	s_waitcnt lgkmcnt(0)
	s_bitcmp1_b32 s11, 0
	s_cselect_b64 vcc, -1, 0
	s_cmp_gt_i32 s8, 0
	s_cselect_b64 s[6:7], -1, 0
	s_cmp_lt_i32 s8, 1
	s_cbranch_scc1 .LBB281_24
; %bb.7:
	v_mbcnt_lo_u32_b32 v19, -1, 0
	v_mbcnt_hi_u32_b32 v19, -1, v19
	v_and_b32_e32 v20, 0x7c, v19
	s_load_dwordx4 s[12:15], s[4:5], 0x20
	v_add_u32_e32 v22, 4, v20
	v_xor_b32_e32 v21, 2, v19
	v_cmp_lt_i32_e64 s[2:3], v21, v22
	v_xor_b32_e32 v23, 1, v19
	v_cndmask_b32_e64 v21, v19, v21, s[2:3]
	v_cmp_lt_i32_e64 s[2:3], v23, v22
	v_cndmask_b32_e64 v19, v19, v23, s[2:3]
	v_mul_lo_u32 v20, v16, s8
	v_lshlrev_b32_e32 v21, 2, v21
	v_lshlrev_b32_e32 v22, 2, v19
	v_mov_b32_e32 v19, 0
	v_mov_b32_e32 v23, 0xc61c4000
	;; [unrolled: 1-line block ×3, first 2 shown]
	s_branch .LBB281_10
.LBB281_8:                              ;   in Loop: Header=BB281_10 Depth=1
	s_or_b64 exec, exec, s[4:5]
.LBB281_9:                              ;   in Loop: Header=BB281_10 Depth=1
	s_cmp_eq_u32 s8, s25
	v_add_u32_e32 v24, s24, v24
	s_cbranch_scc1 .LBB281_25
.LBB281_10:                             ; =>This Inner Loop Header: Depth=1
	v_cmp_gt_f32_e64 s[2:3], v9, v8
	v_cndmask_b32_e64 v27, v8, v9, s[2:3]
	v_cndmask_b32_e64 v25, 0, 1, s[2:3]
	v_cndmask_b32_e64 v26, v0, v1, s[2:3]
	v_cmp_gt_f32_e64 s[2:3], v10, v27
	v_cndmask_b32_e64 v27, v27, v10, s[2:3]
	v_cndmask_b32_e64 v25, v25, 2, s[2:3]
	v_cndmask_b32_e64 v26, v26, v2, s[2:3]
	;; [unrolled: 4-line block ×6, first 2 shown]
	v_cmp_gt_f32_e64 s[2:3], v15, v27
	v_cndmask_b32_e64 v25, v25, 7, s[2:3]
	v_cndmask_b32_e64 v27, v27, v15, s[2:3]
	v_or_b32_e32 v25, v18, v25
	v_cndmask_b32_e64 v26, v26, v7, s[2:3]
	s_waitcnt lgkmcnt(0)
	ds_bpermute_b32 v28, v21, v27
	ds_bpermute_b32 v30, v21, v26
	;; [unrolled: 1-line block ×3, first 2 shown]
	s_waitcnt lgkmcnt(0)
	v_cmp_lt_f32_e64 s[20:21], v27, v28
	v_cmp_nlt_f32_e64 s[2:3], v27, v28
	s_and_saveexec_b64 s[22:23], s[2:3]
; %bb.11:                               ;   in Loop: Header=BB281_10 Depth=1
	v_cmp_eq_f32_e64 s[2:3], v27, v28
	v_cmp_lt_i32_e64 s[4:5], v29, v25
	s_and_b64 s[2:3], s[2:3], s[4:5]
	s_andn2_b64 s[4:5], s[20:21], exec
	s_and_b64 s[2:3], s[2:3], exec
	s_or_b64 s[20:21], s[4:5], s[2:3]
; %bb.12:                               ;   in Loop: Header=BB281_10 Depth=1
	s_or_b64 exec, exec, s[22:23]
	s_and_saveexec_b64 s[2:3], s[20:21]
; %bb.13:                               ;   in Loop: Header=BB281_10 Depth=1
	v_mov_b32_e32 v26, v30
	v_mov_b32_e32 v27, v28
	;; [unrolled: 1-line block ×3, first 2 shown]
; %bb.14:                               ;   in Loop: Header=BB281_10 Depth=1
	s_or_b64 exec, exec, s[2:3]
	ds_bpermute_b32 v30, v22, v27
	ds_bpermute_b32 v28, v22, v26
	;; [unrolled: 1-line block ×3, first 2 shown]
	s_waitcnt lgkmcnt(2)
	v_cmp_lt_f32_e64 s[20:21], v27, v30
	v_cmp_nlt_f32_e64 s[2:3], v27, v30
	s_and_saveexec_b64 s[22:23], s[2:3]
	s_cbranch_execnz .LBB281_18
; %bb.15:                               ;   in Loop: Header=BB281_10 Depth=1
	s_or_b64 exec, exec, s[22:23]
	s_and_saveexec_b64 s[2:3], s[20:21]
	s_cbranch_execnz .LBB281_19
.LBB281_16:                             ;   in Loop: Header=BB281_10 Depth=1
	s_or_b64 exec, exec, s[2:3]
	s_and_saveexec_b64 s[20:21], s[0:1]
	s_cbranch_execnz .LBB281_20
.LBB281_17:                             ;   in Loop: Header=BB281_10 Depth=1
	s_or_b64 exec, exec, s[20:21]
	s_add_i32 s25, s25, 1
	s_cmp_ge_i32 s25, s8
	s_cbranch_scc1 .LBB281_9
	s_branch .LBB281_21
.LBB281_18:                             ;   in Loop: Header=BB281_10 Depth=1
	v_cmp_eq_f32_e64 s[2:3], v27, v30
	s_waitcnt lgkmcnt(0)
	v_cmp_lt_i32_e64 s[4:5], v29, v25
	s_and_b64 s[2:3], s[2:3], s[4:5]
	s_andn2_b64 s[4:5], s[20:21], exec
	s_and_b64 s[2:3], s[2:3], exec
	s_or_b64 s[20:21], s[4:5], s[2:3]
	s_or_b64 exec, exec, s[22:23]
	s_and_saveexec_b64 s[2:3], s[20:21]
	s_cbranch_execz .LBB281_16
.LBB281_19:                             ;   in Loop: Header=BB281_10 Depth=1
	s_waitcnt lgkmcnt(0)
	v_mov_b32_e32 v25, v29
	v_mov_b32_e32 v26, v28
	s_or_b64 exec, exec, s[2:3]
	s_and_saveexec_b64 s[20:21], s[0:1]
	s_cbranch_execz .LBB281_17
.LBB281_20:                             ;   in Loop: Header=BB281_10 Depth=1
	s_waitcnt lgkmcnt(1)
	v_add_u32_e32 v28, s25, v20
	s_waitcnt lgkmcnt(0)
	v_ashrrev_i32_e32 v29, 31, v28
	v_cmp_le_i32_e64 s[2:3], s9, v25
	v_cmp_gt_i32_e64 s[4:5], s10, v25
	v_lshlrev_b64 v[28:29], 2, v[28:29]
	s_and_b64 s[4:5], s[2:3], s[4:5]
	v_mov_b32_e32 v27, s17
	v_add_co_u32_e64 v30, s[2:3], s16, v28
	v_addc_co_u32_e64 v31, s[2:3], v27, v29, s[2:3]
	v_subrev_u32_e32 v27, s9, v25
	s_and_b64 s[2:3], s[18:19], s[4:5]
	global_store_dword v[30:31], v26, off
	v_cndmask_b32_e64 v27, 32, v27, s[2:3]
	v_mov_b32_e32 v31, s13
	v_add_co_u32_e64 v30, s[2:3], s12, v28
	v_addc_co_u32_e64 v31, s[2:3], v31, v29, s[2:3]
	global_store_dword v[30:31], v27, off
	v_mov_b32_e32 v27, s15
	v_add_co_u32_e64 v28, s[2:3], s14, v28
	v_add_f32_e32 v26, v19, v26
	v_addc_co_u32_e64 v29, s[2:3], v27, v29, s[2:3]
	v_cndmask_b32_e32 v19, v19, v26, vcc
	global_store_dword v[28:29], v24, off
	s_or_b64 exec, exec, s[20:21]
	s_add_i32 s25, s25, 1
	s_cmp_ge_i32 s25, s8
	s_cbranch_scc1 .LBB281_9
.LBB281_21:                             ;   in Loop: Header=BB281_10 Depth=1
	v_ashrrev_i32_e32 v27, 31, v25
	v_lshrrev_b32_e32 v26, 29, v27
	v_add_u32_e32 v26, v25, v26
	v_ashrrev_i32_e32 v26, 3, v26
	s_waitcnt lgkmcnt(1)
	v_lshrrev_b32_e32 v28, 30, v26
	v_add_u32_e32 v28, v26, v28
	v_and_b32_e32 v28, -4, v28
	v_sub_u32_e32 v28, v26, v28
	v_cmp_eq_u32_e64 s[2:3], v17, v28
	s_and_saveexec_b64 s[4:5], s[2:3]
	s_cbranch_execz .LBB281_8
; %bb.22:                               ;   in Loop: Header=BB281_10 Depth=1
	v_lshrrev_b32_e32 v27, 27, v27
	v_add_u32_e32 v27, v25, v27
	v_lshlrev_b32_e32 v26, 3, v26
	v_ashrrev_i32_e32 v27, 5, v27
	v_sub_u32_e32 v25, v25, v26
	v_lshl_add_u32 v25, v27, 3, v25
	v_cmp_ne_u32_e64 s[2:3], 7, v25
	v_cndmask_b32_e64 v15, v23, v15, s[2:3]
	v_cmp_ne_u32_e64 s[2:3], 6, v25
	v_cndmask_b32_e64 v14, v23, v14, s[2:3]
	;; [unrolled: 2-line block ×8, first 2 shown]
	s_branch .LBB281_8
.LBB281_23:
                                        ; implicit-def: $vgpr8_vgpr9_vgpr10_vgpr11_vgpr12_vgpr13_vgpr14_vgpr15
	s_andn2_b64 vcc, exec, s[8:9]
	s_cbranch_vccz .LBB281_5
	s_branch .LBB281_6
.LBB281_24:
	v_mov_b32_e32 v19, 0
.LBB281_25:
	v_cmp_eq_u32_e64 s[0:1], 0, v17
	s_and_b64 s[0:1], s[0:1], vcc
	s_and_b64 exec, exec, s[0:1]
	s_cbranch_execz .LBB281_34
; %bb.26:
	s_andn2_b64 vcc, exec, s[6:7]
	s_cbranch_vccnz .LBB281_34
; %bb.27:
	v_cmp_lt_f32_e32 vcc, 0, v19
	s_mov_b32 s2, 0
	v_cndmask_b32_e32 v0, 1.0, v19, vcc
	v_mul_lo_u32 v4, v16, s8
	s_cmp_eq_u32 s8, 1
	s_mov_b64 s[0:1], -1
	s_cbranch_scc1 .LBB281_31
; %bb.28:
	s_and_b32 s2, s8, 0x7ffffffe
	v_mov_b32_e32 v1, v0
	v_mov_b32_e32 v5, s17
	s_mov_b32 s3, s2
	v_mov_b32_e32 v2, v4
.LBB281_29:                             ; =>This Inner Loop Header: Depth=1
	v_ashrrev_i32_e32 v3, 31, v2
	v_lshlrev_b64 v[6:7], 2, v[2:3]
	v_add_co_u32_e32 v6, vcc, s16, v6
	v_addc_co_u32_e32 v7, vcc, v5, v7, vcc
	global_load_dwordx2 v[8:9], v[6:7], off
	s_add_i32 s3, s3, -2
	s_cmp_lg_u32 s3, 0
	v_add_u32_e32 v2, 2, v2
	s_waitcnt vmcnt(0)
	v_div_scale_f32 v3, s[0:1], v1, v1, v9
	v_div_scale_f32 v11, s[0:1], v0, v0, v8
	v_rcp_f32_e32 v12, v3
	v_rcp_f32_e32 v13, v11
	v_div_scale_f32 v10, vcc, v9, v1, v9
	v_fma_f32 v15, -v3, v12, 1.0
	v_fma_f32 v16, -v11, v13, 1.0
	v_fmac_f32_e32 v12, v15, v12
	v_div_scale_f32 v14, s[0:1], v8, v0, v8
	v_fmac_f32_e32 v13, v16, v13
	v_mul_f32_e32 v15, v10, v12
	v_mul_f32_e32 v16, v14, v13
	v_fma_f32 v17, -v3, v15, v10
	v_fma_f32 v18, -v11, v16, v14
	v_fmac_f32_e32 v15, v17, v12
	v_fmac_f32_e32 v16, v18, v13
	v_fma_f32 v3, -v3, v15, v10
	v_fma_f32 v10, -v11, v16, v14
	v_div_fmas_f32 v3, v3, v12, v15
	s_mov_b64 vcc, s[0:1]
	v_div_fixup_f32 v9, v3, v1, v9
	v_div_fmas_f32 v3, v10, v13, v16
	v_div_fixup_f32 v8, v3, v0, v8
	global_store_dwordx2 v[6:7], v[8:9], off
	s_cbranch_scc1 .LBB281_29
; %bb.30:
	s_cmp_lg_u32 s2, s8
	s_cselect_b64 s[0:1], -1, 0
.LBB281_31:
	s_and_b64 vcc, exec, s[0:1]
	s_cbranch_vccz .LBB281_34
; %bb.32:
	v_ashrrev_i32_e32 v1, 31, v4
	v_add_co_u32_e32 v2, vcc, s2, v4
	v_addc_co_u32_e32 v3, vcc, 0, v1, vcc
	v_lshlrev_b64 v[2:3], 2, v[2:3]
	v_mov_b32_e32 v1, s17
	v_add_co_u32_e32 v2, vcc, s16, v2
	s_sub_i32 s0, s8, s2
	v_addc_co_u32_e32 v3, vcc, v1, v3, vcc
.LBB281_33:                             ; =>This Inner Loop Header: Depth=1
	global_load_dword v1, v[2:3], off
	s_add_i32 s0, s0, -1
	s_cmp_lg_u32 s0, 0
	s_waitcnt vmcnt(0)
	v_div_scale_f32 v4, s[2:3], v0, v0, v1
	v_rcp_f32_e32 v5, v4
	v_div_scale_f32 v6, vcc, v1, v0, v1
	v_fma_f32 v7, -v4, v5, 1.0
	v_fmac_f32_e32 v5, v7, v5
	v_mul_f32_e32 v7, v6, v5
	v_fma_f32 v8, -v4, v7, v6
	v_fmac_f32_e32 v7, v8, v5
	v_fma_f32 v4, -v4, v7, v6
	v_div_fmas_f32 v4, v4, v5, v7
	v_div_fixup_f32 v1, v4, v0, v1
	global_store_dword v[2:3], v1, off
	v_add_co_u32_e32 v2, vcc, 4, v2
	v_addc_co_u32_e32 v3, vcc, 0, v3, vcc
	s_cbranch_scc1 .LBB281_33
.LBB281_34:
	s_endpgm
	.section	.rodata,"a",@progbits
	.p2align	6, 0x0
	.amdhsa_kernel _ZN4vllm3moe10topkGatingILi8ELi32ELi4ELi16ELi32Ej6__halfLNS0_11ScoringFuncE1EEEvPKT5_PKbPfiPT4_PiiiibPKf
		.amdhsa_group_segment_fixed_size 0
		.amdhsa_private_segment_fixed_size 0
		.amdhsa_kernarg_size 72
		.amdhsa_user_sgpr_count 6
		.amdhsa_user_sgpr_private_segment_buffer 1
		.amdhsa_user_sgpr_dispatch_ptr 0
		.amdhsa_user_sgpr_queue_ptr 0
		.amdhsa_user_sgpr_kernarg_segment_ptr 1
		.amdhsa_user_sgpr_dispatch_id 0
		.amdhsa_user_sgpr_flat_scratch_init 0
		.amdhsa_user_sgpr_kernarg_preload_length 0
		.amdhsa_user_sgpr_kernarg_preload_offset 0
		.amdhsa_user_sgpr_private_segment_size 0
		.amdhsa_uses_dynamic_stack 0
		.amdhsa_system_sgpr_private_segment_wavefront_offset 0
		.amdhsa_system_sgpr_workgroup_id_x 1
		.amdhsa_system_sgpr_workgroup_id_y 0
		.amdhsa_system_sgpr_workgroup_id_z 0
		.amdhsa_system_sgpr_workgroup_info 0
		.amdhsa_system_vgpr_workitem_id 1
		.amdhsa_next_free_vgpr 34
		.amdhsa_next_free_sgpr 26
		.amdhsa_accum_offset 36
		.amdhsa_reserve_vcc 1
		.amdhsa_reserve_flat_scratch 0
		.amdhsa_float_round_mode_32 0
		.amdhsa_float_round_mode_16_64 0
		.amdhsa_float_denorm_mode_32 3
		.amdhsa_float_denorm_mode_16_64 3
		.amdhsa_dx10_clamp 1
		.amdhsa_ieee_mode 1
		.amdhsa_fp16_overflow 0
		.amdhsa_tg_split 0
		.amdhsa_exception_fp_ieee_invalid_op 0
		.amdhsa_exception_fp_denorm_src 0
		.amdhsa_exception_fp_ieee_div_zero 0
		.amdhsa_exception_fp_ieee_overflow 0
		.amdhsa_exception_fp_ieee_underflow 0
		.amdhsa_exception_fp_ieee_inexact 0
		.amdhsa_exception_int_div_zero 0
	.end_amdhsa_kernel
	.section	.text._ZN4vllm3moe10topkGatingILi8ELi32ELi4ELi16ELi32Ej6__halfLNS0_11ScoringFuncE1EEEvPKT5_PKbPfiPT4_PiiiibPKf,"axG",@progbits,_ZN4vllm3moe10topkGatingILi8ELi32ELi4ELi16ELi32Ej6__halfLNS0_11ScoringFuncE1EEEvPKT5_PKbPfiPT4_PiiiibPKf,comdat
.Lfunc_end281:
	.size	_ZN4vllm3moe10topkGatingILi8ELi32ELi4ELi16ELi32Ej6__halfLNS0_11ScoringFuncE1EEEvPKT5_PKbPfiPT4_PiiiibPKf, .Lfunc_end281-_ZN4vllm3moe10topkGatingILi8ELi32ELi4ELi16ELi32Ej6__halfLNS0_11ScoringFuncE1EEEvPKT5_PKbPfiPT4_PiiiibPKf
                                        ; -- End function
	.section	.AMDGPU.csdata,"",@progbits
; Kernel info:
; codeLenInByte = 2716
; NumSgprs: 30
; NumVgprs: 34
; NumAgprs: 0
; TotalNumVgprs: 34
; ScratchSize: 0
; MemoryBound: 0
; FloatMode: 240
; IeeeMode: 1
; LDSByteSize: 0 bytes/workgroup (compile time only)
; SGPRBlocks: 3
; VGPRBlocks: 4
; NumSGPRsForWavesPerEU: 30
; NumVGPRsForWavesPerEU: 34
; AccumOffset: 36
; Occupancy: 8
; WaveLimiterHint : 0
; COMPUTE_PGM_RSRC2:SCRATCH_EN: 0
; COMPUTE_PGM_RSRC2:USER_SGPR: 6
; COMPUTE_PGM_RSRC2:TRAP_HANDLER: 0
; COMPUTE_PGM_RSRC2:TGID_X_EN: 1
; COMPUTE_PGM_RSRC2:TGID_Y_EN: 0
; COMPUTE_PGM_RSRC2:TGID_Z_EN: 0
; COMPUTE_PGM_RSRC2:TIDIG_COMP_CNT: 1
; COMPUTE_PGM_RSRC3_GFX90A:ACCUM_OFFSET: 8
; COMPUTE_PGM_RSRC3_GFX90A:TG_SPLIT: 0
	.section	.text._ZN4vllm3moe10topkGatingILi8ELi64ELi4ELi16ELi64Ej6__halfLNS0_11ScoringFuncE1EEEvPKT5_PKbPfiPT4_PiiiibPKf,"axG",@progbits,_ZN4vllm3moe10topkGatingILi8ELi64ELi4ELi16ELi64Ej6__halfLNS0_11ScoringFuncE1EEEvPKT5_PKbPfiPT4_PiiiibPKf,comdat
	.protected	_ZN4vllm3moe10topkGatingILi8ELi64ELi4ELi16ELi64Ej6__halfLNS0_11ScoringFuncE1EEEvPKT5_PKbPfiPT4_PiiiibPKf ; -- Begin function _ZN4vllm3moe10topkGatingILi8ELi64ELi4ELi16ELi64Ej6__halfLNS0_11ScoringFuncE1EEEvPKT5_PKbPfiPT4_PiiiibPKf
	.globl	_ZN4vllm3moe10topkGatingILi8ELi64ELi4ELi16ELi64Ej6__halfLNS0_11ScoringFuncE1EEEvPKT5_PKbPfiPT4_PiiiibPKf
	.p2align	8
	.type	_ZN4vllm3moe10topkGatingILi8ELi64ELi4ELi16ELi64Ej6__halfLNS0_11ScoringFuncE1EEEvPKT5_PKbPfiPT4_PiiiibPKf,@function
_ZN4vllm3moe10topkGatingILi8ELi64ELi4ELi16ELi64Ej6__halfLNS0_11ScoringFuncE1EEEvPKT5_PKbPfiPT4_PiiiibPKf: ; @_ZN4vllm3moe10topkGatingILi8ELi64ELi4ELi16ELi64Ej6__halfLNS0_11ScoringFuncE1EEEvPKT5_PKbPfiPT4_PiiiibPKf
; %bb.0:
	s_load_dword s24, s[4:5], 0x18
	v_bfe_u32 v1, v0, 10, 10
	v_and_b32_e32 v0, 0x3ff, v0
	s_lshl_b32 s0, s6, 5
	v_lshlrev_b32_e32 v1, 3, v1
	v_lshrrev_b32_e32 v2, 3, v0
	v_add3_u32 v16, s0, v1, v2
	s_waitcnt lgkmcnt(0)
	v_cmp_gt_i32_e32 vcc, s24, v16
	s_and_saveexec_b64 s[0:1], vcc
	s_cbranch_execz .LBB282_38
; %bb.1:
	s_load_dwordx4 s[0:3], s[4:5], 0x0
	s_load_dwordx2 s[16:17], s[4:5], 0x10
	s_mov_b64 s[8:9], -1
	s_mov_b64 s[18:19], -1
	s_waitcnt lgkmcnt(0)
	s_cmp_eq_u64 s[2:3], 0
	s_cbranch_scc1 .LBB282_3
; %bb.2:
	v_ashrrev_i32_e32 v1, 31, v16
	v_mov_b32_e32 v3, s3
	v_add_co_u32_e32 v2, vcc, s2, v16
	v_addc_co_u32_e32 v3, vcc, v3, v1, vcc
	global_load_ubyte v1, v[2:3], off
	s_waitcnt vmcnt(0)
	v_and_b32_e32 v1, 1, v1
	v_cmp_eq_u32_e32 vcc, 1, v1
	s_xor_b64 s[2:3], vcc, -1
	s_orn2_b64 s[18:19], s[2:3], exec
.LBB282_3:
	v_lshlrev_b32_e32 v2, 6, v16
	v_ashrrev_i32_e32 v3, 31, v2
	v_lshlrev_b64 v[2:3], 1, v[2:3]
	v_mov_b32_e32 v1, s1
	v_add_co_u32_e32 v2, vcc, s0, v2
	v_and_b32_e32 v17, 7, v0
	v_addc_co_u32_e32 v1, vcc, v1, v3, vcc
	v_lshlrev_b32_e32 v0, 4, v17
	v_add_co_u32_e32 v0, vcc, v2, v0
	v_addc_co_u32_e32 v1, vcc, 0, v1, vcc
	global_load_dwordx4 v[0:3], v[0:1], off
	v_mov_b32_e32 v8, 0x207
	s_load_dwordx2 s[10:11], s[4:5], 0x40
	v_lshlrev_b32_e32 v18, 3, v17
	s_waitcnt lgkmcnt(0)
	s_cmp_eq_u64 s[10:11], 0
	s_waitcnt vmcnt(0)
	v_cvt_f32_f16_e32 v4, v0
	v_cvt_f32_f16_sdwa v0, v0 dst_sel:DWORD dst_unused:UNUSED_PAD src0_sel:WORD_1
	v_cvt_f32_f16_e32 v5, v1
	v_cvt_f32_f16_sdwa v1, v1 dst_sel:DWORD dst_unused:UNUSED_PAD src0_sel:WORD_1
	v_mul_f32_e32 v4, 0xbfb8aa3b, v4
	v_mul_f32_e32 v9, 0xbfb8aa3b, v0
	v_cvt_f32_f16_e32 v6, v2
	v_cvt_f32_f16_sdwa v2, v2 dst_sel:DWORD dst_unused:UNUSED_PAD src0_sel:WORD_1
	v_cvt_f32_f16_e32 v7, v3
	v_cvt_f32_f16_sdwa v3, v3 dst_sel:DWORD dst_unused:UNUSED_PAD src0_sel:WORD_1
	v_mul_f32_e32 v10, 0xbfb8aa3b, v1
	v_exp_f32_e32 v0, v4
	v_exp_f32_e32 v1, v9
	v_mul_f32_e32 v5, 0xbfb8aa3b, v5
	v_mul_f32_e32 v11, 0xbfb8aa3b, v2
	;; [unrolled: 1-line block ×3, first 2 shown]
	v_exp_f32_e32 v2, v5
	v_exp_f32_e32 v3, v10
	v_pk_add_f32 v[0:1], v[0:1], 1.0 op_sel_hi:[1,0]
	v_div_scale_f32 v9, s[0:1], v1, v1, 1.0
	v_rcp_f32_e32 v21, v9
	v_exp_f32_e32 v5, v11
	v_div_scale_f32 v11, s[0:1], v0, v0, 1.0
	v_pk_add_f32 v[2:3], v[2:3], 1.0 op_sel_hi:[1,0]
	v_rcp_f32_e32 v22, v11
	v_div_scale_f32 v13, s[2:3], v3, v3, 1.0
	v_rcp_f32_e32 v23, v13
	v_fma_f32 v26, -v9, v21, 1.0
	v_div_scale_f32 v10, vcc, 1.0, v1, 1.0
	v_div_scale_f32 v15, s[6:7], v2, v2, 1.0
	v_fmac_f32_e32 v21, v26, v21
	v_mul_f32_e32 v6, 0xbfb8aa3b, v6
	v_mul_f32_e32 v7, 0xbfb8aa3b, v7
	v_rcp_f32_e32 v24, v15
	v_fma_f32 v27, -v11, v22, 1.0
	v_mul_f32_e32 v26, v10, v21
	v_exp_f32_e32 v4, v6
	v_exp_f32_e32 v6, v7
	;; [unrolled: 1-line block ×3, first 2 shown]
	v_div_scale_f32 v12, s[0:1], 1.0, v0, 1.0
	v_fmac_f32_e32 v22, v27, v22
	v_fma_f32 v30, -v9, v26, v10
	v_fma_f32 v28, -v13, v23, 1.0
	v_mul_f32_e32 v27, v12, v22
	v_fmac_f32_e32 v26, v30, v21
	v_div_scale_f32 v14, s[2:3], 1.0, v3, 1.0
	v_fmac_f32_e32 v23, v28, v23
	v_fma_f32 v31, -v11, v27, v12
	v_fma_f32 v9, -v9, v26, v10
	v_fma_f32 v29, -v15, v24, 1.0
	v_mul_f32_e32 v28, v14, v23
	v_fmac_f32_e32 v27, v31, v22
	v_div_fmas_f32 v9, v9, v21, v26
	v_div_scale_f32 v19, s[6:7], 1.0, v2, 1.0
	v_fmac_f32_e32 v24, v29, v24
	v_fma_f32 v32, -v13, v28, v14
	v_fma_f32 v10, -v11, v27, v12
	v_div_fixup_f32 v1, v9, v1, 1.0
	s_mov_b64 vcc, s[0:1]
	v_pk_add_f32 v[4:5], v[4:5], 1.0 op_sel_hi:[1,0]
	v_mul_f32_e32 v29, v19, v24
	v_fmac_f32_e32 v28, v32, v23
	v_div_fmas_f32 v9, v10, v22, v27
	v_cmp_class_f32_e32 vcc, v1, v8
	v_div_scale_f32 v20, s[12:13], v5, v5, 1.0
	v_fma_f32 v33, -v15, v29, v19
	v_fma_f32 v11, -v13, v28, v14
	v_div_fixup_f32 v0, v9, v0, 1.0
	v_cndmask_b32_e64 v1, v1, 0, vcc
	s_mov_b64 vcc, s[2:3]
	v_rcp_f32_e32 v25, v20
	v_fmac_f32_e32 v29, v33, v24
	v_div_fmas_f32 v9, v11, v23, v28
	v_cmp_class_f32_e32 vcc, v0, v8
	v_fma_f32 v12, -v15, v29, v19
	v_cndmask_b32_e64 v0, v0, 0, vcc
	s_mov_b64 vcc, s[6:7]
	v_div_fixup_f32 v3, v9, v3, 1.0
	v_div_fmas_f32 v9, v12, v24, v29
	v_div_fixup_f32 v2, v9, v2, 1.0
	v_cmp_class_f32_e32 vcc, v3, v8
	v_cndmask_b32_e64 v3, v3, 0, vcc
	v_cmp_class_f32_e32 vcc, v2, v8
	v_fma_f32 v9, -v20, v25, 1.0
	v_cndmask_b32_e64 v2, v2, 0, vcc
	v_fmac_f32_e32 v25, v9, v25
	v_div_scale_f32 v9, vcc, 1.0, v5, 1.0
	v_mul_f32_e32 v10, v9, v25
	v_fma_f32 v11, -v20, v10, v9
	v_fmac_f32_e32 v10, v11, v25
	v_div_scale_f32 v11, s[0:1], v4, v4, 1.0
	v_rcp_f32_e32 v12, v11
	v_fma_f32 v9, -v20, v10, v9
	v_div_fmas_f32 v9, v9, v25, v10
	v_div_fixup_f32 v5, v9, v5, 1.0
	v_fma_f32 v9, -v11, v12, 1.0
	v_fmac_f32_e32 v12, v9, v12
	v_div_scale_f32 v9, vcc, 1.0, v4, 1.0
	v_mul_f32_e32 v10, v9, v12
	v_fma_f32 v13, -v11, v10, v9
	v_fmac_f32_e32 v10, v13, v12
	v_fma_f32 v9, -v11, v10, v9
	v_div_fmas_f32 v9, v9, v12, v10
	v_pk_add_f32 v[6:7], v[6:7], 1.0 op_sel_hi:[1,0]
	v_div_fixup_f32 v4, v9, v4, 1.0
	v_div_scale_f32 v9, s[0:1], v7, v7, 1.0
	v_rcp_f32_e32 v10, v9
	v_cmp_class_f32_e32 vcc, v5, v8
	v_cndmask_b32_e64 v5, v5, 0, vcc
	v_cmp_class_f32_e32 vcc, v4, v8
	v_fma_f32 v11, -v9, v10, 1.0
	v_cndmask_b32_e64 v4, v4, 0, vcc
	v_fmac_f32_e32 v10, v11, v10
	v_div_scale_f32 v11, vcc, 1.0, v7, 1.0
	v_mul_f32_e32 v12, v11, v10
	v_fma_f32 v13, -v9, v12, v11
	v_fmac_f32_e32 v12, v13, v10
	v_fma_f32 v9, -v9, v12, v11
	v_div_scale_f32 v11, s[0:1], v6, v6, 1.0
	v_rcp_f32_e32 v13, v11
	v_div_fmas_f32 v9, v9, v10, v12
	v_div_fixup_f32 v7, v9, v7, 1.0
	v_fma_f32 v9, -v11, v13, 1.0
	v_fmac_f32_e32 v13, v9, v13
	v_div_scale_f32 v9, vcc, 1.0, v6, 1.0
	v_mul_f32_e32 v10, v9, v13
	v_fma_f32 v12, -v11, v10, v9
	v_fmac_f32_e32 v10, v12, v13
	v_fma_f32 v9, -v11, v10, v9
	v_div_fmas_f32 v9, v9, v13, v10
	v_div_fixup_f32 v6, v9, v6, 1.0
	v_cmp_class_f32_e32 vcc, v7, v8
	v_cndmask_b32_e64 v7, v7, 0, vcc
	v_cmp_class_f32_e32 vcc, v6, v8
	v_cndmask_b32_e64 v6, v6, 0, vcc
	s_cbranch_scc1 .LBB282_27
; %bb.4:
	v_lshlrev_b32_e32 v19, 2, v18
	global_load_dwordx4 v[8:11], v19, s[10:11]
	global_load_dwordx4 v[12:15], v19, s[10:11] offset:16
	s_waitcnt vmcnt(1)
	v_pk_add_f32 v[8:9], v[8:9], v[0:1]
	v_pk_add_f32 v[10:11], v[10:11], v[2:3]
	s_waitcnt vmcnt(0)
	v_pk_add_f32 v[12:13], v[12:13], v[4:5]
	v_pk_add_f32 v[14:15], v[14:15], v[6:7]
	s_cbranch_execnz .LBB282_6
.LBB282_5:
	v_pk_mov_b32 v[14:15], v[6:7], v[6:7] op_sel:[0,1]
	v_pk_mov_b32 v[12:13], v[4:5], v[4:5] op_sel:[0,1]
	;; [unrolled: 1-line block ×4, first 2 shown]
.LBB282_6:
	s_load_dwordx4 s[8:11], s[4:5], 0x30
	s_mov_b32 s25, 0
	v_cmp_eq_u32_e64 s[0:1], 0, v17
	s_waitcnt lgkmcnt(0)
	s_bitcmp1_b32 s11, 0
	s_cselect_b64 vcc, -1, 0
	s_cmp_gt_i32 s8, 0
	s_cselect_b64 s[6:7], -1, 0
	s_cmp_lt_i32 s8, 1
	s_cbranch_scc1 .LBB282_28
; %bb.7:
	v_mbcnt_lo_u32_b32 v19, -1, 0
	v_mbcnt_hi_u32_b32 v19, -1, v19
	v_and_b32_e32 v20, 0x78, v19
	v_add_u32_e32 v23, 8, v20
	v_xor_b32_e32 v21, 4, v19
	s_load_dwordx4 s[12:15], s[4:5], 0x20
	v_cmp_lt_i32_e64 s[2:3], v21, v23
	v_xor_b32_e32 v22, 2, v19
	v_cndmask_b32_e64 v21, v19, v21, s[2:3]
	v_cmp_lt_i32_e64 s[2:3], v22, v23
	v_xor_b32_e32 v24, 1, v19
	v_cndmask_b32_e64 v22, v19, v22, s[2:3]
	v_cmp_lt_i32_e64 s[2:3], v24, v23
	v_cndmask_b32_e64 v19, v19, v24, s[2:3]
	v_mul_lo_u32 v20, v16, s8
	v_lshlrev_b32_e32 v21, 2, v21
	v_lshlrev_b32_e32 v22, 2, v22
	;; [unrolled: 1-line block ×3, first 2 shown]
	v_mov_b32_e32 v19, 0
	v_mov_b32_e32 v24, 0xc61c4000
	;; [unrolled: 1-line block ×3, first 2 shown]
	s_branch .LBB282_10
.LBB282_8:                              ;   in Loop: Header=BB282_10 Depth=1
	s_or_b64 exec, exec, s[4:5]
.LBB282_9:                              ;   in Loop: Header=BB282_10 Depth=1
	s_cmp_eq_u32 s8, s25
	v_add_u32_e32 v25, s24, v25
	s_cbranch_scc1 .LBB282_29
.LBB282_10:                             ; =>This Inner Loop Header: Depth=1
	v_cmp_gt_f32_e64 s[2:3], v9, v8
	v_cndmask_b32_e64 v28, v8, v9, s[2:3]
	v_cndmask_b32_e64 v26, 0, 1, s[2:3]
	v_cndmask_b32_e64 v27, v0, v1, s[2:3]
	v_cmp_gt_f32_e64 s[2:3], v10, v28
	v_cndmask_b32_e64 v28, v28, v10, s[2:3]
	v_cndmask_b32_e64 v26, v26, 2, s[2:3]
	v_cndmask_b32_e64 v27, v27, v2, s[2:3]
	;; [unrolled: 4-line block ×6, first 2 shown]
	v_cmp_gt_f32_e64 s[2:3], v15, v28
	v_cndmask_b32_e64 v26, v26, 7, s[2:3]
	v_cndmask_b32_e64 v28, v28, v15, s[2:3]
	v_or_b32_e32 v26, v18, v26
	v_cndmask_b32_e64 v27, v27, v7, s[2:3]
	s_waitcnt lgkmcnt(0)
	ds_bpermute_b32 v29, v21, v28
	ds_bpermute_b32 v31, v21, v27
	;; [unrolled: 1-line block ×3, first 2 shown]
	s_waitcnt lgkmcnt(0)
	v_cmp_lt_f32_e64 s[20:21], v28, v29
	v_cmp_nlt_f32_e64 s[2:3], v28, v29
	s_and_saveexec_b64 s[22:23], s[2:3]
; %bb.11:                               ;   in Loop: Header=BB282_10 Depth=1
	v_cmp_eq_f32_e64 s[2:3], v28, v29
	v_cmp_lt_i32_e64 s[4:5], v30, v26
	s_and_b64 s[2:3], s[2:3], s[4:5]
	s_andn2_b64 s[4:5], s[20:21], exec
	s_and_b64 s[2:3], s[2:3], exec
	s_or_b64 s[20:21], s[4:5], s[2:3]
; %bb.12:                               ;   in Loop: Header=BB282_10 Depth=1
	s_or_b64 exec, exec, s[22:23]
	s_and_saveexec_b64 s[2:3], s[20:21]
; %bb.13:                               ;   in Loop: Header=BB282_10 Depth=1
	v_mov_b32_e32 v27, v31
	v_mov_b32_e32 v28, v29
	v_mov_b32_e32 v26, v30
; %bb.14:                               ;   in Loop: Header=BB282_10 Depth=1
	s_or_b64 exec, exec, s[2:3]
	ds_bpermute_b32 v29, v22, v28
	ds_bpermute_b32 v31, v22, v27
	;; [unrolled: 1-line block ×3, first 2 shown]
	s_waitcnt lgkmcnt(2)
	v_cmp_lt_f32_e64 s[20:21], v28, v29
	v_cmp_nlt_f32_e64 s[2:3], v28, v29
	s_and_saveexec_b64 s[22:23], s[2:3]
	s_cbranch_execz .LBB282_16
; %bb.15:                               ;   in Loop: Header=BB282_10 Depth=1
	v_cmp_eq_f32_e64 s[2:3], v28, v29
	s_waitcnt lgkmcnt(0)
	v_cmp_lt_i32_e64 s[4:5], v30, v26
	s_and_b64 s[2:3], s[2:3], s[4:5]
	s_andn2_b64 s[4:5], s[20:21], exec
	s_and_b64 s[2:3], s[2:3], exec
	s_or_b64 s[20:21], s[4:5], s[2:3]
.LBB282_16:                             ;   in Loop: Header=BB282_10 Depth=1
	s_or_b64 exec, exec, s[22:23]
	s_and_saveexec_b64 s[2:3], s[20:21]
	s_cbranch_execz .LBB282_18
; %bb.17:                               ;   in Loop: Header=BB282_10 Depth=1
	s_waitcnt lgkmcnt(1)
	v_mov_b32_e32 v27, v31
	v_mov_b32_e32 v28, v29
	s_waitcnt lgkmcnt(0)
	v_mov_b32_e32 v26, v30
.LBB282_18:                             ;   in Loop: Header=BB282_10 Depth=1
	s_or_b64 exec, exec, s[2:3]
	s_waitcnt lgkmcnt(1)
	ds_bpermute_b32 v31, v23, v28
	ds_bpermute_b32 v29, v23, v27
	s_waitcnt lgkmcnt(2)
	ds_bpermute_b32 v30, v23, v26
	s_waitcnt lgkmcnt(2)
	v_cmp_lt_f32_e64 s[20:21], v28, v31
	v_cmp_nlt_f32_e64 s[2:3], v28, v31
	s_and_saveexec_b64 s[22:23], s[2:3]
	s_cbranch_execnz .LBB282_22
; %bb.19:                               ;   in Loop: Header=BB282_10 Depth=1
	s_or_b64 exec, exec, s[22:23]
	s_and_saveexec_b64 s[2:3], s[20:21]
	s_cbranch_execnz .LBB282_23
.LBB282_20:                             ;   in Loop: Header=BB282_10 Depth=1
	s_or_b64 exec, exec, s[2:3]
	s_and_saveexec_b64 s[20:21], s[0:1]
	s_cbranch_execnz .LBB282_24
.LBB282_21:                             ;   in Loop: Header=BB282_10 Depth=1
	s_or_b64 exec, exec, s[20:21]
	s_add_i32 s25, s25, 1
	s_cmp_ge_i32 s25, s8
	s_cbranch_scc1 .LBB282_9
	s_branch .LBB282_25
.LBB282_22:                             ;   in Loop: Header=BB282_10 Depth=1
	v_cmp_eq_f32_e64 s[2:3], v28, v31
	s_waitcnt lgkmcnt(0)
	v_cmp_lt_i32_e64 s[4:5], v30, v26
	s_and_b64 s[2:3], s[2:3], s[4:5]
	s_andn2_b64 s[4:5], s[20:21], exec
	s_and_b64 s[2:3], s[2:3], exec
	s_or_b64 s[20:21], s[4:5], s[2:3]
	s_or_b64 exec, exec, s[22:23]
	s_and_saveexec_b64 s[2:3], s[20:21]
	s_cbranch_execz .LBB282_20
.LBB282_23:                             ;   in Loop: Header=BB282_10 Depth=1
	s_waitcnt lgkmcnt(0)
	v_mov_b32_e32 v26, v30
	v_mov_b32_e32 v27, v29
	s_or_b64 exec, exec, s[2:3]
	s_and_saveexec_b64 s[20:21], s[0:1]
	s_cbranch_execz .LBB282_21
.LBB282_24:                             ;   in Loop: Header=BB282_10 Depth=1
	v_add_u32_e32 v28, s25, v20
	s_waitcnt lgkmcnt(1)
	v_ashrrev_i32_e32 v29, 31, v28
	v_cmp_le_i32_e64 s[2:3], s9, v26
	v_cmp_gt_i32_e64 s[4:5], s10, v26
	v_lshlrev_b64 v[28:29], 2, v[28:29]
	s_and_b64 s[4:5], s[2:3], s[4:5]
	v_mov_b32_e32 v31, s17
	s_waitcnt lgkmcnt(0)
	v_add_co_u32_e64 v30, s[2:3], s16, v28
	v_addc_co_u32_e64 v31, s[2:3], v31, v29, s[2:3]
	global_store_dword v[30:31], v27, off
	v_subrev_u32_e32 v30, s9, v26
	s_and_b64 s[2:3], s[18:19], s[4:5]
	v_cndmask_b32_e64 v32, 64, v30, s[2:3]
	v_mov_b32_e32 v31, s13
	v_add_co_u32_e64 v30, s[2:3], s12, v28
	v_addc_co_u32_e64 v31, s[2:3], v31, v29, s[2:3]
	global_store_dword v[30:31], v32, off
	v_mov_b32_e32 v30, s15
	v_add_co_u32_e64 v28, s[2:3], s14, v28
	v_add_f32_e32 v27, v19, v27
	v_addc_co_u32_e64 v29, s[2:3], v30, v29, s[2:3]
	v_cndmask_b32_e32 v19, v19, v27, vcc
	global_store_dword v[28:29], v25, off
	s_or_b64 exec, exec, s[20:21]
	s_add_i32 s25, s25, 1
	s_cmp_ge_i32 s25, s8
	s_cbranch_scc1 .LBB282_9
.LBB282_25:                             ;   in Loop: Header=BB282_10 Depth=1
	v_ashrrev_i32_e32 v28, 31, v26
	v_lshrrev_b32_e32 v27, 29, v28
	v_add_u32_e32 v27, v26, v27
	v_ashrrev_i32_e32 v27, 3, v27
	s_waitcnt lgkmcnt(1)
	v_lshrrev_b32_e32 v29, 29, v27
	v_add_u32_e32 v29, v27, v29
	v_and_b32_e32 v29, -8, v29
	v_sub_u32_e32 v29, v27, v29
	v_cmp_eq_u32_e64 s[2:3], v17, v29
	s_and_saveexec_b64 s[4:5], s[2:3]
	s_cbranch_execz .LBB282_8
; %bb.26:                               ;   in Loop: Header=BB282_10 Depth=1
	v_lshrrev_b32_e32 v28, 26, v28
	v_add_u32_e32 v28, v26, v28
	v_lshlrev_b32_e32 v27, 3, v27
	v_ashrrev_i32_e32 v28, 6, v28
	v_sub_u32_e32 v26, v26, v27
	v_lshl_add_u32 v26, v28, 3, v26
	v_cmp_ne_u32_e64 s[2:3], 7, v26
	v_cndmask_b32_e64 v15, v24, v15, s[2:3]
	v_cmp_ne_u32_e64 s[2:3], 6, v26
	v_cndmask_b32_e64 v14, v24, v14, s[2:3]
	v_cmp_ne_u32_e64 s[2:3], 5, v26
	v_cndmask_b32_e64 v13, v24, v13, s[2:3]
	v_cmp_ne_u32_e64 s[2:3], 4, v26
	v_cndmask_b32_e64 v12, v24, v12, s[2:3]
	v_cmp_ne_u32_e64 s[2:3], 3, v26
	v_cndmask_b32_e64 v11, v24, v11, s[2:3]
	v_cmp_ne_u32_e64 s[2:3], 2, v26
	v_cndmask_b32_e64 v10, v24, v10, s[2:3]
	v_cmp_ne_u32_e64 s[2:3], 1, v26
	v_cndmask_b32_e64 v9, v24, v9, s[2:3]
	v_cmp_ne_u32_e64 s[2:3], 0, v26
	v_cndmask_b32_e64 v8, v24, v8, s[2:3]
	s_branch .LBB282_8
.LBB282_27:
                                        ; implicit-def: $vgpr8_vgpr9_vgpr10_vgpr11_vgpr12_vgpr13_vgpr14_vgpr15
	s_andn2_b64 vcc, exec, s[8:9]
	s_cbranch_vccz .LBB282_5
	s_branch .LBB282_6
.LBB282_28:
	v_mov_b32_e32 v19, 0
.LBB282_29:
	v_cmp_eq_u32_e64 s[0:1], 0, v17
	s_and_b64 s[0:1], s[0:1], vcc
	s_and_b64 exec, exec, s[0:1]
	s_cbranch_execz .LBB282_38
; %bb.30:
	s_andn2_b64 vcc, exec, s[6:7]
	s_cbranch_vccnz .LBB282_38
; %bb.31:
	v_cmp_lt_f32_e32 vcc, 0, v19
	s_mov_b32 s2, 0
	v_cndmask_b32_e32 v0, 1.0, v19, vcc
	v_mul_lo_u32 v4, v16, s8
	s_cmp_eq_u32 s8, 1
	s_mov_b64 s[0:1], -1
	s_cbranch_scc1 .LBB282_35
; %bb.32:
	s_and_b32 s2, s8, 0x7ffffffe
	v_mov_b32_e32 v1, v0
	v_mov_b32_e32 v5, s17
	s_mov_b32 s3, s2
	v_mov_b32_e32 v2, v4
.LBB282_33:                             ; =>This Inner Loop Header: Depth=1
	v_ashrrev_i32_e32 v3, 31, v2
	v_lshlrev_b64 v[6:7], 2, v[2:3]
	v_add_co_u32_e32 v6, vcc, s16, v6
	v_addc_co_u32_e32 v7, vcc, v5, v7, vcc
	global_load_dwordx2 v[8:9], v[6:7], off
	s_add_i32 s3, s3, -2
	s_cmp_lg_u32 s3, 0
	v_add_u32_e32 v2, 2, v2
	s_waitcnt vmcnt(0)
	v_div_scale_f32 v3, s[0:1], v1, v1, v9
	v_div_scale_f32 v11, s[0:1], v0, v0, v8
	v_rcp_f32_e32 v12, v3
	v_rcp_f32_e32 v13, v11
	v_div_scale_f32 v10, vcc, v9, v1, v9
	v_fma_f32 v15, -v3, v12, 1.0
	v_fma_f32 v16, -v11, v13, 1.0
	v_fmac_f32_e32 v12, v15, v12
	v_div_scale_f32 v14, s[0:1], v8, v0, v8
	v_fmac_f32_e32 v13, v16, v13
	v_mul_f32_e32 v15, v10, v12
	v_mul_f32_e32 v16, v14, v13
	v_fma_f32 v17, -v3, v15, v10
	v_fma_f32 v18, -v11, v16, v14
	v_fmac_f32_e32 v15, v17, v12
	v_fmac_f32_e32 v16, v18, v13
	v_fma_f32 v3, -v3, v15, v10
	v_fma_f32 v10, -v11, v16, v14
	v_div_fmas_f32 v3, v3, v12, v15
	s_mov_b64 vcc, s[0:1]
	v_div_fixup_f32 v9, v3, v1, v9
	v_div_fmas_f32 v3, v10, v13, v16
	v_div_fixup_f32 v8, v3, v0, v8
	global_store_dwordx2 v[6:7], v[8:9], off
	s_cbranch_scc1 .LBB282_33
; %bb.34:
	s_cmp_lg_u32 s2, s8
	s_cselect_b64 s[0:1], -1, 0
.LBB282_35:
	s_and_b64 vcc, exec, s[0:1]
	s_cbranch_vccz .LBB282_38
; %bb.36:
	v_ashrrev_i32_e32 v1, 31, v4
	v_add_co_u32_e32 v2, vcc, s2, v4
	v_addc_co_u32_e32 v3, vcc, 0, v1, vcc
	v_lshlrev_b64 v[2:3], 2, v[2:3]
	v_mov_b32_e32 v1, s17
	v_add_co_u32_e32 v2, vcc, s16, v2
	s_sub_i32 s0, s8, s2
	v_addc_co_u32_e32 v3, vcc, v1, v3, vcc
.LBB282_37:                             ; =>This Inner Loop Header: Depth=1
	global_load_dword v1, v[2:3], off
	s_add_i32 s0, s0, -1
	s_cmp_lg_u32 s0, 0
	s_waitcnt vmcnt(0)
	v_div_scale_f32 v4, s[2:3], v0, v0, v1
	v_rcp_f32_e32 v5, v4
	v_div_scale_f32 v6, vcc, v1, v0, v1
	v_fma_f32 v7, -v4, v5, 1.0
	v_fmac_f32_e32 v5, v7, v5
	v_mul_f32_e32 v7, v6, v5
	v_fma_f32 v8, -v4, v7, v6
	v_fmac_f32_e32 v7, v8, v5
	v_fma_f32 v4, -v4, v7, v6
	v_div_fmas_f32 v4, v4, v5, v7
	v_div_fixup_f32 v1, v4, v0, v1
	global_store_dword v[2:3], v1, off
	v_add_co_u32_e32 v2, vcc, 4, v2
	v_addc_co_u32_e32 v3, vcc, 0, v3, vcc
	s_cbranch_scc1 .LBB282_37
.LBB282_38:
	s_endpgm
	.section	.rodata,"a",@progbits
	.p2align	6, 0x0
	.amdhsa_kernel _ZN4vllm3moe10topkGatingILi8ELi64ELi4ELi16ELi64Ej6__halfLNS0_11ScoringFuncE1EEEvPKT5_PKbPfiPT4_PiiiibPKf
		.amdhsa_group_segment_fixed_size 0
		.amdhsa_private_segment_fixed_size 0
		.amdhsa_kernarg_size 72
		.amdhsa_user_sgpr_count 6
		.amdhsa_user_sgpr_private_segment_buffer 1
		.amdhsa_user_sgpr_dispatch_ptr 0
		.amdhsa_user_sgpr_queue_ptr 0
		.amdhsa_user_sgpr_kernarg_segment_ptr 1
		.amdhsa_user_sgpr_dispatch_id 0
		.amdhsa_user_sgpr_flat_scratch_init 0
		.amdhsa_user_sgpr_kernarg_preload_length 0
		.amdhsa_user_sgpr_kernarg_preload_offset 0
		.amdhsa_user_sgpr_private_segment_size 0
		.amdhsa_uses_dynamic_stack 0
		.amdhsa_system_sgpr_private_segment_wavefront_offset 0
		.amdhsa_system_sgpr_workgroup_id_x 1
		.amdhsa_system_sgpr_workgroup_id_y 0
		.amdhsa_system_sgpr_workgroup_id_z 0
		.amdhsa_system_sgpr_workgroup_info 0
		.amdhsa_system_vgpr_workitem_id 1
		.amdhsa_next_free_vgpr 34
		.amdhsa_next_free_sgpr 26
		.amdhsa_accum_offset 36
		.amdhsa_reserve_vcc 1
		.amdhsa_reserve_flat_scratch 0
		.amdhsa_float_round_mode_32 0
		.amdhsa_float_round_mode_16_64 0
		.amdhsa_float_denorm_mode_32 3
		.amdhsa_float_denorm_mode_16_64 3
		.amdhsa_dx10_clamp 1
		.amdhsa_ieee_mode 1
		.amdhsa_fp16_overflow 0
		.amdhsa_tg_split 0
		.amdhsa_exception_fp_ieee_invalid_op 0
		.amdhsa_exception_fp_denorm_src 0
		.amdhsa_exception_fp_ieee_div_zero 0
		.amdhsa_exception_fp_ieee_overflow 0
		.amdhsa_exception_fp_ieee_underflow 0
		.amdhsa_exception_fp_ieee_inexact 0
		.amdhsa_exception_int_div_zero 0
	.end_amdhsa_kernel
	.section	.text._ZN4vllm3moe10topkGatingILi8ELi64ELi4ELi16ELi64Ej6__halfLNS0_11ScoringFuncE1EEEvPKT5_PKbPfiPT4_PiiiibPKf,"axG",@progbits,_ZN4vllm3moe10topkGatingILi8ELi64ELi4ELi16ELi64Ej6__halfLNS0_11ScoringFuncE1EEEvPKT5_PKbPfiPT4_PiiiibPKf,comdat
.Lfunc_end282:
	.size	_ZN4vllm3moe10topkGatingILi8ELi64ELi4ELi16ELi64Ej6__halfLNS0_11ScoringFuncE1EEEvPKT5_PKbPfiPT4_PiiiibPKf, .Lfunc_end282-_ZN4vllm3moe10topkGatingILi8ELi64ELi4ELi16ELi64Ej6__halfLNS0_11ScoringFuncE1EEEvPKT5_PKbPfiPT4_PiiiibPKf
                                        ; -- End function
	.section	.AMDGPU.csdata,"",@progbits
; Kernel info:
; codeLenInByte = 2872
; NumSgprs: 30
; NumVgprs: 34
; NumAgprs: 0
; TotalNumVgprs: 34
; ScratchSize: 0
; MemoryBound: 0
; FloatMode: 240
; IeeeMode: 1
; LDSByteSize: 0 bytes/workgroup (compile time only)
; SGPRBlocks: 3
; VGPRBlocks: 4
; NumSGPRsForWavesPerEU: 30
; NumVGPRsForWavesPerEU: 34
; AccumOffset: 36
; Occupancy: 8
; WaveLimiterHint : 0
; COMPUTE_PGM_RSRC2:SCRATCH_EN: 0
; COMPUTE_PGM_RSRC2:USER_SGPR: 6
; COMPUTE_PGM_RSRC2:TRAP_HANDLER: 0
; COMPUTE_PGM_RSRC2:TGID_X_EN: 1
; COMPUTE_PGM_RSRC2:TGID_Y_EN: 0
; COMPUTE_PGM_RSRC2:TGID_Z_EN: 0
; COMPUTE_PGM_RSRC2:TIDIG_COMP_CNT: 1
; COMPUTE_PGM_RSRC3_GFX90A:ACCUM_OFFSET: 8
; COMPUTE_PGM_RSRC3_GFX90A:TG_SPLIT: 0
	.section	.text._ZN4vllm3moe10topkGatingILi8ELi64ELi4ELi16ELi32Ej6__halfLNS0_11ScoringFuncE1EEEvPKT5_PKbPfiPT4_PiiiibPKf,"axG",@progbits,_ZN4vllm3moe10topkGatingILi8ELi64ELi4ELi16ELi32Ej6__halfLNS0_11ScoringFuncE1EEEvPKT5_PKbPfiPT4_PiiiibPKf,comdat
	.protected	_ZN4vllm3moe10topkGatingILi8ELi64ELi4ELi16ELi32Ej6__halfLNS0_11ScoringFuncE1EEEvPKT5_PKbPfiPT4_PiiiibPKf ; -- Begin function _ZN4vllm3moe10topkGatingILi8ELi64ELi4ELi16ELi32Ej6__halfLNS0_11ScoringFuncE1EEEvPKT5_PKbPfiPT4_PiiiibPKf
	.globl	_ZN4vllm3moe10topkGatingILi8ELi64ELi4ELi16ELi32Ej6__halfLNS0_11ScoringFuncE1EEEvPKT5_PKbPfiPT4_PiiiibPKf
	.p2align	8
	.type	_ZN4vllm3moe10topkGatingILi8ELi64ELi4ELi16ELi32Ej6__halfLNS0_11ScoringFuncE1EEEvPKT5_PKbPfiPT4_PiiiibPKf,@function
_ZN4vllm3moe10topkGatingILi8ELi64ELi4ELi16ELi32Ej6__halfLNS0_11ScoringFuncE1EEEvPKT5_PKbPfiPT4_PiiiibPKf: ; @_ZN4vllm3moe10topkGatingILi8ELi64ELi4ELi16ELi32Ej6__halfLNS0_11ScoringFuncE1EEEvPKT5_PKbPfiPT4_PiiiibPKf
; %bb.0:
	s_load_dword s24, s[4:5], 0x18
	v_bfe_u32 v1, v0, 10, 10
	v_and_b32_e32 v0, 0x3ff, v0
	s_lshl_b32 s0, s6, 4
	v_lshlrev_b32_e32 v1, 2, v1
	v_lshrrev_b32_e32 v2, 3, v0
	v_add3_u32 v16, s0, v1, v2
	s_waitcnt lgkmcnt(0)
	v_cmp_gt_i32_e32 vcc, s24, v16
	s_and_saveexec_b64 s[0:1], vcc
	s_cbranch_execz .LBB283_38
; %bb.1:
	s_load_dwordx4 s[0:3], s[4:5], 0x0
	s_load_dwordx2 s[16:17], s[4:5], 0x10
	s_mov_b64 s[8:9], -1
	s_mov_b64 s[18:19], -1
	s_waitcnt lgkmcnt(0)
	s_cmp_eq_u64 s[2:3], 0
	s_cbranch_scc1 .LBB283_3
; %bb.2:
	v_ashrrev_i32_e32 v1, 31, v16
	v_mov_b32_e32 v3, s3
	v_add_co_u32_e32 v2, vcc, s2, v16
	v_addc_co_u32_e32 v3, vcc, v3, v1, vcc
	global_load_ubyte v1, v[2:3], off
	s_waitcnt vmcnt(0)
	v_and_b32_e32 v1, 1, v1
	v_cmp_eq_u32_e32 vcc, 1, v1
	s_xor_b64 s[2:3], vcc, -1
	s_orn2_b64 s[18:19], s[2:3], exec
.LBB283_3:
	v_lshlrev_b32_e32 v2, 6, v16
	v_ashrrev_i32_e32 v3, 31, v2
	v_lshlrev_b64 v[2:3], 1, v[2:3]
	v_mov_b32_e32 v1, s1
	v_add_co_u32_e32 v2, vcc, s0, v2
	v_and_b32_e32 v17, 7, v0
	v_addc_co_u32_e32 v1, vcc, v1, v3, vcc
	v_lshlrev_b32_e32 v0, 4, v17
	v_add_co_u32_e32 v0, vcc, v2, v0
	v_addc_co_u32_e32 v1, vcc, 0, v1, vcc
	global_load_dwordx4 v[0:3], v[0:1], off
	v_mov_b32_e32 v8, 0x207
	s_load_dwordx2 s[10:11], s[4:5], 0x40
	v_lshlrev_b32_e32 v18, 3, v17
	s_waitcnt lgkmcnt(0)
	s_cmp_eq_u64 s[10:11], 0
	s_waitcnt vmcnt(0)
	v_cvt_f32_f16_e32 v4, v0
	v_cvt_f32_f16_sdwa v0, v0 dst_sel:DWORD dst_unused:UNUSED_PAD src0_sel:WORD_1
	v_cvt_f32_f16_e32 v5, v1
	v_cvt_f32_f16_sdwa v1, v1 dst_sel:DWORD dst_unused:UNUSED_PAD src0_sel:WORD_1
	v_mul_f32_e32 v4, 0xbfb8aa3b, v4
	v_mul_f32_e32 v9, 0xbfb8aa3b, v0
	v_cvt_f32_f16_e32 v6, v2
	v_cvt_f32_f16_sdwa v2, v2 dst_sel:DWORD dst_unused:UNUSED_PAD src0_sel:WORD_1
	v_cvt_f32_f16_e32 v7, v3
	v_cvt_f32_f16_sdwa v3, v3 dst_sel:DWORD dst_unused:UNUSED_PAD src0_sel:WORD_1
	v_mul_f32_e32 v10, 0xbfb8aa3b, v1
	v_exp_f32_e32 v0, v4
	v_exp_f32_e32 v1, v9
	v_mul_f32_e32 v5, 0xbfb8aa3b, v5
	v_mul_f32_e32 v11, 0xbfb8aa3b, v2
	;; [unrolled: 1-line block ×3, first 2 shown]
	v_exp_f32_e32 v2, v5
	v_exp_f32_e32 v3, v10
	v_pk_add_f32 v[0:1], v[0:1], 1.0 op_sel_hi:[1,0]
	v_div_scale_f32 v9, s[0:1], v1, v1, 1.0
	v_rcp_f32_e32 v21, v9
	v_exp_f32_e32 v5, v11
	v_div_scale_f32 v11, s[0:1], v0, v0, 1.0
	v_pk_add_f32 v[2:3], v[2:3], 1.0 op_sel_hi:[1,0]
	v_rcp_f32_e32 v22, v11
	v_div_scale_f32 v13, s[2:3], v3, v3, 1.0
	v_rcp_f32_e32 v23, v13
	v_fma_f32 v26, -v9, v21, 1.0
	v_div_scale_f32 v10, vcc, 1.0, v1, 1.0
	v_div_scale_f32 v15, s[6:7], v2, v2, 1.0
	v_fmac_f32_e32 v21, v26, v21
	v_mul_f32_e32 v6, 0xbfb8aa3b, v6
	v_mul_f32_e32 v7, 0xbfb8aa3b, v7
	v_rcp_f32_e32 v24, v15
	v_fma_f32 v27, -v11, v22, 1.0
	v_mul_f32_e32 v26, v10, v21
	v_exp_f32_e32 v4, v6
	v_exp_f32_e32 v6, v7
	;; [unrolled: 1-line block ×3, first 2 shown]
	v_div_scale_f32 v12, s[0:1], 1.0, v0, 1.0
	v_fmac_f32_e32 v22, v27, v22
	v_fma_f32 v30, -v9, v26, v10
	v_fma_f32 v28, -v13, v23, 1.0
	v_mul_f32_e32 v27, v12, v22
	v_fmac_f32_e32 v26, v30, v21
	v_div_scale_f32 v14, s[2:3], 1.0, v3, 1.0
	v_fmac_f32_e32 v23, v28, v23
	v_fma_f32 v31, -v11, v27, v12
	v_fma_f32 v9, -v9, v26, v10
	v_fma_f32 v29, -v15, v24, 1.0
	v_mul_f32_e32 v28, v14, v23
	v_fmac_f32_e32 v27, v31, v22
	v_div_fmas_f32 v9, v9, v21, v26
	v_div_scale_f32 v19, s[6:7], 1.0, v2, 1.0
	v_fmac_f32_e32 v24, v29, v24
	v_fma_f32 v32, -v13, v28, v14
	v_fma_f32 v10, -v11, v27, v12
	v_div_fixup_f32 v1, v9, v1, 1.0
	s_mov_b64 vcc, s[0:1]
	v_pk_add_f32 v[4:5], v[4:5], 1.0 op_sel_hi:[1,0]
	v_mul_f32_e32 v29, v19, v24
	v_fmac_f32_e32 v28, v32, v23
	v_div_fmas_f32 v9, v10, v22, v27
	v_cmp_class_f32_e32 vcc, v1, v8
	v_div_scale_f32 v20, s[12:13], v5, v5, 1.0
	v_fma_f32 v33, -v15, v29, v19
	v_fma_f32 v11, -v13, v28, v14
	v_div_fixup_f32 v0, v9, v0, 1.0
	v_cndmask_b32_e64 v1, v1, 0, vcc
	s_mov_b64 vcc, s[2:3]
	v_rcp_f32_e32 v25, v20
	v_fmac_f32_e32 v29, v33, v24
	v_div_fmas_f32 v9, v11, v23, v28
	v_cmp_class_f32_e32 vcc, v0, v8
	v_fma_f32 v12, -v15, v29, v19
	v_cndmask_b32_e64 v0, v0, 0, vcc
	s_mov_b64 vcc, s[6:7]
	v_div_fixup_f32 v3, v9, v3, 1.0
	v_div_fmas_f32 v9, v12, v24, v29
	v_div_fixup_f32 v2, v9, v2, 1.0
	v_cmp_class_f32_e32 vcc, v3, v8
	v_cndmask_b32_e64 v3, v3, 0, vcc
	v_cmp_class_f32_e32 vcc, v2, v8
	v_fma_f32 v9, -v20, v25, 1.0
	v_cndmask_b32_e64 v2, v2, 0, vcc
	v_fmac_f32_e32 v25, v9, v25
	v_div_scale_f32 v9, vcc, 1.0, v5, 1.0
	v_mul_f32_e32 v10, v9, v25
	v_fma_f32 v11, -v20, v10, v9
	v_fmac_f32_e32 v10, v11, v25
	v_div_scale_f32 v11, s[0:1], v4, v4, 1.0
	v_rcp_f32_e32 v12, v11
	v_fma_f32 v9, -v20, v10, v9
	v_div_fmas_f32 v9, v9, v25, v10
	v_div_fixup_f32 v5, v9, v5, 1.0
	v_fma_f32 v9, -v11, v12, 1.0
	v_fmac_f32_e32 v12, v9, v12
	v_div_scale_f32 v9, vcc, 1.0, v4, 1.0
	v_mul_f32_e32 v10, v9, v12
	v_fma_f32 v13, -v11, v10, v9
	v_fmac_f32_e32 v10, v13, v12
	v_fma_f32 v9, -v11, v10, v9
	v_div_fmas_f32 v9, v9, v12, v10
	v_pk_add_f32 v[6:7], v[6:7], 1.0 op_sel_hi:[1,0]
	v_div_fixup_f32 v4, v9, v4, 1.0
	v_div_scale_f32 v9, s[0:1], v7, v7, 1.0
	v_rcp_f32_e32 v10, v9
	v_cmp_class_f32_e32 vcc, v5, v8
	v_cndmask_b32_e64 v5, v5, 0, vcc
	v_cmp_class_f32_e32 vcc, v4, v8
	v_fma_f32 v11, -v9, v10, 1.0
	v_cndmask_b32_e64 v4, v4, 0, vcc
	v_fmac_f32_e32 v10, v11, v10
	v_div_scale_f32 v11, vcc, 1.0, v7, 1.0
	v_mul_f32_e32 v12, v11, v10
	v_fma_f32 v13, -v9, v12, v11
	v_fmac_f32_e32 v12, v13, v10
	v_fma_f32 v9, -v9, v12, v11
	v_div_scale_f32 v11, s[0:1], v6, v6, 1.0
	v_rcp_f32_e32 v13, v11
	v_div_fmas_f32 v9, v9, v10, v12
	v_div_fixup_f32 v7, v9, v7, 1.0
	v_fma_f32 v9, -v11, v13, 1.0
	v_fmac_f32_e32 v13, v9, v13
	v_div_scale_f32 v9, vcc, 1.0, v6, 1.0
	v_mul_f32_e32 v10, v9, v13
	v_fma_f32 v12, -v11, v10, v9
	v_fmac_f32_e32 v10, v12, v13
	v_fma_f32 v9, -v11, v10, v9
	v_div_fmas_f32 v9, v9, v13, v10
	v_div_fixup_f32 v6, v9, v6, 1.0
	v_cmp_class_f32_e32 vcc, v7, v8
	v_cndmask_b32_e64 v7, v7, 0, vcc
	v_cmp_class_f32_e32 vcc, v6, v8
	v_cndmask_b32_e64 v6, v6, 0, vcc
	s_cbranch_scc1 .LBB283_27
; %bb.4:
	v_lshlrev_b32_e32 v19, 2, v18
	global_load_dwordx4 v[8:11], v19, s[10:11]
	global_load_dwordx4 v[12:15], v19, s[10:11] offset:16
	s_waitcnt vmcnt(1)
	v_pk_add_f32 v[8:9], v[8:9], v[0:1]
	v_pk_add_f32 v[10:11], v[10:11], v[2:3]
	s_waitcnt vmcnt(0)
	v_pk_add_f32 v[12:13], v[12:13], v[4:5]
	v_pk_add_f32 v[14:15], v[14:15], v[6:7]
	s_cbranch_execnz .LBB283_6
.LBB283_5:
	v_pk_mov_b32 v[14:15], v[6:7], v[6:7] op_sel:[0,1]
	v_pk_mov_b32 v[12:13], v[4:5], v[4:5] op_sel:[0,1]
	;; [unrolled: 1-line block ×4, first 2 shown]
.LBB283_6:
	s_load_dwordx4 s[8:11], s[4:5], 0x30
	s_mov_b32 s25, 0
	v_cmp_eq_u32_e64 s[0:1], 0, v17
	s_waitcnt lgkmcnt(0)
	s_bitcmp1_b32 s11, 0
	s_cselect_b64 vcc, -1, 0
	s_cmp_gt_i32 s8, 0
	s_cselect_b64 s[6:7], -1, 0
	s_cmp_lt_i32 s8, 1
	s_cbranch_scc1 .LBB283_28
; %bb.7:
	v_mbcnt_lo_u32_b32 v19, -1, 0
	v_mbcnt_hi_u32_b32 v19, -1, v19
	v_and_b32_e32 v20, 0x78, v19
	v_add_u32_e32 v23, 8, v20
	v_xor_b32_e32 v21, 4, v19
	s_load_dwordx4 s[12:15], s[4:5], 0x20
	v_cmp_lt_i32_e64 s[2:3], v21, v23
	v_xor_b32_e32 v22, 2, v19
	v_cndmask_b32_e64 v21, v19, v21, s[2:3]
	v_cmp_lt_i32_e64 s[2:3], v22, v23
	v_xor_b32_e32 v24, 1, v19
	v_cndmask_b32_e64 v22, v19, v22, s[2:3]
	v_cmp_lt_i32_e64 s[2:3], v24, v23
	v_cndmask_b32_e64 v19, v19, v24, s[2:3]
	v_mul_lo_u32 v20, v16, s8
	v_lshlrev_b32_e32 v21, 2, v21
	v_lshlrev_b32_e32 v22, 2, v22
	;; [unrolled: 1-line block ×3, first 2 shown]
	v_mov_b32_e32 v19, 0
	v_mov_b32_e32 v24, 0xc61c4000
	;; [unrolled: 1-line block ×3, first 2 shown]
	s_branch .LBB283_10
.LBB283_8:                              ;   in Loop: Header=BB283_10 Depth=1
	s_or_b64 exec, exec, s[4:5]
.LBB283_9:                              ;   in Loop: Header=BB283_10 Depth=1
	s_cmp_eq_u32 s8, s25
	v_add_u32_e32 v25, s24, v25
	s_cbranch_scc1 .LBB283_29
.LBB283_10:                             ; =>This Inner Loop Header: Depth=1
	v_cmp_gt_f32_e64 s[2:3], v9, v8
	v_cndmask_b32_e64 v28, v8, v9, s[2:3]
	v_cndmask_b32_e64 v26, 0, 1, s[2:3]
	v_cndmask_b32_e64 v27, v0, v1, s[2:3]
	v_cmp_gt_f32_e64 s[2:3], v10, v28
	v_cndmask_b32_e64 v28, v28, v10, s[2:3]
	v_cndmask_b32_e64 v26, v26, 2, s[2:3]
	v_cndmask_b32_e64 v27, v27, v2, s[2:3]
	;; [unrolled: 4-line block ×6, first 2 shown]
	v_cmp_gt_f32_e64 s[2:3], v15, v28
	v_cndmask_b32_e64 v26, v26, 7, s[2:3]
	v_cndmask_b32_e64 v28, v28, v15, s[2:3]
	v_or_b32_e32 v26, v18, v26
	v_cndmask_b32_e64 v27, v27, v7, s[2:3]
	s_waitcnt lgkmcnt(0)
	ds_bpermute_b32 v29, v21, v28
	ds_bpermute_b32 v31, v21, v27
	ds_bpermute_b32 v30, v21, v26
	s_waitcnt lgkmcnt(0)
	v_cmp_lt_f32_e64 s[20:21], v28, v29
	v_cmp_nlt_f32_e64 s[2:3], v28, v29
	s_and_saveexec_b64 s[22:23], s[2:3]
; %bb.11:                               ;   in Loop: Header=BB283_10 Depth=1
	v_cmp_eq_f32_e64 s[2:3], v28, v29
	v_cmp_lt_i32_e64 s[4:5], v30, v26
	s_and_b64 s[2:3], s[2:3], s[4:5]
	s_andn2_b64 s[4:5], s[20:21], exec
	s_and_b64 s[2:3], s[2:3], exec
	s_or_b64 s[20:21], s[4:5], s[2:3]
; %bb.12:                               ;   in Loop: Header=BB283_10 Depth=1
	s_or_b64 exec, exec, s[22:23]
	s_and_saveexec_b64 s[2:3], s[20:21]
; %bb.13:                               ;   in Loop: Header=BB283_10 Depth=1
	v_mov_b32_e32 v27, v31
	v_mov_b32_e32 v28, v29
	;; [unrolled: 1-line block ×3, first 2 shown]
; %bb.14:                               ;   in Loop: Header=BB283_10 Depth=1
	s_or_b64 exec, exec, s[2:3]
	ds_bpermute_b32 v29, v22, v28
	ds_bpermute_b32 v31, v22, v27
	ds_bpermute_b32 v30, v22, v26
	s_waitcnt lgkmcnt(2)
	v_cmp_lt_f32_e64 s[20:21], v28, v29
	v_cmp_nlt_f32_e64 s[2:3], v28, v29
	s_and_saveexec_b64 s[22:23], s[2:3]
	s_cbranch_execz .LBB283_16
; %bb.15:                               ;   in Loop: Header=BB283_10 Depth=1
	v_cmp_eq_f32_e64 s[2:3], v28, v29
	s_waitcnt lgkmcnt(0)
	v_cmp_lt_i32_e64 s[4:5], v30, v26
	s_and_b64 s[2:3], s[2:3], s[4:5]
	s_andn2_b64 s[4:5], s[20:21], exec
	s_and_b64 s[2:3], s[2:3], exec
	s_or_b64 s[20:21], s[4:5], s[2:3]
.LBB283_16:                             ;   in Loop: Header=BB283_10 Depth=1
	s_or_b64 exec, exec, s[22:23]
	s_and_saveexec_b64 s[2:3], s[20:21]
	s_cbranch_execz .LBB283_18
; %bb.17:                               ;   in Loop: Header=BB283_10 Depth=1
	s_waitcnt lgkmcnt(1)
	v_mov_b32_e32 v27, v31
	v_mov_b32_e32 v28, v29
	s_waitcnt lgkmcnt(0)
	v_mov_b32_e32 v26, v30
.LBB283_18:                             ;   in Loop: Header=BB283_10 Depth=1
	s_or_b64 exec, exec, s[2:3]
	s_waitcnt lgkmcnt(1)
	ds_bpermute_b32 v31, v23, v28
	ds_bpermute_b32 v29, v23, v27
	s_waitcnt lgkmcnt(2)
	ds_bpermute_b32 v30, v23, v26
	s_waitcnt lgkmcnt(2)
	v_cmp_lt_f32_e64 s[20:21], v28, v31
	v_cmp_nlt_f32_e64 s[2:3], v28, v31
	s_and_saveexec_b64 s[22:23], s[2:3]
	s_cbranch_execnz .LBB283_22
; %bb.19:                               ;   in Loop: Header=BB283_10 Depth=1
	s_or_b64 exec, exec, s[22:23]
	s_and_saveexec_b64 s[2:3], s[20:21]
	s_cbranch_execnz .LBB283_23
.LBB283_20:                             ;   in Loop: Header=BB283_10 Depth=1
	s_or_b64 exec, exec, s[2:3]
	s_and_saveexec_b64 s[20:21], s[0:1]
	s_cbranch_execnz .LBB283_24
.LBB283_21:                             ;   in Loop: Header=BB283_10 Depth=1
	s_or_b64 exec, exec, s[20:21]
	s_add_i32 s25, s25, 1
	s_cmp_ge_i32 s25, s8
	s_cbranch_scc1 .LBB283_9
	s_branch .LBB283_25
.LBB283_22:                             ;   in Loop: Header=BB283_10 Depth=1
	v_cmp_eq_f32_e64 s[2:3], v28, v31
	s_waitcnt lgkmcnt(0)
	v_cmp_lt_i32_e64 s[4:5], v30, v26
	s_and_b64 s[2:3], s[2:3], s[4:5]
	s_andn2_b64 s[4:5], s[20:21], exec
	s_and_b64 s[2:3], s[2:3], exec
	s_or_b64 s[20:21], s[4:5], s[2:3]
	s_or_b64 exec, exec, s[22:23]
	s_and_saveexec_b64 s[2:3], s[20:21]
	s_cbranch_execz .LBB283_20
.LBB283_23:                             ;   in Loop: Header=BB283_10 Depth=1
	s_waitcnt lgkmcnt(0)
	v_mov_b32_e32 v26, v30
	v_mov_b32_e32 v27, v29
	s_or_b64 exec, exec, s[2:3]
	s_and_saveexec_b64 s[20:21], s[0:1]
	s_cbranch_execz .LBB283_21
.LBB283_24:                             ;   in Loop: Header=BB283_10 Depth=1
	v_add_u32_e32 v28, s25, v20
	s_waitcnt lgkmcnt(1)
	v_ashrrev_i32_e32 v29, 31, v28
	v_cmp_le_i32_e64 s[2:3], s9, v26
	v_cmp_gt_i32_e64 s[4:5], s10, v26
	v_lshlrev_b64 v[28:29], 2, v[28:29]
	s_and_b64 s[4:5], s[2:3], s[4:5]
	v_mov_b32_e32 v31, s17
	s_waitcnt lgkmcnt(0)
	v_add_co_u32_e64 v30, s[2:3], s16, v28
	v_addc_co_u32_e64 v31, s[2:3], v31, v29, s[2:3]
	global_store_dword v[30:31], v27, off
	v_subrev_u32_e32 v30, s9, v26
	s_and_b64 s[2:3], s[18:19], s[4:5]
	v_cndmask_b32_e64 v32, 64, v30, s[2:3]
	v_mov_b32_e32 v31, s13
	v_add_co_u32_e64 v30, s[2:3], s12, v28
	v_addc_co_u32_e64 v31, s[2:3], v31, v29, s[2:3]
	global_store_dword v[30:31], v32, off
	v_mov_b32_e32 v30, s15
	v_add_co_u32_e64 v28, s[2:3], s14, v28
	v_add_f32_e32 v27, v19, v27
	v_addc_co_u32_e64 v29, s[2:3], v30, v29, s[2:3]
	v_cndmask_b32_e32 v19, v19, v27, vcc
	global_store_dword v[28:29], v25, off
	s_or_b64 exec, exec, s[20:21]
	s_add_i32 s25, s25, 1
	s_cmp_ge_i32 s25, s8
	s_cbranch_scc1 .LBB283_9
.LBB283_25:                             ;   in Loop: Header=BB283_10 Depth=1
	v_ashrrev_i32_e32 v28, 31, v26
	v_lshrrev_b32_e32 v27, 29, v28
	v_add_u32_e32 v27, v26, v27
	v_ashrrev_i32_e32 v27, 3, v27
	s_waitcnt lgkmcnt(1)
	v_lshrrev_b32_e32 v29, 29, v27
	v_add_u32_e32 v29, v27, v29
	v_and_b32_e32 v29, -8, v29
	v_sub_u32_e32 v29, v27, v29
	v_cmp_eq_u32_e64 s[2:3], v17, v29
	s_and_saveexec_b64 s[4:5], s[2:3]
	s_cbranch_execz .LBB283_8
; %bb.26:                               ;   in Loop: Header=BB283_10 Depth=1
	v_lshrrev_b32_e32 v28, 26, v28
	v_add_u32_e32 v28, v26, v28
	v_lshlrev_b32_e32 v27, 3, v27
	v_ashrrev_i32_e32 v28, 6, v28
	v_sub_u32_e32 v26, v26, v27
	v_lshl_add_u32 v26, v28, 3, v26
	v_cmp_ne_u32_e64 s[2:3], 7, v26
	v_cndmask_b32_e64 v15, v24, v15, s[2:3]
	v_cmp_ne_u32_e64 s[2:3], 6, v26
	v_cndmask_b32_e64 v14, v24, v14, s[2:3]
	;; [unrolled: 2-line block ×8, first 2 shown]
	s_branch .LBB283_8
.LBB283_27:
                                        ; implicit-def: $vgpr8_vgpr9_vgpr10_vgpr11_vgpr12_vgpr13_vgpr14_vgpr15
	s_andn2_b64 vcc, exec, s[8:9]
	s_cbranch_vccz .LBB283_5
	s_branch .LBB283_6
.LBB283_28:
	v_mov_b32_e32 v19, 0
.LBB283_29:
	v_cmp_eq_u32_e64 s[0:1], 0, v17
	s_and_b64 s[0:1], s[0:1], vcc
	s_and_b64 exec, exec, s[0:1]
	s_cbranch_execz .LBB283_38
; %bb.30:
	s_andn2_b64 vcc, exec, s[6:7]
	s_cbranch_vccnz .LBB283_38
; %bb.31:
	v_cmp_lt_f32_e32 vcc, 0, v19
	s_mov_b32 s2, 0
	v_cndmask_b32_e32 v0, 1.0, v19, vcc
	v_mul_lo_u32 v4, v16, s8
	s_cmp_eq_u32 s8, 1
	s_mov_b64 s[0:1], -1
	s_cbranch_scc1 .LBB283_35
; %bb.32:
	s_and_b32 s2, s8, 0x7ffffffe
	v_mov_b32_e32 v1, v0
	v_mov_b32_e32 v5, s17
	s_mov_b32 s3, s2
	v_mov_b32_e32 v2, v4
.LBB283_33:                             ; =>This Inner Loop Header: Depth=1
	v_ashrrev_i32_e32 v3, 31, v2
	v_lshlrev_b64 v[6:7], 2, v[2:3]
	v_add_co_u32_e32 v6, vcc, s16, v6
	v_addc_co_u32_e32 v7, vcc, v5, v7, vcc
	global_load_dwordx2 v[8:9], v[6:7], off
	s_add_i32 s3, s3, -2
	s_cmp_lg_u32 s3, 0
	v_add_u32_e32 v2, 2, v2
	s_waitcnt vmcnt(0)
	v_div_scale_f32 v3, s[0:1], v1, v1, v9
	v_div_scale_f32 v11, s[0:1], v0, v0, v8
	v_rcp_f32_e32 v12, v3
	v_rcp_f32_e32 v13, v11
	v_div_scale_f32 v10, vcc, v9, v1, v9
	v_fma_f32 v15, -v3, v12, 1.0
	v_fma_f32 v16, -v11, v13, 1.0
	v_fmac_f32_e32 v12, v15, v12
	v_div_scale_f32 v14, s[0:1], v8, v0, v8
	v_fmac_f32_e32 v13, v16, v13
	v_mul_f32_e32 v15, v10, v12
	v_mul_f32_e32 v16, v14, v13
	v_fma_f32 v17, -v3, v15, v10
	v_fma_f32 v18, -v11, v16, v14
	v_fmac_f32_e32 v15, v17, v12
	v_fmac_f32_e32 v16, v18, v13
	v_fma_f32 v3, -v3, v15, v10
	v_fma_f32 v10, -v11, v16, v14
	v_div_fmas_f32 v3, v3, v12, v15
	s_mov_b64 vcc, s[0:1]
	v_div_fixup_f32 v9, v3, v1, v9
	v_div_fmas_f32 v3, v10, v13, v16
	v_div_fixup_f32 v8, v3, v0, v8
	global_store_dwordx2 v[6:7], v[8:9], off
	s_cbranch_scc1 .LBB283_33
; %bb.34:
	s_cmp_lg_u32 s2, s8
	s_cselect_b64 s[0:1], -1, 0
.LBB283_35:
	s_and_b64 vcc, exec, s[0:1]
	s_cbranch_vccz .LBB283_38
; %bb.36:
	v_ashrrev_i32_e32 v1, 31, v4
	v_add_co_u32_e32 v2, vcc, s2, v4
	v_addc_co_u32_e32 v3, vcc, 0, v1, vcc
	v_lshlrev_b64 v[2:3], 2, v[2:3]
	v_mov_b32_e32 v1, s17
	v_add_co_u32_e32 v2, vcc, s16, v2
	s_sub_i32 s0, s8, s2
	v_addc_co_u32_e32 v3, vcc, v1, v3, vcc
.LBB283_37:                             ; =>This Inner Loop Header: Depth=1
	global_load_dword v1, v[2:3], off
	s_add_i32 s0, s0, -1
	s_cmp_lg_u32 s0, 0
	s_waitcnt vmcnt(0)
	v_div_scale_f32 v4, s[2:3], v0, v0, v1
	v_rcp_f32_e32 v5, v4
	v_div_scale_f32 v6, vcc, v1, v0, v1
	v_fma_f32 v7, -v4, v5, 1.0
	v_fmac_f32_e32 v5, v7, v5
	v_mul_f32_e32 v7, v6, v5
	v_fma_f32 v8, -v4, v7, v6
	v_fmac_f32_e32 v7, v8, v5
	v_fma_f32 v4, -v4, v7, v6
	v_div_fmas_f32 v4, v4, v5, v7
	v_div_fixup_f32 v1, v4, v0, v1
	global_store_dword v[2:3], v1, off
	v_add_co_u32_e32 v2, vcc, 4, v2
	v_addc_co_u32_e32 v3, vcc, 0, v3, vcc
	s_cbranch_scc1 .LBB283_37
.LBB283_38:
	s_endpgm
	.section	.rodata,"a",@progbits
	.p2align	6, 0x0
	.amdhsa_kernel _ZN4vllm3moe10topkGatingILi8ELi64ELi4ELi16ELi32Ej6__halfLNS0_11ScoringFuncE1EEEvPKT5_PKbPfiPT4_PiiiibPKf
		.amdhsa_group_segment_fixed_size 0
		.amdhsa_private_segment_fixed_size 0
		.amdhsa_kernarg_size 72
		.amdhsa_user_sgpr_count 6
		.amdhsa_user_sgpr_private_segment_buffer 1
		.amdhsa_user_sgpr_dispatch_ptr 0
		.amdhsa_user_sgpr_queue_ptr 0
		.amdhsa_user_sgpr_kernarg_segment_ptr 1
		.amdhsa_user_sgpr_dispatch_id 0
		.amdhsa_user_sgpr_flat_scratch_init 0
		.amdhsa_user_sgpr_kernarg_preload_length 0
		.amdhsa_user_sgpr_kernarg_preload_offset 0
		.amdhsa_user_sgpr_private_segment_size 0
		.amdhsa_uses_dynamic_stack 0
		.amdhsa_system_sgpr_private_segment_wavefront_offset 0
		.amdhsa_system_sgpr_workgroup_id_x 1
		.amdhsa_system_sgpr_workgroup_id_y 0
		.amdhsa_system_sgpr_workgroup_id_z 0
		.amdhsa_system_sgpr_workgroup_info 0
		.amdhsa_system_vgpr_workitem_id 1
		.amdhsa_next_free_vgpr 34
		.amdhsa_next_free_sgpr 26
		.amdhsa_accum_offset 36
		.amdhsa_reserve_vcc 1
		.amdhsa_reserve_flat_scratch 0
		.amdhsa_float_round_mode_32 0
		.amdhsa_float_round_mode_16_64 0
		.amdhsa_float_denorm_mode_32 3
		.amdhsa_float_denorm_mode_16_64 3
		.amdhsa_dx10_clamp 1
		.amdhsa_ieee_mode 1
		.amdhsa_fp16_overflow 0
		.amdhsa_tg_split 0
		.amdhsa_exception_fp_ieee_invalid_op 0
		.amdhsa_exception_fp_denorm_src 0
		.amdhsa_exception_fp_ieee_div_zero 0
		.amdhsa_exception_fp_ieee_overflow 0
		.amdhsa_exception_fp_ieee_underflow 0
		.amdhsa_exception_fp_ieee_inexact 0
		.amdhsa_exception_int_div_zero 0
	.end_amdhsa_kernel
	.section	.text._ZN4vllm3moe10topkGatingILi8ELi64ELi4ELi16ELi32Ej6__halfLNS0_11ScoringFuncE1EEEvPKT5_PKbPfiPT4_PiiiibPKf,"axG",@progbits,_ZN4vllm3moe10topkGatingILi8ELi64ELi4ELi16ELi32Ej6__halfLNS0_11ScoringFuncE1EEEvPKT5_PKbPfiPT4_PiiiibPKf,comdat
.Lfunc_end283:
	.size	_ZN4vllm3moe10topkGatingILi8ELi64ELi4ELi16ELi32Ej6__halfLNS0_11ScoringFuncE1EEEvPKT5_PKbPfiPT4_PiiiibPKf, .Lfunc_end283-_ZN4vllm3moe10topkGatingILi8ELi64ELi4ELi16ELi32Ej6__halfLNS0_11ScoringFuncE1EEEvPKT5_PKbPfiPT4_PiiiibPKf
                                        ; -- End function
	.section	.AMDGPU.csdata,"",@progbits
; Kernel info:
; codeLenInByte = 2872
; NumSgprs: 30
; NumVgprs: 34
; NumAgprs: 0
; TotalNumVgprs: 34
; ScratchSize: 0
; MemoryBound: 0
; FloatMode: 240
; IeeeMode: 1
; LDSByteSize: 0 bytes/workgroup (compile time only)
; SGPRBlocks: 3
; VGPRBlocks: 4
; NumSGPRsForWavesPerEU: 30
; NumVGPRsForWavesPerEU: 34
; AccumOffset: 36
; Occupancy: 8
; WaveLimiterHint : 0
; COMPUTE_PGM_RSRC2:SCRATCH_EN: 0
; COMPUTE_PGM_RSRC2:USER_SGPR: 6
; COMPUTE_PGM_RSRC2:TRAP_HANDLER: 0
; COMPUTE_PGM_RSRC2:TGID_X_EN: 1
; COMPUTE_PGM_RSRC2:TGID_Y_EN: 0
; COMPUTE_PGM_RSRC2:TGID_Z_EN: 0
; COMPUTE_PGM_RSRC2:TIDIG_COMP_CNT: 1
; COMPUTE_PGM_RSRC3_GFX90A:ACCUM_OFFSET: 8
; COMPUTE_PGM_RSRC3_GFX90A:TG_SPLIT: 0
	.section	.text._ZN4vllm3moe10topkGatingILi8ELi128ELi4ELi16ELi64Ej6__halfLNS0_11ScoringFuncE1EEEvPKT5_PKbPfiPT4_PiiiibPKf,"axG",@progbits,_ZN4vllm3moe10topkGatingILi8ELi128ELi4ELi16ELi64Ej6__halfLNS0_11ScoringFuncE1EEEvPKT5_PKbPfiPT4_PiiiibPKf,comdat
	.protected	_ZN4vllm3moe10topkGatingILi8ELi128ELi4ELi16ELi64Ej6__halfLNS0_11ScoringFuncE1EEEvPKT5_PKbPfiPT4_PiiiibPKf ; -- Begin function _ZN4vllm3moe10topkGatingILi8ELi128ELi4ELi16ELi64Ej6__halfLNS0_11ScoringFuncE1EEEvPKT5_PKbPfiPT4_PiiiibPKf
	.globl	_ZN4vllm3moe10topkGatingILi8ELi128ELi4ELi16ELi64Ej6__halfLNS0_11ScoringFuncE1EEEvPKT5_PKbPfiPT4_PiiiibPKf
	.p2align	8
	.type	_ZN4vllm3moe10topkGatingILi8ELi128ELi4ELi16ELi64Ej6__halfLNS0_11ScoringFuncE1EEEvPKT5_PKbPfiPT4_PiiiibPKf,@function
_ZN4vllm3moe10topkGatingILi8ELi128ELi4ELi16ELi64Ej6__halfLNS0_11ScoringFuncE1EEEvPKT5_PKbPfiPT4_PiiiibPKf: ; @_ZN4vllm3moe10topkGatingILi8ELi128ELi4ELi16ELi64Ej6__halfLNS0_11ScoringFuncE1EEEvPKT5_PKbPfiPT4_PiiiibPKf
; %bb.0:
	s_load_dword s24, s[4:5], 0x18
	v_bfe_u32 v1, v0, 10, 10
	v_and_b32_e32 v0, 0x3ff, v0
	s_lshl_b32 s0, s6, 4
	v_lshlrev_b32_e32 v1, 2, v1
	v_lshrrev_b32_e32 v2, 4, v0
	v_add3_u32 v17, s0, v1, v2
	s_waitcnt lgkmcnt(0)
	v_cmp_gt_i32_e32 vcc, s24, v17
	s_and_saveexec_b64 s[0:1], vcc
	s_cbranch_execz .LBB284_38
; %bb.1:
	s_load_dwordx4 s[0:3], s[4:5], 0x0
	s_load_dwordx2 s[16:17], s[4:5], 0x10
	s_mov_b64 s[8:9], -1
	s_mov_b64 s[18:19], -1
	s_waitcnt lgkmcnt(0)
	s_cmp_eq_u64 s[2:3], 0
	s_cbranch_scc1 .LBB284_3
; %bb.2:
	v_ashrrev_i32_e32 v1, 31, v17
	v_mov_b32_e32 v3, s3
	v_add_co_u32_e32 v2, vcc, s2, v17
	v_addc_co_u32_e32 v3, vcc, v3, v1, vcc
	global_load_ubyte v1, v[2:3], off
	s_waitcnt vmcnt(0)
	v_and_b32_e32 v1, 1, v1
	v_cmp_eq_u32_e32 vcc, 1, v1
	s_xor_b64 s[2:3], vcc, -1
	s_orn2_b64 s[18:19], s[2:3], exec
.LBB284_3:
	v_lshlrev_b32_e32 v2, 7, v17
	v_ashrrev_i32_e32 v3, 31, v2
	v_lshlrev_b64 v[2:3], 1, v[2:3]
	v_mov_b32_e32 v1, s1
	v_add_co_u32_e32 v2, vcc, s0, v2
	v_and_b32_e32 v21, 15, v0
	v_addc_co_u32_e32 v1, vcc, v1, v3, vcc
	v_lshlrev_b32_e32 v0, 4, v21
	v_add_co_u32_e32 v0, vcc, v2, v0
	v_addc_co_u32_e32 v1, vcc, 0, v1, vcc
	global_load_dwordx4 v[0:3], v[0:1], off
	v_mov_b32_e32 v8, 0x207
	s_load_dwordx2 s[10:11], s[4:5], 0x40
	v_lshlrev_b32_e32 v22, 3, v21
	s_waitcnt lgkmcnt(0)
	s_cmp_eq_u64 s[10:11], 0
	s_waitcnt vmcnt(0)
	v_cvt_f32_f16_e32 v4, v0
	v_cvt_f32_f16_sdwa v0, v0 dst_sel:DWORD dst_unused:UNUSED_PAD src0_sel:WORD_1
	v_cvt_f32_f16_e32 v5, v1
	v_cvt_f32_f16_sdwa v1, v1 dst_sel:DWORD dst_unused:UNUSED_PAD src0_sel:WORD_1
	v_mul_f32_e32 v4, 0xbfb8aa3b, v4
	v_mul_f32_e32 v9, 0xbfb8aa3b, v0
	v_cvt_f32_f16_e32 v6, v2
	v_cvt_f32_f16_sdwa v2, v2 dst_sel:DWORD dst_unused:UNUSED_PAD src0_sel:WORD_1
	v_cvt_f32_f16_e32 v7, v3
	v_cvt_f32_f16_sdwa v3, v3 dst_sel:DWORD dst_unused:UNUSED_PAD src0_sel:WORD_1
	v_mul_f32_e32 v10, 0xbfb8aa3b, v1
	v_exp_f32_e32 v0, v4
	v_exp_f32_e32 v1, v9
	v_mul_f32_e32 v5, 0xbfb8aa3b, v5
	v_mul_f32_e32 v11, 0xbfb8aa3b, v2
	;; [unrolled: 1-line block ×3, first 2 shown]
	v_exp_f32_e32 v2, v5
	v_exp_f32_e32 v3, v10
	v_pk_add_f32 v[0:1], v[0:1], 1.0 op_sel_hi:[1,0]
	v_div_scale_f32 v9, s[0:1], v1, v1, 1.0
	v_rcp_f32_e32 v19, v9
	v_exp_f32_e32 v5, v11
	v_div_scale_f32 v11, s[0:1], v0, v0, 1.0
	v_pk_add_f32 v[2:3], v[2:3], 1.0 op_sel_hi:[1,0]
	v_rcp_f32_e32 v20, v11
	v_div_scale_f32 v13, s[2:3], v3, v3, 1.0
	v_rcp_f32_e32 v23, v13
	v_fma_f32 v26, -v9, v19, 1.0
	v_div_scale_f32 v10, vcc, 1.0, v1, 1.0
	v_div_scale_f32 v15, s[6:7], v2, v2, 1.0
	v_fmac_f32_e32 v19, v26, v19
	v_mul_f32_e32 v6, 0xbfb8aa3b, v6
	v_mul_f32_e32 v7, 0xbfb8aa3b, v7
	v_rcp_f32_e32 v24, v15
	v_fma_f32 v27, -v11, v20, 1.0
	v_mul_f32_e32 v26, v10, v19
	v_exp_f32_e32 v4, v6
	v_exp_f32_e32 v6, v7
	;; [unrolled: 1-line block ×3, first 2 shown]
	v_div_scale_f32 v12, s[0:1], 1.0, v0, 1.0
	v_fmac_f32_e32 v20, v27, v20
	v_fma_f32 v30, -v9, v26, v10
	v_fma_f32 v28, -v13, v23, 1.0
	v_mul_f32_e32 v27, v12, v20
	v_fmac_f32_e32 v26, v30, v19
	v_div_scale_f32 v14, s[2:3], 1.0, v3, 1.0
	v_fmac_f32_e32 v23, v28, v23
	v_fma_f32 v31, -v11, v27, v12
	v_fma_f32 v9, -v9, v26, v10
	v_fma_f32 v29, -v15, v24, 1.0
	v_mul_f32_e32 v28, v14, v23
	v_fmac_f32_e32 v27, v31, v20
	v_div_fmas_f32 v9, v9, v19, v26
	v_div_scale_f32 v16, s[6:7], 1.0, v2, 1.0
	v_fmac_f32_e32 v24, v29, v24
	v_fma_f32 v32, -v13, v28, v14
	v_fma_f32 v10, -v11, v27, v12
	v_div_fixup_f32 v1, v9, v1, 1.0
	s_mov_b64 vcc, s[0:1]
	v_pk_add_f32 v[4:5], v[4:5], 1.0 op_sel_hi:[1,0]
	v_mul_f32_e32 v29, v16, v24
	v_fmac_f32_e32 v28, v32, v23
	v_div_fmas_f32 v9, v10, v20, v27
	v_cmp_class_f32_e32 vcc, v1, v8
	v_div_scale_f32 v18, s[12:13], v5, v5, 1.0
	v_fma_f32 v33, -v15, v29, v16
	v_fma_f32 v11, -v13, v28, v14
	v_div_fixup_f32 v0, v9, v0, 1.0
	v_cndmask_b32_e64 v1, v1, 0, vcc
	s_mov_b64 vcc, s[2:3]
	v_rcp_f32_e32 v25, v18
	v_fmac_f32_e32 v29, v33, v24
	v_div_fmas_f32 v9, v11, v23, v28
	v_cmp_class_f32_e32 vcc, v0, v8
	v_fma_f32 v12, -v15, v29, v16
	v_cndmask_b32_e64 v0, v0, 0, vcc
	s_mov_b64 vcc, s[6:7]
	v_div_fixup_f32 v3, v9, v3, 1.0
	v_div_fmas_f32 v9, v12, v24, v29
	v_div_fixup_f32 v2, v9, v2, 1.0
	v_cmp_class_f32_e32 vcc, v3, v8
	v_cndmask_b32_e64 v3, v3, 0, vcc
	v_cmp_class_f32_e32 vcc, v2, v8
	v_fma_f32 v9, -v18, v25, 1.0
	v_cndmask_b32_e64 v2, v2, 0, vcc
	v_fmac_f32_e32 v25, v9, v25
	v_div_scale_f32 v9, vcc, 1.0, v5, 1.0
	v_mul_f32_e32 v10, v9, v25
	v_fma_f32 v11, -v18, v10, v9
	v_fmac_f32_e32 v10, v11, v25
	v_div_scale_f32 v11, s[0:1], v4, v4, 1.0
	v_rcp_f32_e32 v12, v11
	v_fma_f32 v9, -v18, v10, v9
	v_div_fmas_f32 v9, v9, v25, v10
	v_div_fixup_f32 v5, v9, v5, 1.0
	v_fma_f32 v9, -v11, v12, 1.0
	v_fmac_f32_e32 v12, v9, v12
	v_div_scale_f32 v9, vcc, 1.0, v4, 1.0
	v_mul_f32_e32 v10, v9, v12
	v_fma_f32 v13, -v11, v10, v9
	v_fmac_f32_e32 v10, v13, v12
	v_fma_f32 v9, -v11, v10, v9
	v_div_fmas_f32 v9, v9, v12, v10
	v_pk_add_f32 v[6:7], v[6:7], 1.0 op_sel_hi:[1,0]
	v_div_fixup_f32 v4, v9, v4, 1.0
	v_div_scale_f32 v9, s[0:1], v7, v7, 1.0
	v_rcp_f32_e32 v10, v9
	v_cmp_class_f32_e32 vcc, v5, v8
	v_cndmask_b32_e64 v5, v5, 0, vcc
	v_cmp_class_f32_e32 vcc, v4, v8
	v_fma_f32 v11, -v9, v10, 1.0
	v_cndmask_b32_e64 v4, v4, 0, vcc
	v_fmac_f32_e32 v10, v11, v10
	v_div_scale_f32 v11, vcc, 1.0, v7, 1.0
	v_mul_f32_e32 v12, v11, v10
	v_fma_f32 v13, -v9, v12, v11
	v_fmac_f32_e32 v12, v13, v10
	v_fma_f32 v9, -v9, v12, v11
	v_div_scale_f32 v11, s[0:1], v6, v6, 1.0
	v_rcp_f32_e32 v13, v11
	v_div_fmas_f32 v9, v9, v10, v12
	v_div_fixup_f32 v7, v9, v7, 1.0
	v_fma_f32 v9, -v11, v13, 1.0
	v_fmac_f32_e32 v13, v9, v13
	v_div_scale_f32 v9, vcc, 1.0, v6, 1.0
	v_mul_f32_e32 v10, v9, v13
	v_fma_f32 v12, -v11, v10, v9
	v_fmac_f32_e32 v10, v12, v13
	v_fma_f32 v9, -v11, v10, v9
	v_div_fmas_f32 v9, v9, v13, v10
	v_div_fixup_f32 v6, v9, v6, 1.0
	v_cmp_class_f32_e32 vcc, v7, v8
	v_cndmask_b32_e64 v7, v7, 0, vcc
	v_cmp_class_f32_e32 vcc, v6, v8
	v_cndmask_b32_e64 v6, v6, 0, vcc
	s_cbranch_scc1 .LBB284_27
; %bb.4:
	v_lshlrev_b32_e32 v16, 2, v22
	global_load_dwordx4 v[8:11], v16, s[10:11]
	global_load_dwordx4 v[12:15], v16, s[10:11] offset:16
	s_waitcnt vmcnt(1)
	v_pk_add_f32 v[8:9], v[8:9], v[0:1]
	v_pk_add_f32 v[10:11], v[10:11], v[2:3]
	s_waitcnt vmcnt(0)
	v_pk_add_f32 v[12:13], v[12:13], v[4:5]
	v_pk_add_f32 v[14:15], v[14:15], v[6:7]
	s_cbranch_execnz .LBB284_6
.LBB284_5:
	v_pk_mov_b32 v[14:15], v[6:7], v[6:7] op_sel:[0,1]
	v_pk_mov_b32 v[12:13], v[4:5], v[4:5] op_sel:[0,1]
	;; [unrolled: 1-line block ×4, first 2 shown]
.LBB284_6:
	s_load_dwordx4 s[8:11], s[4:5], 0x30
	s_mov_b32 s25, 0
	v_cmp_eq_u32_e64 s[0:1], 0, v21
	s_waitcnt lgkmcnt(0)
	s_bitcmp1_b32 s11, 0
	s_cselect_b64 vcc, -1, 0
	s_cmp_gt_i32 s8, 0
	s_cselect_b64 s[20:21], -1, 0
	s_cmp_lt_i32 s8, 1
	s_cbranch_scc1 .LBB284_28
; %bb.7:
	v_mbcnt_lo_u32_b32 v16, -1, 0
	v_mbcnt_hi_u32_b32 v16, -1, v16
	v_and_b32_e32 v18, 0x70, v16
	v_add_u32_e32 v18, 16, v18
	v_xor_b32_e32 v19, 8, v16
	v_cmp_lt_i32_e64 s[2:3], v19, v18
	v_cndmask_b32_e64 v19, v16, v19, s[2:3]
	v_lshlrev_b32_e32 v25, 2, v19
	v_xor_b32_e32 v19, 4, v16
	v_cmp_lt_i32_e64 s[2:3], v19, v18
	v_cndmask_b32_e64 v19, v16, v19, s[2:3]
	v_lshlrev_b32_e32 v26, 2, v19
	v_xor_b32_e32 v19, 2, v16
	v_cmp_lt_i32_e64 s[2:3], v19, v18
	s_load_dwordx4 s[12:15], s[4:5], 0x20
	v_cndmask_b32_e64 v19, v16, v19, s[2:3]
	v_lshlrev_b32_e32 v27, 2, v19
	v_xor_b32_e32 v19, 1, v16
	v_cmp_lt_i32_e64 s[2:3], v19, v18
	v_cndmask_b32_e64 v16, v16, v19, s[2:3]
	v_mul_lo_u32 v24, v17, s8
	v_lshlrev_b32_e32 v28, 2, v16
	v_mov_b32_e32 v23, 0
	v_mov_b32_e32 v29, 0x80
	;; [unrolled: 1-line block ×4, first 2 shown]
	s_branch .LBB284_10
.LBB284_8:                              ;   in Loop: Header=BB284_10 Depth=1
	s_or_b64 exec, exec, s[4:5]
.LBB284_9:                              ;   in Loop: Header=BB284_10 Depth=1
	s_cmp_eq_u32 s8, s25
	v_add_u32_e32 v31, s24, v31
	s_cbranch_scc1 .LBB284_29
.LBB284_10:                             ; =>This Inner Loop Header: Depth=1
	v_cmp_gt_f32_e64 s[2:3], v9, v8
	s_waitcnt lgkmcnt(0)
	v_cndmask_b32_e64 v19, v8, v9, s[2:3]
	v_cndmask_b32_e64 v16, 0, 1, s[2:3]
	v_cndmask_b32_e64 v18, v0, v1, s[2:3]
	v_cmp_gt_f32_e64 s[2:3], v10, v19
	v_cndmask_b32_e64 v19, v19, v10, s[2:3]
	v_cndmask_b32_e64 v16, v16, 2, s[2:3]
	v_cndmask_b32_e64 v18, v18, v2, s[2:3]
	v_cmp_gt_f32_e64 s[2:3], v11, v19
	;; [unrolled: 4-line block ×6, first 2 shown]
	v_cndmask_b32_e64 v16, v16, 7, s[2:3]
	v_cndmask_b32_e64 v32, v19, v15, s[2:3]
	v_or_b32_e32 v33, v22, v16
	v_cndmask_b32_e64 v16, v18, v7, s[2:3]
	ds_bpermute_b32 v35, v25, v32
	ds_bpermute_b32 v20, v25, v16
	;; [unrolled: 1-line block ×3, first 2 shown]
                                        ; implicit-def: $vgpr18_vgpr19
	s_waitcnt lgkmcnt(0)
	v_cmp_lt_f32_e64 s[6:7], v32, v35
	v_cmp_nlt_f32_e64 s[2:3], v32, v35
	s_and_saveexec_b64 s[22:23], s[2:3]
; %bb.11:                               ;   in Loop: Header=BB284_10 Depth=1
	v_cmp_eq_f32_e64 s[2:3], v32, v35
	v_cmp_lt_i32_e64 s[4:5], v34, v33
	s_and_b64 s[2:3], s[2:3], s[4:5]
	s_andn2_b64 s[4:5], s[6:7], exec
	s_and_b64 s[2:3], s[2:3], exec
	s_or_b64 s[6:7], s[4:5], s[2:3]
	v_pk_mov_b32 v[18:19], v[16:17], v[16:17] op_sel:[0,1]
; %bb.12:                               ;   in Loop: Header=BB284_10 Depth=1
	s_or_b64 exec, exec, s[22:23]
	s_and_saveexec_b64 s[2:3], s[6:7]
; %bb.13:                               ;   in Loop: Header=BB284_10 Depth=1
	v_mov_b32_e32 v32, v35
	v_mov_b32_e32 v16, v20
	v_mov_b32_e32 v33, v34
	v_pk_mov_b32 v[18:19], v[20:21], v[20:21] op_sel:[0,1]
; %bb.14:                               ;   in Loop: Header=BB284_10 Depth=1
	s_or_b64 exec, exec, s[2:3]
	ds_bpermute_b32 v34, v26, v32
	ds_bpermute_b32 v20, v26, v16
	;; [unrolled: 1-line block ×3, first 2 shown]
	s_waitcnt lgkmcnt(2)
	v_cmp_lt_f32_e64 s[6:7], v32, v34
	v_cmp_nlt_f32_e64 s[2:3], v32, v34
	s_and_saveexec_b64 s[22:23], s[2:3]
	s_cbranch_execz .LBB284_16
; %bb.15:                               ;   in Loop: Header=BB284_10 Depth=1
	v_cmp_eq_f32_e64 s[2:3], v32, v34
	s_waitcnt lgkmcnt(0)
	v_cmp_lt_i32_e64 s[4:5], v19, v33
	s_and_b64 s[2:3], s[2:3], s[4:5]
	s_andn2_b64 s[4:5], s[6:7], exec
	s_and_b64 s[2:3], s[2:3], exec
	s_or_b64 s[6:7], s[4:5], s[2:3]
.LBB284_16:                             ;   in Loop: Header=BB284_10 Depth=1
	s_or_b64 exec, exec, s[22:23]
	s_and_saveexec_b64 s[2:3], s[6:7]
	s_cbranch_execz .LBB284_18
; %bb.17:                               ;   in Loop: Header=BB284_10 Depth=1
	v_mov_b32_e32 v32, v34
	s_waitcnt lgkmcnt(1)
	v_mov_b32_e32 v16, v20
	s_waitcnt lgkmcnt(0)
	v_mov_b32_e32 v33, v19
	v_pk_mov_b32 v[18:19], v[20:21], v[20:21] op_sel:[0,1]
.LBB284_18:                             ;   in Loop: Header=BB284_10 Depth=1
	s_or_b64 exec, exec, s[2:3]
	ds_bpermute_b32 v34, v27, v32
	s_waitcnt lgkmcnt(2)
	ds_bpermute_b32 v20, v27, v16
	s_waitcnt lgkmcnt(2)
	;; [unrolled: 2-line block ×3, first 2 shown]
	v_cmp_lt_f32_e64 s[6:7], v32, v34
	v_cmp_nlt_f32_e64 s[2:3], v32, v34
	s_and_saveexec_b64 s[22:23], s[2:3]
	s_cbranch_execz .LBB284_20
; %bb.19:                               ;   in Loop: Header=BB284_10 Depth=1
	v_cmp_eq_f32_e64 s[2:3], v32, v34
	s_waitcnt lgkmcnt(0)
	v_cmp_lt_i32_e64 s[4:5], v19, v33
	s_and_b64 s[2:3], s[2:3], s[4:5]
	s_andn2_b64 s[4:5], s[6:7], exec
	s_and_b64 s[2:3], s[2:3], exec
	s_or_b64 s[6:7], s[4:5], s[2:3]
.LBB284_20:                             ;   in Loop: Header=BB284_10 Depth=1
	s_or_b64 exec, exec, s[22:23]
	s_and_saveexec_b64 s[2:3], s[6:7]
	s_cbranch_execz .LBB284_22
; %bb.21:                               ;   in Loop: Header=BB284_10 Depth=1
	v_mov_b32_e32 v32, v34
	s_waitcnt lgkmcnt(1)
	v_mov_b32_e32 v16, v20
	s_waitcnt lgkmcnt(0)
	v_mov_b32_e32 v33, v19
	v_pk_mov_b32 v[18:19], v[20:21], v[20:21] op_sel:[0,1]
.LBB284_22:                             ;   in Loop: Header=BB284_10 Depth=1
	s_or_b64 exec, exec, s[2:3]
	s_waitcnt lgkmcnt(1)
	ds_bpermute_b32 v20, v28, v32
	ds_bpermute_b32 v34, v28, v33
	s_waitcnt lgkmcnt(2)
	ds_bpermute_b32 v19, v28, v16
	s_waitcnt lgkmcnt(2)
	v_cmp_eq_f32_e64 s[4:5], v32, v20
	s_waitcnt lgkmcnt(1)
	v_cmp_lt_i32_e64 s[6:7], v34, v33
	v_cmp_lt_f32_e64 s[2:3], v32, v20
	s_and_b64 s[4:5], s[4:5], s[6:7]
	s_or_b64 s[2:3], s[2:3], s[4:5]
	v_cndmask_b32_e64 v16, v33, v34, s[2:3]
	s_and_saveexec_b64 s[6:7], s[0:1]
	s_cbranch_execnz .LBB284_24
; %bb.23:                               ;   in Loop: Header=BB284_10 Depth=1
	s_or_b64 exec, exec, s[6:7]
	s_add_i32 s25, s25, 1
	s_cmp_ge_i32 s25, s8
	s_cbranch_scc1 .LBB284_9
	s_branch .LBB284_25
.LBB284_24:                             ;   in Loop: Header=BB284_10 Depth=1
	s_waitcnt lgkmcnt(0)
	v_cndmask_b32_e64 v20, v18, v19, s[2:3]
	v_add_u32_e32 v18, s25, v24
	v_ashrrev_i32_e32 v19, 31, v18
	v_cmp_le_i32_e64 s[2:3], s9, v16
	v_cmp_gt_i32_e64 s[4:5], s10, v16
	v_lshlrev_b64 v[18:19], 2, v[18:19]
	s_and_b64 s[4:5], s[2:3], s[4:5]
	v_mov_b32_e32 v33, s17
	v_add_co_u32_e64 v32, s[2:3], s16, v18
	v_addc_co_u32_e64 v33, s[2:3], v33, v19, s[2:3]
	global_store_dword v[32:33], v20, off
	v_subrev_u32_e32 v32, s9, v16
	s_and_b64 s[2:3], s[18:19], s[4:5]
	v_cndmask_b32_e64 v34, v29, v32, s[2:3]
	v_mov_b32_e32 v33, s13
	v_add_co_u32_e64 v32, s[2:3], s12, v18
	v_addc_co_u32_e64 v33, s[2:3], v33, v19, s[2:3]
	global_store_dword v[32:33], v34, off
	v_mov_b32_e32 v32, s15
	v_add_co_u32_e64 v18, s[2:3], s14, v18
	v_addc_co_u32_e64 v19, s[2:3], v32, v19, s[2:3]
	global_store_dword v[18:19], v31, off
	v_add_f32_e32 v18, v23, v20
	v_cndmask_b32_e32 v23, v23, v18, vcc
	s_or_b64 exec, exec, s[6:7]
	s_add_i32 s25, s25, 1
	s_cmp_ge_i32 s25, s8
	s_cbranch_scc1 .LBB284_9
.LBB284_25:                             ;   in Loop: Header=BB284_10 Depth=1
	s_waitcnt lgkmcnt(0)
	v_ashrrev_i32_e32 v19, 31, v16
	v_lshrrev_b32_e32 v18, 29, v19
	v_add_u32_e32 v18, v16, v18
	v_ashrrev_i32_e32 v18, 3, v18
	v_lshrrev_b32_e32 v20, 28, v18
	v_add_u32_e32 v20, v18, v20
	v_and_b32_e32 v20, -16, v20
	v_sub_u32_e32 v20, v18, v20
	v_cmp_eq_u32_e64 s[2:3], v21, v20
	s_and_saveexec_b64 s[4:5], s[2:3]
	s_cbranch_execz .LBB284_8
; %bb.26:                               ;   in Loop: Header=BB284_10 Depth=1
	v_lshrrev_b32_e32 v19, 25, v19
	v_add_u32_e32 v19, v16, v19
	v_lshlrev_b32_e32 v18, 3, v18
	v_ashrrev_i32_e32 v19, 7, v19
	v_sub_u32_e32 v16, v16, v18
	v_lshl_add_u32 v16, v19, 3, v16
	v_cmp_ne_u32_e64 s[2:3], 7, v16
	v_cndmask_b32_e64 v15, v30, v15, s[2:3]
	v_cmp_ne_u32_e64 s[2:3], 6, v16
	v_cndmask_b32_e64 v14, v30, v14, s[2:3]
	;; [unrolled: 2-line block ×8, first 2 shown]
	s_branch .LBB284_8
.LBB284_27:
                                        ; implicit-def: $vgpr8_vgpr9_vgpr10_vgpr11_vgpr12_vgpr13_vgpr14_vgpr15
	s_andn2_b64 vcc, exec, s[8:9]
	s_cbranch_vccz .LBB284_5
	s_branch .LBB284_6
.LBB284_28:
	v_mov_b32_e32 v23, 0
.LBB284_29:
	v_cmp_eq_u32_e64 s[0:1], 0, v21
	s_and_b64 s[0:1], s[0:1], vcc
	s_and_b64 exec, exec, s[0:1]
	s_cbranch_execz .LBB284_38
; %bb.30:
	s_andn2_b64 vcc, exec, s[20:21]
	s_cbranch_vccnz .LBB284_38
; %bb.31:
	v_cmp_lt_f32_e32 vcc, 0, v23
	s_mov_b32 s2, 0
	v_cndmask_b32_e32 v0, 1.0, v23, vcc
	v_mul_lo_u32 v4, v17, s8
	s_cmp_eq_u32 s8, 1
	s_mov_b64 s[0:1], -1
	s_cbranch_scc1 .LBB284_35
; %bb.32:
	s_and_b32 s2, s8, 0x7ffffffe
	v_mov_b32_e32 v1, v0
	v_mov_b32_e32 v5, s17
	s_mov_b32 s3, s2
	v_mov_b32_e32 v2, v4
.LBB284_33:                             ; =>This Inner Loop Header: Depth=1
	v_ashrrev_i32_e32 v3, 31, v2
	v_lshlrev_b64 v[6:7], 2, v[2:3]
	v_add_co_u32_e32 v6, vcc, s16, v6
	v_addc_co_u32_e32 v7, vcc, v5, v7, vcc
	global_load_dwordx2 v[8:9], v[6:7], off
	s_add_i32 s3, s3, -2
	s_cmp_lg_u32 s3, 0
	v_add_u32_e32 v2, 2, v2
	s_waitcnt vmcnt(0)
	v_div_scale_f32 v3, s[0:1], v1, v1, v9
	v_div_scale_f32 v11, s[0:1], v0, v0, v8
	v_rcp_f32_e32 v12, v3
	v_rcp_f32_e32 v13, v11
	v_div_scale_f32 v10, vcc, v9, v1, v9
	v_fma_f32 v15, -v3, v12, 1.0
	v_fma_f32 v16, -v11, v13, 1.0
	v_fmac_f32_e32 v12, v15, v12
	v_div_scale_f32 v14, s[0:1], v8, v0, v8
	v_fmac_f32_e32 v13, v16, v13
	v_mul_f32_e32 v15, v10, v12
	v_mul_f32_e32 v16, v14, v13
	v_fma_f32 v17, -v3, v15, v10
	v_fma_f32 v18, -v11, v16, v14
	v_fmac_f32_e32 v15, v17, v12
	v_fmac_f32_e32 v16, v18, v13
	v_fma_f32 v3, -v3, v15, v10
	v_fma_f32 v10, -v11, v16, v14
	v_div_fmas_f32 v3, v3, v12, v15
	s_mov_b64 vcc, s[0:1]
	v_div_fixup_f32 v9, v3, v1, v9
	v_div_fmas_f32 v3, v10, v13, v16
	v_div_fixup_f32 v8, v3, v0, v8
	global_store_dwordx2 v[6:7], v[8:9], off
	s_cbranch_scc1 .LBB284_33
; %bb.34:
	s_cmp_lg_u32 s2, s8
	s_cselect_b64 s[0:1], -1, 0
.LBB284_35:
	s_and_b64 vcc, exec, s[0:1]
	s_cbranch_vccz .LBB284_38
; %bb.36:
	v_ashrrev_i32_e32 v1, 31, v4
	v_add_co_u32_e32 v2, vcc, s2, v4
	v_addc_co_u32_e32 v3, vcc, 0, v1, vcc
	v_lshlrev_b64 v[2:3], 2, v[2:3]
	v_mov_b32_e32 v1, s17
	v_add_co_u32_e32 v2, vcc, s16, v2
	s_sub_i32 s0, s8, s2
	v_addc_co_u32_e32 v3, vcc, v1, v3, vcc
.LBB284_37:                             ; =>This Inner Loop Header: Depth=1
	global_load_dword v1, v[2:3], off
	s_add_i32 s0, s0, -1
	s_cmp_lg_u32 s0, 0
	s_waitcnt vmcnt(0)
	v_div_scale_f32 v4, s[2:3], v0, v0, v1
	v_rcp_f32_e32 v5, v4
	v_div_scale_f32 v6, vcc, v1, v0, v1
	v_fma_f32 v7, -v4, v5, 1.0
	v_fmac_f32_e32 v5, v7, v5
	v_mul_f32_e32 v7, v6, v5
	v_fma_f32 v8, -v4, v7, v6
	v_fmac_f32_e32 v7, v8, v5
	v_fma_f32 v4, -v4, v7, v6
	v_div_fmas_f32 v4, v4, v5, v7
	v_div_fixup_f32 v1, v4, v0, v1
	global_store_dword v[2:3], v1, off
	v_add_co_u32_e32 v2, vcc, 4, v2
	v_addc_co_u32_e32 v3, vcc, 0, v3, vcc
	s_cbranch_scc1 .LBB284_37
.LBB284_38:
	s_endpgm
	.section	.rodata,"a",@progbits
	.p2align	6, 0x0
	.amdhsa_kernel _ZN4vllm3moe10topkGatingILi8ELi128ELi4ELi16ELi64Ej6__halfLNS0_11ScoringFuncE1EEEvPKT5_PKbPfiPT4_PiiiibPKf
		.amdhsa_group_segment_fixed_size 0
		.amdhsa_private_segment_fixed_size 0
		.amdhsa_kernarg_size 72
		.amdhsa_user_sgpr_count 6
		.amdhsa_user_sgpr_private_segment_buffer 1
		.amdhsa_user_sgpr_dispatch_ptr 0
		.amdhsa_user_sgpr_queue_ptr 0
		.amdhsa_user_sgpr_kernarg_segment_ptr 1
		.amdhsa_user_sgpr_dispatch_id 0
		.amdhsa_user_sgpr_flat_scratch_init 0
		.amdhsa_user_sgpr_kernarg_preload_length 0
		.amdhsa_user_sgpr_kernarg_preload_offset 0
		.amdhsa_user_sgpr_private_segment_size 0
		.amdhsa_uses_dynamic_stack 0
		.amdhsa_system_sgpr_private_segment_wavefront_offset 0
		.amdhsa_system_sgpr_workgroup_id_x 1
		.amdhsa_system_sgpr_workgroup_id_y 0
		.amdhsa_system_sgpr_workgroup_id_z 0
		.amdhsa_system_sgpr_workgroup_info 0
		.amdhsa_system_vgpr_workitem_id 1
		.amdhsa_next_free_vgpr 36
		.amdhsa_next_free_sgpr 26
		.amdhsa_accum_offset 36
		.amdhsa_reserve_vcc 1
		.amdhsa_reserve_flat_scratch 0
		.amdhsa_float_round_mode_32 0
		.amdhsa_float_round_mode_16_64 0
		.amdhsa_float_denorm_mode_32 3
		.amdhsa_float_denorm_mode_16_64 3
		.amdhsa_dx10_clamp 1
		.amdhsa_ieee_mode 1
		.amdhsa_fp16_overflow 0
		.amdhsa_tg_split 0
		.amdhsa_exception_fp_ieee_invalid_op 0
		.amdhsa_exception_fp_denorm_src 0
		.amdhsa_exception_fp_ieee_div_zero 0
		.amdhsa_exception_fp_ieee_overflow 0
		.amdhsa_exception_fp_ieee_underflow 0
		.amdhsa_exception_fp_ieee_inexact 0
		.amdhsa_exception_int_div_zero 0
	.end_amdhsa_kernel
	.section	.text._ZN4vllm3moe10topkGatingILi8ELi128ELi4ELi16ELi64Ej6__halfLNS0_11ScoringFuncE1EEEvPKT5_PKbPfiPT4_PiiiibPKf,"axG",@progbits,_ZN4vllm3moe10topkGatingILi8ELi128ELi4ELi16ELi64Ej6__halfLNS0_11ScoringFuncE1EEEvPKT5_PKbPfiPT4_PiiiibPKf,comdat
.Lfunc_end284:
	.size	_ZN4vllm3moe10topkGatingILi8ELi128ELi4ELi16ELi64Ej6__halfLNS0_11ScoringFuncE1EEEvPKT5_PKbPfiPT4_PiiiibPKf, .Lfunc_end284-_ZN4vllm3moe10topkGatingILi8ELi128ELi4ELi16ELi64Ej6__halfLNS0_11ScoringFuncE1EEEvPKT5_PKbPfiPT4_PiiiibPKf
                                        ; -- End function
	.section	.AMDGPU.csdata,"",@progbits
; Kernel info:
; codeLenInByte = 3004
; NumSgprs: 30
; NumVgprs: 36
; NumAgprs: 0
; TotalNumVgprs: 36
; ScratchSize: 0
; MemoryBound: 0
; FloatMode: 240
; IeeeMode: 1
; LDSByteSize: 0 bytes/workgroup (compile time only)
; SGPRBlocks: 3
; VGPRBlocks: 4
; NumSGPRsForWavesPerEU: 30
; NumVGPRsForWavesPerEU: 36
; AccumOffset: 36
; Occupancy: 8
; WaveLimiterHint : 0
; COMPUTE_PGM_RSRC2:SCRATCH_EN: 0
; COMPUTE_PGM_RSRC2:USER_SGPR: 6
; COMPUTE_PGM_RSRC2:TRAP_HANDLER: 0
; COMPUTE_PGM_RSRC2:TGID_X_EN: 1
; COMPUTE_PGM_RSRC2:TGID_Y_EN: 0
; COMPUTE_PGM_RSRC2:TGID_Z_EN: 0
; COMPUTE_PGM_RSRC2:TIDIG_COMP_CNT: 1
; COMPUTE_PGM_RSRC3_GFX90A:ACCUM_OFFSET: 8
; COMPUTE_PGM_RSRC3_GFX90A:TG_SPLIT: 0
	.section	.text._ZN4vllm3moe10topkGatingILi8ELi128ELi4ELi16ELi32Ej6__halfLNS0_11ScoringFuncE1EEEvPKT5_PKbPfiPT4_PiiiibPKf,"axG",@progbits,_ZN4vllm3moe10topkGatingILi8ELi128ELi4ELi16ELi32Ej6__halfLNS0_11ScoringFuncE1EEEvPKT5_PKbPfiPT4_PiiiibPKf,comdat
	.protected	_ZN4vllm3moe10topkGatingILi8ELi128ELi4ELi16ELi32Ej6__halfLNS0_11ScoringFuncE1EEEvPKT5_PKbPfiPT4_PiiiibPKf ; -- Begin function _ZN4vllm3moe10topkGatingILi8ELi128ELi4ELi16ELi32Ej6__halfLNS0_11ScoringFuncE1EEEvPKT5_PKbPfiPT4_PiiiibPKf
	.globl	_ZN4vllm3moe10topkGatingILi8ELi128ELi4ELi16ELi32Ej6__halfLNS0_11ScoringFuncE1EEEvPKT5_PKbPfiPT4_PiiiibPKf
	.p2align	8
	.type	_ZN4vllm3moe10topkGatingILi8ELi128ELi4ELi16ELi32Ej6__halfLNS0_11ScoringFuncE1EEEvPKT5_PKbPfiPT4_PiiiibPKf,@function
_ZN4vllm3moe10topkGatingILi8ELi128ELi4ELi16ELi32Ej6__halfLNS0_11ScoringFuncE1EEEvPKT5_PKbPfiPT4_PiiiibPKf: ; @_ZN4vllm3moe10topkGatingILi8ELi128ELi4ELi16ELi32Ej6__halfLNS0_11ScoringFuncE1EEEvPKT5_PKbPfiPT4_PiiiibPKf
; %bb.0:
	s_load_dword s24, s[4:5], 0x18
	v_bfe_u32 v1, v0, 10, 10
	v_and_b32_e32 v0, 0x3ff, v0
	s_lshl_b32 s0, s6, 3
	v_lshlrev_b32_e32 v1, 1, v1
	v_lshrrev_b32_e32 v2, 4, v0
	v_add3_u32 v17, s0, v1, v2
	s_waitcnt lgkmcnt(0)
	v_cmp_gt_i32_e32 vcc, s24, v17
	s_and_saveexec_b64 s[0:1], vcc
	s_cbranch_execz .LBB285_38
; %bb.1:
	s_load_dwordx4 s[0:3], s[4:5], 0x0
	s_load_dwordx2 s[16:17], s[4:5], 0x10
	s_mov_b64 s[8:9], -1
	s_mov_b64 s[18:19], -1
	s_waitcnt lgkmcnt(0)
	s_cmp_eq_u64 s[2:3], 0
	s_cbranch_scc1 .LBB285_3
; %bb.2:
	v_ashrrev_i32_e32 v1, 31, v17
	v_mov_b32_e32 v3, s3
	v_add_co_u32_e32 v2, vcc, s2, v17
	v_addc_co_u32_e32 v3, vcc, v3, v1, vcc
	global_load_ubyte v1, v[2:3], off
	s_waitcnt vmcnt(0)
	v_and_b32_e32 v1, 1, v1
	v_cmp_eq_u32_e32 vcc, 1, v1
	s_xor_b64 s[2:3], vcc, -1
	s_orn2_b64 s[18:19], s[2:3], exec
.LBB285_3:
	v_lshlrev_b32_e32 v2, 7, v17
	v_ashrrev_i32_e32 v3, 31, v2
	v_lshlrev_b64 v[2:3], 1, v[2:3]
	v_mov_b32_e32 v1, s1
	v_add_co_u32_e32 v2, vcc, s0, v2
	v_and_b32_e32 v21, 15, v0
	v_addc_co_u32_e32 v1, vcc, v1, v3, vcc
	v_lshlrev_b32_e32 v0, 4, v21
	v_add_co_u32_e32 v0, vcc, v2, v0
	v_addc_co_u32_e32 v1, vcc, 0, v1, vcc
	global_load_dwordx4 v[0:3], v[0:1], off
	v_mov_b32_e32 v8, 0x207
	s_load_dwordx2 s[10:11], s[4:5], 0x40
	v_lshlrev_b32_e32 v22, 3, v21
	s_waitcnt lgkmcnt(0)
	s_cmp_eq_u64 s[10:11], 0
	s_waitcnt vmcnt(0)
	v_cvt_f32_f16_e32 v4, v0
	v_cvt_f32_f16_sdwa v0, v0 dst_sel:DWORD dst_unused:UNUSED_PAD src0_sel:WORD_1
	v_cvt_f32_f16_e32 v5, v1
	v_cvt_f32_f16_sdwa v1, v1 dst_sel:DWORD dst_unused:UNUSED_PAD src0_sel:WORD_1
	v_mul_f32_e32 v4, 0xbfb8aa3b, v4
	v_mul_f32_e32 v9, 0xbfb8aa3b, v0
	v_cvt_f32_f16_e32 v6, v2
	v_cvt_f32_f16_sdwa v2, v2 dst_sel:DWORD dst_unused:UNUSED_PAD src0_sel:WORD_1
	v_cvt_f32_f16_e32 v7, v3
	v_cvt_f32_f16_sdwa v3, v3 dst_sel:DWORD dst_unused:UNUSED_PAD src0_sel:WORD_1
	v_mul_f32_e32 v10, 0xbfb8aa3b, v1
	v_exp_f32_e32 v0, v4
	v_exp_f32_e32 v1, v9
	v_mul_f32_e32 v5, 0xbfb8aa3b, v5
	v_mul_f32_e32 v11, 0xbfb8aa3b, v2
	;; [unrolled: 1-line block ×3, first 2 shown]
	v_exp_f32_e32 v2, v5
	v_exp_f32_e32 v3, v10
	v_pk_add_f32 v[0:1], v[0:1], 1.0 op_sel_hi:[1,0]
	v_div_scale_f32 v9, s[0:1], v1, v1, 1.0
	v_rcp_f32_e32 v19, v9
	v_exp_f32_e32 v5, v11
	v_div_scale_f32 v11, s[0:1], v0, v0, 1.0
	v_pk_add_f32 v[2:3], v[2:3], 1.0 op_sel_hi:[1,0]
	v_rcp_f32_e32 v20, v11
	v_div_scale_f32 v13, s[2:3], v3, v3, 1.0
	v_rcp_f32_e32 v23, v13
	v_fma_f32 v26, -v9, v19, 1.0
	v_div_scale_f32 v10, vcc, 1.0, v1, 1.0
	v_div_scale_f32 v15, s[6:7], v2, v2, 1.0
	v_fmac_f32_e32 v19, v26, v19
	v_mul_f32_e32 v6, 0xbfb8aa3b, v6
	v_mul_f32_e32 v7, 0xbfb8aa3b, v7
	v_rcp_f32_e32 v24, v15
	v_fma_f32 v27, -v11, v20, 1.0
	v_mul_f32_e32 v26, v10, v19
	v_exp_f32_e32 v4, v6
	v_exp_f32_e32 v6, v7
	;; [unrolled: 1-line block ×3, first 2 shown]
	v_div_scale_f32 v12, s[0:1], 1.0, v0, 1.0
	v_fmac_f32_e32 v20, v27, v20
	v_fma_f32 v30, -v9, v26, v10
	v_fma_f32 v28, -v13, v23, 1.0
	v_mul_f32_e32 v27, v12, v20
	v_fmac_f32_e32 v26, v30, v19
	v_div_scale_f32 v14, s[2:3], 1.0, v3, 1.0
	v_fmac_f32_e32 v23, v28, v23
	v_fma_f32 v31, -v11, v27, v12
	v_fma_f32 v9, -v9, v26, v10
	v_fma_f32 v29, -v15, v24, 1.0
	v_mul_f32_e32 v28, v14, v23
	v_fmac_f32_e32 v27, v31, v20
	v_div_fmas_f32 v9, v9, v19, v26
	v_div_scale_f32 v16, s[6:7], 1.0, v2, 1.0
	v_fmac_f32_e32 v24, v29, v24
	v_fma_f32 v32, -v13, v28, v14
	v_fma_f32 v10, -v11, v27, v12
	v_div_fixup_f32 v1, v9, v1, 1.0
	s_mov_b64 vcc, s[0:1]
	v_pk_add_f32 v[4:5], v[4:5], 1.0 op_sel_hi:[1,0]
	v_mul_f32_e32 v29, v16, v24
	v_fmac_f32_e32 v28, v32, v23
	v_div_fmas_f32 v9, v10, v20, v27
	v_cmp_class_f32_e32 vcc, v1, v8
	v_div_scale_f32 v18, s[12:13], v5, v5, 1.0
	v_fma_f32 v33, -v15, v29, v16
	v_fma_f32 v11, -v13, v28, v14
	v_div_fixup_f32 v0, v9, v0, 1.0
	v_cndmask_b32_e64 v1, v1, 0, vcc
	s_mov_b64 vcc, s[2:3]
	v_rcp_f32_e32 v25, v18
	v_fmac_f32_e32 v29, v33, v24
	v_div_fmas_f32 v9, v11, v23, v28
	v_cmp_class_f32_e32 vcc, v0, v8
	v_fma_f32 v12, -v15, v29, v16
	v_cndmask_b32_e64 v0, v0, 0, vcc
	s_mov_b64 vcc, s[6:7]
	v_div_fixup_f32 v3, v9, v3, 1.0
	v_div_fmas_f32 v9, v12, v24, v29
	v_div_fixup_f32 v2, v9, v2, 1.0
	v_cmp_class_f32_e32 vcc, v3, v8
	v_cndmask_b32_e64 v3, v3, 0, vcc
	v_cmp_class_f32_e32 vcc, v2, v8
	v_fma_f32 v9, -v18, v25, 1.0
	v_cndmask_b32_e64 v2, v2, 0, vcc
	v_fmac_f32_e32 v25, v9, v25
	v_div_scale_f32 v9, vcc, 1.0, v5, 1.0
	v_mul_f32_e32 v10, v9, v25
	v_fma_f32 v11, -v18, v10, v9
	v_fmac_f32_e32 v10, v11, v25
	v_div_scale_f32 v11, s[0:1], v4, v4, 1.0
	v_rcp_f32_e32 v12, v11
	v_fma_f32 v9, -v18, v10, v9
	v_div_fmas_f32 v9, v9, v25, v10
	v_div_fixup_f32 v5, v9, v5, 1.0
	v_fma_f32 v9, -v11, v12, 1.0
	v_fmac_f32_e32 v12, v9, v12
	v_div_scale_f32 v9, vcc, 1.0, v4, 1.0
	v_mul_f32_e32 v10, v9, v12
	v_fma_f32 v13, -v11, v10, v9
	v_fmac_f32_e32 v10, v13, v12
	v_fma_f32 v9, -v11, v10, v9
	v_div_fmas_f32 v9, v9, v12, v10
	v_pk_add_f32 v[6:7], v[6:7], 1.0 op_sel_hi:[1,0]
	v_div_fixup_f32 v4, v9, v4, 1.0
	v_div_scale_f32 v9, s[0:1], v7, v7, 1.0
	v_rcp_f32_e32 v10, v9
	v_cmp_class_f32_e32 vcc, v5, v8
	v_cndmask_b32_e64 v5, v5, 0, vcc
	v_cmp_class_f32_e32 vcc, v4, v8
	v_fma_f32 v11, -v9, v10, 1.0
	v_cndmask_b32_e64 v4, v4, 0, vcc
	v_fmac_f32_e32 v10, v11, v10
	v_div_scale_f32 v11, vcc, 1.0, v7, 1.0
	v_mul_f32_e32 v12, v11, v10
	v_fma_f32 v13, -v9, v12, v11
	v_fmac_f32_e32 v12, v13, v10
	v_fma_f32 v9, -v9, v12, v11
	v_div_scale_f32 v11, s[0:1], v6, v6, 1.0
	v_rcp_f32_e32 v13, v11
	v_div_fmas_f32 v9, v9, v10, v12
	v_div_fixup_f32 v7, v9, v7, 1.0
	v_fma_f32 v9, -v11, v13, 1.0
	v_fmac_f32_e32 v13, v9, v13
	v_div_scale_f32 v9, vcc, 1.0, v6, 1.0
	v_mul_f32_e32 v10, v9, v13
	v_fma_f32 v12, -v11, v10, v9
	v_fmac_f32_e32 v10, v12, v13
	v_fma_f32 v9, -v11, v10, v9
	v_div_fmas_f32 v9, v9, v13, v10
	v_div_fixup_f32 v6, v9, v6, 1.0
	v_cmp_class_f32_e32 vcc, v7, v8
	v_cndmask_b32_e64 v7, v7, 0, vcc
	v_cmp_class_f32_e32 vcc, v6, v8
	v_cndmask_b32_e64 v6, v6, 0, vcc
	s_cbranch_scc1 .LBB285_27
; %bb.4:
	v_lshlrev_b32_e32 v16, 2, v22
	global_load_dwordx4 v[8:11], v16, s[10:11]
	global_load_dwordx4 v[12:15], v16, s[10:11] offset:16
	s_waitcnt vmcnt(1)
	v_pk_add_f32 v[8:9], v[8:9], v[0:1]
	v_pk_add_f32 v[10:11], v[10:11], v[2:3]
	s_waitcnt vmcnt(0)
	v_pk_add_f32 v[12:13], v[12:13], v[4:5]
	v_pk_add_f32 v[14:15], v[14:15], v[6:7]
	s_cbranch_execnz .LBB285_6
.LBB285_5:
	v_pk_mov_b32 v[14:15], v[6:7], v[6:7] op_sel:[0,1]
	v_pk_mov_b32 v[12:13], v[4:5], v[4:5] op_sel:[0,1]
	;; [unrolled: 1-line block ×4, first 2 shown]
.LBB285_6:
	s_load_dwordx4 s[8:11], s[4:5], 0x30
	s_mov_b32 s25, 0
	v_cmp_eq_u32_e64 s[0:1], 0, v21
	s_waitcnt lgkmcnt(0)
	s_bitcmp1_b32 s11, 0
	s_cselect_b64 vcc, -1, 0
	s_cmp_gt_i32 s8, 0
	s_cselect_b64 s[20:21], -1, 0
	s_cmp_lt_i32 s8, 1
	s_cbranch_scc1 .LBB285_28
; %bb.7:
	v_mbcnt_lo_u32_b32 v16, -1, 0
	v_mbcnt_hi_u32_b32 v16, -1, v16
	v_and_b32_e32 v18, 0x70, v16
	v_add_u32_e32 v18, 16, v18
	v_xor_b32_e32 v19, 8, v16
	v_cmp_lt_i32_e64 s[2:3], v19, v18
	v_cndmask_b32_e64 v19, v16, v19, s[2:3]
	v_lshlrev_b32_e32 v25, 2, v19
	v_xor_b32_e32 v19, 4, v16
	v_cmp_lt_i32_e64 s[2:3], v19, v18
	v_cndmask_b32_e64 v19, v16, v19, s[2:3]
	v_lshlrev_b32_e32 v26, 2, v19
	v_xor_b32_e32 v19, 2, v16
	v_cmp_lt_i32_e64 s[2:3], v19, v18
	s_load_dwordx4 s[12:15], s[4:5], 0x20
	v_cndmask_b32_e64 v19, v16, v19, s[2:3]
	v_lshlrev_b32_e32 v27, 2, v19
	v_xor_b32_e32 v19, 1, v16
	v_cmp_lt_i32_e64 s[2:3], v19, v18
	v_cndmask_b32_e64 v16, v16, v19, s[2:3]
	v_mul_lo_u32 v24, v17, s8
	v_lshlrev_b32_e32 v28, 2, v16
	v_mov_b32_e32 v23, 0
	v_mov_b32_e32 v29, 0x80
	;; [unrolled: 1-line block ×4, first 2 shown]
	s_branch .LBB285_10
.LBB285_8:                              ;   in Loop: Header=BB285_10 Depth=1
	s_or_b64 exec, exec, s[4:5]
.LBB285_9:                              ;   in Loop: Header=BB285_10 Depth=1
	s_cmp_eq_u32 s8, s25
	v_add_u32_e32 v31, s24, v31
	s_cbranch_scc1 .LBB285_29
.LBB285_10:                             ; =>This Inner Loop Header: Depth=1
	v_cmp_gt_f32_e64 s[2:3], v9, v8
	s_waitcnt lgkmcnt(0)
	v_cndmask_b32_e64 v19, v8, v9, s[2:3]
	v_cndmask_b32_e64 v16, 0, 1, s[2:3]
	v_cndmask_b32_e64 v18, v0, v1, s[2:3]
	v_cmp_gt_f32_e64 s[2:3], v10, v19
	v_cndmask_b32_e64 v19, v19, v10, s[2:3]
	v_cndmask_b32_e64 v16, v16, 2, s[2:3]
	v_cndmask_b32_e64 v18, v18, v2, s[2:3]
	v_cmp_gt_f32_e64 s[2:3], v11, v19
	;; [unrolled: 4-line block ×6, first 2 shown]
	v_cndmask_b32_e64 v16, v16, 7, s[2:3]
	v_cndmask_b32_e64 v32, v19, v15, s[2:3]
	v_or_b32_e32 v33, v22, v16
	v_cndmask_b32_e64 v16, v18, v7, s[2:3]
	ds_bpermute_b32 v35, v25, v32
	ds_bpermute_b32 v20, v25, v16
	;; [unrolled: 1-line block ×3, first 2 shown]
                                        ; implicit-def: $vgpr18_vgpr19
	s_waitcnt lgkmcnt(0)
	v_cmp_lt_f32_e64 s[6:7], v32, v35
	v_cmp_nlt_f32_e64 s[2:3], v32, v35
	s_and_saveexec_b64 s[22:23], s[2:3]
; %bb.11:                               ;   in Loop: Header=BB285_10 Depth=1
	v_cmp_eq_f32_e64 s[2:3], v32, v35
	v_cmp_lt_i32_e64 s[4:5], v34, v33
	s_and_b64 s[2:3], s[2:3], s[4:5]
	s_andn2_b64 s[4:5], s[6:7], exec
	s_and_b64 s[2:3], s[2:3], exec
	s_or_b64 s[6:7], s[4:5], s[2:3]
	v_pk_mov_b32 v[18:19], v[16:17], v[16:17] op_sel:[0,1]
; %bb.12:                               ;   in Loop: Header=BB285_10 Depth=1
	s_or_b64 exec, exec, s[22:23]
	s_and_saveexec_b64 s[2:3], s[6:7]
; %bb.13:                               ;   in Loop: Header=BB285_10 Depth=1
	v_mov_b32_e32 v32, v35
	v_mov_b32_e32 v16, v20
	;; [unrolled: 1-line block ×3, first 2 shown]
	v_pk_mov_b32 v[18:19], v[20:21], v[20:21] op_sel:[0,1]
; %bb.14:                               ;   in Loop: Header=BB285_10 Depth=1
	s_or_b64 exec, exec, s[2:3]
	ds_bpermute_b32 v34, v26, v32
	ds_bpermute_b32 v20, v26, v16
	;; [unrolled: 1-line block ×3, first 2 shown]
	s_waitcnt lgkmcnt(2)
	v_cmp_lt_f32_e64 s[6:7], v32, v34
	v_cmp_nlt_f32_e64 s[2:3], v32, v34
	s_and_saveexec_b64 s[22:23], s[2:3]
	s_cbranch_execz .LBB285_16
; %bb.15:                               ;   in Loop: Header=BB285_10 Depth=1
	v_cmp_eq_f32_e64 s[2:3], v32, v34
	s_waitcnt lgkmcnt(0)
	v_cmp_lt_i32_e64 s[4:5], v19, v33
	s_and_b64 s[2:3], s[2:3], s[4:5]
	s_andn2_b64 s[4:5], s[6:7], exec
	s_and_b64 s[2:3], s[2:3], exec
	s_or_b64 s[6:7], s[4:5], s[2:3]
.LBB285_16:                             ;   in Loop: Header=BB285_10 Depth=1
	s_or_b64 exec, exec, s[22:23]
	s_and_saveexec_b64 s[2:3], s[6:7]
	s_cbranch_execz .LBB285_18
; %bb.17:                               ;   in Loop: Header=BB285_10 Depth=1
	v_mov_b32_e32 v32, v34
	s_waitcnt lgkmcnt(1)
	v_mov_b32_e32 v16, v20
	s_waitcnt lgkmcnt(0)
	v_mov_b32_e32 v33, v19
	v_pk_mov_b32 v[18:19], v[20:21], v[20:21] op_sel:[0,1]
.LBB285_18:                             ;   in Loop: Header=BB285_10 Depth=1
	s_or_b64 exec, exec, s[2:3]
	ds_bpermute_b32 v34, v27, v32
	s_waitcnt lgkmcnt(2)
	ds_bpermute_b32 v20, v27, v16
	s_waitcnt lgkmcnt(2)
	;; [unrolled: 2-line block ×3, first 2 shown]
	v_cmp_lt_f32_e64 s[6:7], v32, v34
	v_cmp_nlt_f32_e64 s[2:3], v32, v34
	s_and_saveexec_b64 s[22:23], s[2:3]
	s_cbranch_execz .LBB285_20
; %bb.19:                               ;   in Loop: Header=BB285_10 Depth=1
	v_cmp_eq_f32_e64 s[2:3], v32, v34
	s_waitcnt lgkmcnt(0)
	v_cmp_lt_i32_e64 s[4:5], v19, v33
	s_and_b64 s[2:3], s[2:3], s[4:5]
	s_andn2_b64 s[4:5], s[6:7], exec
	s_and_b64 s[2:3], s[2:3], exec
	s_or_b64 s[6:7], s[4:5], s[2:3]
.LBB285_20:                             ;   in Loop: Header=BB285_10 Depth=1
	s_or_b64 exec, exec, s[22:23]
	s_and_saveexec_b64 s[2:3], s[6:7]
	s_cbranch_execz .LBB285_22
; %bb.21:                               ;   in Loop: Header=BB285_10 Depth=1
	v_mov_b32_e32 v32, v34
	s_waitcnt lgkmcnt(1)
	v_mov_b32_e32 v16, v20
	s_waitcnt lgkmcnt(0)
	v_mov_b32_e32 v33, v19
	v_pk_mov_b32 v[18:19], v[20:21], v[20:21] op_sel:[0,1]
.LBB285_22:                             ;   in Loop: Header=BB285_10 Depth=1
	s_or_b64 exec, exec, s[2:3]
	s_waitcnt lgkmcnt(1)
	ds_bpermute_b32 v20, v28, v32
	ds_bpermute_b32 v34, v28, v33
	s_waitcnt lgkmcnt(2)
	ds_bpermute_b32 v19, v28, v16
	s_waitcnt lgkmcnt(2)
	v_cmp_eq_f32_e64 s[4:5], v32, v20
	s_waitcnt lgkmcnt(1)
	v_cmp_lt_i32_e64 s[6:7], v34, v33
	v_cmp_lt_f32_e64 s[2:3], v32, v20
	s_and_b64 s[4:5], s[4:5], s[6:7]
	s_or_b64 s[2:3], s[2:3], s[4:5]
	v_cndmask_b32_e64 v16, v33, v34, s[2:3]
	s_and_saveexec_b64 s[6:7], s[0:1]
	s_cbranch_execnz .LBB285_24
; %bb.23:                               ;   in Loop: Header=BB285_10 Depth=1
	s_or_b64 exec, exec, s[6:7]
	s_add_i32 s25, s25, 1
	s_cmp_ge_i32 s25, s8
	s_cbranch_scc1 .LBB285_9
	s_branch .LBB285_25
.LBB285_24:                             ;   in Loop: Header=BB285_10 Depth=1
	s_waitcnt lgkmcnt(0)
	v_cndmask_b32_e64 v20, v18, v19, s[2:3]
	v_add_u32_e32 v18, s25, v24
	v_ashrrev_i32_e32 v19, 31, v18
	v_cmp_le_i32_e64 s[2:3], s9, v16
	v_cmp_gt_i32_e64 s[4:5], s10, v16
	v_lshlrev_b64 v[18:19], 2, v[18:19]
	s_and_b64 s[4:5], s[2:3], s[4:5]
	v_mov_b32_e32 v33, s17
	v_add_co_u32_e64 v32, s[2:3], s16, v18
	v_addc_co_u32_e64 v33, s[2:3], v33, v19, s[2:3]
	global_store_dword v[32:33], v20, off
	v_subrev_u32_e32 v32, s9, v16
	s_and_b64 s[2:3], s[18:19], s[4:5]
	v_cndmask_b32_e64 v34, v29, v32, s[2:3]
	v_mov_b32_e32 v33, s13
	v_add_co_u32_e64 v32, s[2:3], s12, v18
	v_addc_co_u32_e64 v33, s[2:3], v33, v19, s[2:3]
	global_store_dword v[32:33], v34, off
	v_mov_b32_e32 v32, s15
	v_add_co_u32_e64 v18, s[2:3], s14, v18
	v_addc_co_u32_e64 v19, s[2:3], v32, v19, s[2:3]
	global_store_dword v[18:19], v31, off
	v_add_f32_e32 v18, v23, v20
	v_cndmask_b32_e32 v23, v23, v18, vcc
	s_or_b64 exec, exec, s[6:7]
	s_add_i32 s25, s25, 1
	s_cmp_ge_i32 s25, s8
	s_cbranch_scc1 .LBB285_9
.LBB285_25:                             ;   in Loop: Header=BB285_10 Depth=1
	s_waitcnt lgkmcnt(0)
	v_ashrrev_i32_e32 v19, 31, v16
	v_lshrrev_b32_e32 v18, 29, v19
	v_add_u32_e32 v18, v16, v18
	v_ashrrev_i32_e32 v18, 3, v18
	v_lshrrev_b32_e32 v20, 28, v18
	v_add_u32_e32 v20, v18, v20
	v_and_b32_e32 v20, -16, v20
	v_sub_u32_e32 v20, v18, v20
	v_cmp_eq_u32_e64 s[2:3], v21, v20
	s_and_saveexec_b64 s[4:5], s[2:3]
	s_cbranch_execz .LBB285_8
; %bb.26:                               ;   in Loop: Header=BB285_10 Depth=1
	v_lshrrev_b32_e32 v19, 25, v19
	v_add_u32_e32 v19, v16, v19
	v_lshlrev_b32_e32 v18, 3, v18
	v_ashrrev_i32_e32 v19, 7, v19
	v_sub_u32_e32 v16, v16, v18
	v_lshl_add_u32 v16, v19, 3, v16
	v_cmp_ne_u32_e64 s[2:3], 7, v16
	v_cndmask_b32_e64 v15, v30, v15, s[2:3]
	v_cmp_ne_u32_e64 s[2:3], 6, v16
	v_cndmask_b32_e64 v14, v30, v14, s[2:3]
	v_cmp_ne_u32_e64 s[2:3], 5, v16
	v_cndmask_b32_e64 v13, v30, v13, s[2:3]
	v_cmp_ne_u32_e64 s[2:3], 4, v16
	v_cndmask_b32_e64 v12, v30, v12, s[2:3]
	v_cmp_ne_u32_e64 s[2:3], 3, v16
	v_cndmask_b32_e64 v11, v30, v11, s[2:3]
	v_cmp_ne_u32_e64 s[2:3], 2, v16
	v_cndmask_b32_e64 v10, v30, v10, s[2:3]
	v_cmp_ne_u32_e64 s[2:3], 1, v16
	v_cndmask_b32_e64 v9, v30, v9, s[2:3]
	v_cmp_ne_u32_e64 s[2:3], 0, v16
	v_cndmask_b32_e64 v8, v30, v8, s[2:3]
	s_branch .LBB285_8
.LBB285_27:
                                        ; implicit-def: $vgpr8_vgpr9_vgpr10_vgpr11_vgpr12_vgpr13_vgpr14_vgpr15
	s_andn2_b64 vcc, exec, s[8:9]
	s_cbranch_vccz .LBB285_5
	s_branch .LBB285_6
.LBB285_28:
	v_mov_b32_e32 v23, 0
.LBB285_29:
	v_cmp_eq_u32_e64 s[0:1], 0, v21
	s_and_b64 s[0:1], s[0:1], vcc
	s_and_b64 exec, exec, s[0:1]
	s_cbranch_execz .LBB285_38
; %bb.30:
	s_andn2_b64 vcc, exec, s[20:21]
	s_cbranch_vccnz .LBB285_38
; %bb.31:
	v_cmp_lt_f32_e32 vcc, 0, v23
	s_mov_b32 s2, 0
	v_cndmask_b32_e32 v0, 1.0, v23, vcc
	v_mul_lo_u32 v4, v17, s8
	s_cmp_eq_u32 s8, 1
	s_mov_b64 s[0:1], -1
	s_cbranch_scc1 .LBB285_35
; %bb.32:
	s_and_b32 s2, s8, 0x7ffffffe
	v_mov_b32_e32 v1, v0
	v_mov_b32_e32 v5, s17
	s_mov_b32 s3, s2
	v_mov_b32_e32 v2, v4
.LBB285_33:                             ; =>This Inner Loop Header: Depth=1
	v_ashrrev_i32_e32 v3, 31, v2
	v_lshlrev_b64 v[6:7], 2, v[2:3]
	v_add_co_u32_e32 v6, vcc, s16, v6
	v_addc_co_u32_e32 v7, vcc, v5, v7, vcc
	global_load_dwordx2 v[8:9], v[6:7], off
	s_add_i32 s3, s3, -2
	s_cmp_lg_u32 s3, 0
	v_add_u32_e32 v2, 2, v2
	s_waitcnt vmcnt(0)
	v_div_scale_f32 v3, s[0:1], v1, v1, v9
	v_div_scale_f32 v11, s[0:1], v0, v0, v8
	v_rcp_f32_e32 v12, v3
	v_rcp_f32_e32 v13, v11
	v_div_scale_f32 v10, vcc, v9, v1, v9
	v_fma_f32 v15, -v3, v12, 1.0
	v_fma_f32 v16, -v11, v13, 1.0
	v_fmac_f32_e32 v12, v15, v12
	v_div_scale_f32 v14, s[0:1], v8, v0, v8
	v_fmac_f32_e32 v13, v16, v13
	v_mul_f32_e32 v15, v10, v12
	v_mul_f32_e32 v16, v14, v13
	v_fma_f32 v17, -v3, v15, v10
	v_fma_f32 v18, -v11, v16, v14
	v_fmac_f32_e32 v15, v17, v12
	v_fmac_f32_e32 v16, v18, v13
	v_fma_f32 v3, -v3, v15, v10
	v_fma_f32 v10, -v11, v16, v14
	v_div_fmas_f32 v3, v3, v12, v15
	s_mov_b64 vcc, s[0:1]
	v_div_fixup_f32 v9, v3, v1, v9
	v_div_fmas_f32 v3, v10, v13, v16
	v_div_fixup_f32 v8, v3, v0, v8
	global_store_dwordx2 v[6:7], v[8:9], off
	s_cbranch_scc1 .LBB285_33
; %bb.34:
	s_cmp_lg_u32 s2, s8
	s_cselect_b64 s[0:1], -1, 0
.LBB285_35:
	s_and_b64 vcc, exec, s[0:1]
	s_cbranch_vccz .LBB285_38
; %bb.36:
	v_ashrrev_i32_e32 v1, 31, v4
	v_add_co_u32_e32 v2, vcc, s2, v4
	v_addc_co_u32_e32 v3, vcc, 0, v1, vcc
	v_lshlrev_b64 v[2:3], 2, v[2:3]
	v_mov_b32_e32 v1, s17
	v_add_co_u32_e32 v2, vcc, s16, v2
	s_sub_i32 s0, s8, s2
	v_addc_co_u32_e32 v3, vcc, v1, v3, vcc
.LBB285_37:                             ; =>This Inner Loop Header: Depth=1
	global_load_dword v1, v[2:3], off
	s_add_i32 s0, s0, -1
	s_cmp_lg_u32 s0, 0
	s_waitcnt vmcnt(0)
	v_div_scale_f32 v4, s[2:3], v0, v0, v1
	v_rcp_f32_e32 v5, v4
	v_div_scale_f32 v6, vcc, v1, v0, v1
	v_fma_f32 v7, -v4, v5, 1.0
	v_fmac_f32_e32 v5, v7, v5
	v_mul_f32_e32 v7, v6, v5
	v_fma_f32 v8, -v4, v7, v6
	v_fmac_f32_e32 v7, v8, v5
	v_fma_f32 v4, -v4, v7, v6
	v_div_fmas_f32 v4, v4, v5, v7
	v_div_fixup_f32 v1, v4, v0, v1
	global_store_dword v[2:3], v1, off
	v_add_co_u32_e32 v2, vcc, 4, v2
	v_addc_co_u32_e32 v3, vcc, 0, v3, vcc
	s_cbranch_scc1 .LBB285_37
.LBB285_38:
	s_endpgm
	.section	.rodata,"a",@progbits
	.p2align	6, 0x0
	.amdhsa_kernel _ZN4vllm3moe10topkGatingILi8ELi128ELi4ELi16ELi32Ej6__halfLNS0_11ScoringFuncE1EEEvPKT5_PKbPfiPT4_PiiiibPKf
		.amdhsa_group_segment_fixed_size 0
		.amdhsa_private_segment_fixed_size 0
		.amdhsa_kernarg_size 72
		.amdhsa_user_sgpr_count 6
		.amdhsa_user_sgpr_private_segment_buffer 1
		.amdhsa_user_sgpr_dispatch_ptr 0
		.amdhsa_user_sgpr_queue_ptr 0
		.amdhsa_user_sgpr_kernarg_segment_ptr 1
		.amdhsa_user_sgpr_dispatch_id 0
		.amdhsa_user_sgpr_flat_scratch_init 0
		.amdhsa_user_sgpr_kernarg_preload_length 0
		.amdhsa_user_sgpr_kernarg_preload_offset 0
		.amdhsa_user_sgpr_private_segment_size 0
		.amdhsa_uses_dynamic_stack 0
		.amdhsa_system_sgpr_private_segment_wavefront_offset 0
		.amdhsa_system_sgpr_workgroup_id_x 1
		.amdhsa_system_sgpr_workgroup_id_y 0
		.amdhsa_system_sgpr_workgroup_id_z 0
		.amdhsa_system_sgpr_workgroup_info 0
		.amdhsa_system_vgpr_workitem_id 1
		.amdhsa_next_free_vgpr 36
		.amdhsa_next_free_sgpr 26
		.amdhsa_accum_offset 36
		.amdhsa_reserve_vcc 1
		.amdhsa_reserve_flat_scratch 0
		.amdhsa_float_round_mode_32 0
		.amdhsa_float_round_mode_16_64 0
		.amdhsa_float_denorm_mode_32 3
		.amdhsa_float_denorm_mode_16_64 3
		.amdhsa_dx10_clamp 1
		.amdhsa_ieee_mode 1
		.amdhsa_fp16_overflow 0
		.amdhsa_tg_split 0
		.amdhsa_exception_fp_ieee_invalid_op 0
		.amdhsa_exception_fp_denorm_src 0
		.amdhsa_exception_fp_ieee_div_zero 0
		.amdhsa_exception_fp_ieee_overflow 0
		.amdhsa_exception_fp_ieee_underflow 0
		.amdhsa_exception_fp_ieee_inexact 0
		.amdhsa_exception_int_div_zero 0
	.end_amdhsa_kernel
	.section	.text._ZN4vllm3moe10topkGatingILi8ELi128ELi4ELi16ELi32Ej6__halfLNS0_11ScoringFuncE1EEEvPKT5_PKbPfiPT4_PiiiibPKf,"axG",@progbits,_ZN4vllm3moe10topkGatingILi8ELi128ELi4ELi16ELi32Ej6__halfLNS0_11ScoringFuncE1EEEvPKT5_PKbPfiPT4_PiiiibPKf,comdat
.Lfunc_end285:
	.size	_ZN4vllm3moe10topkGatingILi8ELi128ELi4ELi16ELi32Ej6__halfLNS0_11ScoringFuncE1EEEvPKT5_PKbPfiPT4_PiiiibPKf, .Lfunc_end285-_ZN4vllm3moe10topkGatingILi8ELi128ELi4ELi16ELi32Ej6__halfLNS0_11ScoringFuncE1EEEvPKT5_PKbPfiPT4_PiiiibPKf
                                        ; -- End function
	.section	.AMDGPU.csdata,"",@progbits
; Kernel info:
; codeLenInByte = 3004
; NumSgprs: 30
; NumVgprs: 36
; NumAgprs: 0
; TotalNumVgprs: 36
; ScratchSize: 0
; MemoryBound: 0
; FloatMode: 240
; IeeeMode: 1
; LDSByteSize: 0 bytes/workgroup (compile time only)
; SGPRBlocks: 3
; VGPRBlocks: 4
; NumSGPRsForWavesPerEU: 30
; NumVGPRsForWavesPerEU: 36
; AccumOffset: 36
; Occupancy: 8
; WaveLimiterHint : 0
; COMPUTE_PGM_RSRC2:SCRATCH_EN: 0
; COMPUTE_PGM_RSRC2:USER_SGPR: 6
; COMPUTE_PGM_RSRC2:TRAP_HANDLER: 0
; COMPUTE_PGM_RSRC2:TGID_X_EN: 1
; COMPUTE_PGM_RSRC2:TGID_Y_EN: 0
; COMPUTE_PGM_RSRC2:TGID_Z_EN: 0
; COMPUTE_PGM_RSRC2:TIDIG_COMP_CNT: 1
; COMPUTE_PGM_RSRC3_GFX90A:ACCUM_OFFSET: 8
; COMPUTE_PGM_RSRC3_GFX90A:TG_SPLIT: 0
	.section	.text._ZN4vllm3moe10topkGatingILi8ELi256ELi4ELi16ELi64Ej6__halfLNS0_11ScoringFuncE1EEEvPKT5_PKbPfiPT4_PiiiibPKf,"axG",@progbits,_ZN4vllm3moe10topkGatingILi8ELi256ELi4ELi16ELi64Ej6__halfLNS0_11ScoringFuncE1EEEvPKT5_PKbPfiPT4_PiiiibPKf,comdat
	.protected	_ZN4vllm3moe10topkGatingILi8ELi256ELi4ELi16ELi64Ej6__halfLNS0_11ScoringFuncE1EEEvPKT5_PKbPfiPT4_PiiiibPKf ; -- Begin function _ZN4vllm3moe10topkGatingILi8ELi256ELi4ELi16ELi64Ej6__halfLNS0_11ScoringFuncE1EEEvPKT5_PKbPfiPT4_PiiiibPKf
	.globl	_ZN4vllm3moe10topkGatingILi8ELi256ELi4ELi16ELi64Ej6__halfLNS0_11ScoringFuncE1EEEvPKT5_PKbPfiPT4_PiiiibPKf
	.p2align	8
	.type	_ZN4vllm3moe10topkGatingILi8ELi256ELi4ELi16ELi64Ej6__halfLNS0_11ScoringFuncE1EEEvPKT5_PKbPfiPT4_PiiiibPKf,@function
_ZN4vllm3moe10topkGatingILi8ELi256ELi4ELi16ELi64Ej6__halfLNS0_11ScoringFuncE1EEEvPKT5_PKbPfiPT4_PiiiibPKf: ; @_ZN4vllm3moe10topkGatingILi8ELi256ELi4ELi16ELi64Ej6__halfLNS0_11ScoringFuncE1EEEvPKT5_PKbPfiPT4_PiiiibPKf
; %bb.0:
	s_load_dword s24, s[4:5], 0x18
	v_bfe_u32 v1, v0, 10, 10
	v_and_b32_e32 v0, 0x3ff, v0
	s_lshl_b32 s0, s6, 3
	v_lshlrev_b32_e32 v1, 1, v1
	v_lshrrev_b32_e32 v2, 5, v0
	v_add3_u32 v17, s0, v1, v2
	s_waitcnt lgkmcnt(0)
	v_cmp_gt_i32_e32 vcc, s24, v17
	s_and_saveexec_b64 s[0:1], vcc
	s_cbranch_execz .LBB286_42
; %bb.1:
	s_load_dwordx4 s[0:3], s[4:5], 0x0
	s_load_dwordx2 s[16:17], s[4:5], 0x10
	s_mov_b64 s[8:9], -1
	s_mov_b64 s[18:19], -1
	s_waitcnt lgkmcnt(0)
	s_cmp_eq_u64 s[2:3], 0
	s_cbranch_scc1 .LBB286_3
; %bb.2:
	v_ashrrev_i32_e32 v1, 31, v17
	v_mov_b32_e32 v3, s3
	v_add_co_u32_e32 v2, vcc, s2, v17
	v_addc_co_u32_e32 v3, vcc, v3, v1, vcc
	global_load_ubyte v1, v[2:3], off
	s_waitcnt vmcnt(0)
	v_and_b32_e32 v1, 1, v1
	v_cmp_eq_u32_e32 vcc, 1, v1
	s_xor_b64 s[2:3], vcc, -1
	s_orn2_b64 s[18:19], s[2:3], exec
.LBB286_3:
	v_lshlrev_b32_e32 v2, 8, v17
	v_ashrrev_i32_e32 v3, 31, v2
	v_lshlrev_b64 v[2:3], 1, v[2:3]
	v_mov_b32_e32 v1, s1
	v_add_co_u32_e32 v2, vcc, s0, v2
	v_and_b32_e32 v21, 31, v0
	v_addc_co_u32_e32 v1, vcc, v1, v3, vcc
	v_lshlrev_b32_e32 v0, 4, v21
	v_add_co_u32_e32 v0, vcc, v2, v0
	v_addc_co_u32_e32 v1, vcc, 0, v1, vcc
	global_load_dwordx4 v[0:3], v[0:1], off
	v_mov_b32_e32 v8, 0x207
	s_load_dwordx2 s[10:11], s[4:5], 0x40
	v_lshlrev_b32_e32 v22, 3, v21
	s_waitcnt lgkmcnt(0)
	s_cmp_eq_u64 s[10:11], 0
	s_waitcnt vmcnt(0)
	v_cvt_f32_f16_e32 v4, v0
	v_cvt_f32_f16_sdwa v0, v0 dst_sel:DWORD dst_unused:UNUSED_PAD src0_sel:WORD_1
	v_cvt_f32_f16_e32 v5, v1
	v_cvt_f32_f16_sdwa v1, v1 dst_sel:DWORD dst_unused:UNUSED_PAD src0_sel:WORD_1
	v_mul_f32_e32 v4, 0xbfb8aa3b, v4
	v_mul_f32_e32 v9, 0xbfb8aa3b, v0
	v_cvt_f32_f16_e32 v6, v2
	v_cvt_f32_f16_sdwa v2, v2 dst_sel:DWORD dst_unused:UNUSED_PAD src0_sel:WORD_1
	v_cvt_f32_f16_e32 v7, v3
	v_cvt_f32_f16_sdwa v3, v3 dst_sel:DWORD dst_unused:UNUSED_PAD src0_sel:WORD_1
	v_mul_f32_e32 v10, 0xbfb8aa3b, v1
	v_exp_f32_e32 v0, v4
	v_exp_f32_e32 v1, v9
	v_mul_f32_e32 v5, 0xbfb8aa3b, v5
	v_mul_f32_e32 v11, 0xbfb8aa3b, v2
	;; [unrolled: 1-line block ×3, first 2 shown]
	v_exp_f32_e32 v2, v5
	v_exp_f32_e32 v3, v10
	v_pk_add_f32 v[0:1], v[0:1], 1.0 op_sel_hi:[1,0]
	v_div_scale_f32 v9, s[0:1], v1, v1, 1.0
	v_rcp_f32_e32 v19, v9
	v_exp_f32_e32 v5, v11
	v_div_scale_f32 v11, s[0:1], v0, v0, 1.0
	v_pk_add_f32 v[2:3], v[2:3], 1.0 op_sel_hi:[1,0]
	v_rcp_f32_e32 v20, v11
	v_div_scale_f32 v13, s[2:3], v3, v3, 1.0
	v_rcp_f32_e32 v23, v13
	v_fma_f32 v26, -v9, v19, 1.0
	v_div_scale_f32 v10, vcc, 1.0, v1, 1.0
	v_div_scale_f32 v15, s[6:7], v2, v2, 1.0
	v_fmac_f32_e32 v19, v26, v19
	v_mul_f32_e32 v6, 0xbfb8aa3b, v6
	v_mul_f32_e32 v7, 0xbfb8aa3b, v7
	v_rcp_f32_e32 v24, v15
	v_fma_f32 v27, -v11, v20, 1.0
	v_mul_f32_e32 v26, v10, v19
	v_exp_f32_e32 v4, v6
	v_exp_f32_e32 v6, v7
	;; [unrolled: 1-line block ×3, first 2 shown]
	v_div_scale_f32 v12, s[0:1], 1.0, v0, 1.0
	v_fmac_f32_e32 v20, v27, v20
	v_fma_f32 v30, -v9, v26, v10
	v_fma_f32 v28, -v13, v23, 1.0
	v_mul_f32_e32 v27, v12, v20
	v_fmac_f32_e32 v26, v30, v19
	v_div_scale_f32 v14, s[2:3], 1.0, v3, 1.0
	v_fmac_f32_e32 v23, v28, v23
	v_fma_f32 v31, -v11, v27, v12
	v_fma_f32 v9, -v9, v26, v10
	v_fma_f32 v29, -v15, v24, 1.0
	v_mul_f32_e32 v28, v14, v23
	v_fmac_f32_e32 v27, v31, v20
	v_div_fmas_f32 v9, v9, v19, v26
	v_div_scale_f32 v16, s[6:7], 1.0, v2, 1.0
	v_fmac_f32_e32 v24, v29, v24
	v_fma_f32 v32, -v13, v28, v14
	v_fma_f32 v10, -v11, v27, v12
	v_div_fixup_f32 v1, v9, v1, 1.0
	s_mov_b64 vcc, s[0:1]
	v_pk_add_f32 v[4:5], v[4:5], 1.0 op_sel_hi:[1,0]
	v_mul_f32_e32 v29, v16, v24
	v_fmac_f32_e32 v28, v32, v23
	v_div_fmas_f32 v9, v10, v20, v27
	v_cmp_class_f32_e32 vcc, v1, v8
	v_div_scale_f32 v18, s[12:13], v5, v5, 1.0
	v_fma_f32 v33, -v15, v29, v16
	v_fma_f32 v11, -v13, v28, v14
	v_div_fixup_f32 v0, v9, v0, 1.0
	v_cndmask_b32_e64 v1, v1, 0, vcc
	s_mov_b64 vcc, s[2:3]
	v_rcp_f32_e32 v25, v18
	v_fmac_f32_e32 v29, v33, v24
	v_div_fmas_f32 v9, v11, v23, v28
	v_cmp_class_f32_e32 vcc, v0, v8
	v_fma_f32 v12, -v15, v29, v16
	v_cndmask_b32_e64 v0, v0, 0, vcc
	s_mov_b64 vcc, s[6:7]
	v_div_fixup_f32 v3, v9, v3, 1.0
	v_div_fmas_f32 v9, v12, v24, v29
	v_div_fixup_f32 v2, v9, v2, 1.0
	v_cmp_class_f32_e32 vcc, v3, v8
	v_cndmask_b32_e64 v3, v3, 0, vcc
	v_cmp_class_f32_e32 vcc, v2, v8
	v_fma_f32 v9, -v18, v25, 1.0
	v_cndmask_b32_e64 v2, v2, 0, vcc
	v_fmac_f32_e32 v25, v9, v25
	v_div_scale_f32 v9, vcc, 1.0, v5, 1.0
	v_mul_f32_e32 v10, v9, v25
	v_fma_f32 v11, -v18, v10, v9
	v_fmac_f32_e32 v10, v11, v25
	v_div_scale_f32 v11, s[0:1], v4, v4, 1.0
	v_rcp_f32_e32 v12, v11
	v_fma_f32 v9, -v18, v10, v9
	v_div_fmas_f32 v9, v9, v25, v10
	v_div_fixup_f32 v5, v9, v5, 1.0
	v_fma_f32 v9, -v11, v12, 1.0
	v_fmac_f32_e32 v12, v9, v12
	v_div_scale_f32 v9, vcc, 1.0, v4, 1.0
	v_mul_f32_e32 v10, v9, v12
	v_fma_f32 v13, -v11, v10, v9
	v_fmac_f32_e32 v10, v13, v12
	v_fma_f32 v9, -v11, v10, v9
	v_div_fmas_f32 v9, v9, v12, v10
	v_pk_add_f32 v[6:7], v[6:7], 1.0 op_sel_hi:[1,0]
	v_div_fixup_f32 v4, v9, v4, 1.0
	v_div_scale_f32 v9, s[0:1], v7, v7, 1.0
	v_rcp_f32_e32 v10, v9
	v_cmp_class_f32_e32 vcc, v5, v8
	v_cndmask_b32_e64 v5, v5, 0, vcc
	v_cmp_class_f32_e32 vcc, v4, v8
	v_fma_f32 v11, -v9, v10, 1.0
	v_cndmask_b32_e64 v4, v4, 0, vcc
	v_fmac_f32_e32 v10, v11, v10
	v_div_scale_f32 v11, vcc, 1.0, v7, 1.0
	v_mul_f32_e32 v12, v11, v10
	v_fma_f32 v13, -v9, v12, v11
	v_fmac_f32_e32 v12, v13, v10
	v_fma_f32 v9, -v9, v12, v11
	v_div_scale_f32 v11, s[0:1], v6, v6, 1.0
	v_rcp_f32_e32 v13, v11
	v_div_fmas_f32 v9, v9, v10, v12
	v_div_fixup_f32 v7, v9, v7, 1.0
	v_fma_f32 v9, -v11, v13, 1.0
	v_fmac_f32_e32 v13, v9, v13
	v_div_scale_f32 v9, vcc, 1.0, v6, 1.0
	v_mul_f32_e32 v10, v9, v13
	v_fma_f32 v12, -v11, v10, v9
	v_fmac_f32_e32 v10, v12, v13
	v_fma_f32 v9, -v11, v10, v9
	v_div_fmas_f32 v9, v9, v13, v10
	v_div_fixup_f32 v6, v9, v6, 1.0
	v_cmp_class_f32_e32 vcc, v7, v8
	v_cndmask_b32_e64 v7, v7, 0, vcc
	v_cmp_class_f32_e32 vcc, v6, v8
	v_cndmask_b32_e64 v6, v6, 0, vcc
	s_cbranch_scc1 .LBB286_31
; %bb.4:
	v_lshlrev_b32_e32 v16, 2, v22
	global_load_dwordx4 v[8:11], v16, s[10:11]
	global_load_dwordx4 v[12:15], v16, s[10:11] offset:16
	s_waitcnt vmcnt(1)
	v_pk_add_f32 v[8:9], v[8:9], v[0:1]
	v_pk_add_f32 v[10:11], v[10:11], v[2:3]
	s_waitcnt vmcnt(0)
	v_pk_add_f32 v[12:13], v[12:13], v[4:5]
	v_pk_add_f32 v[14:15], v[14:15], v[6:7]
	s_cbranch_execnz .LBB286_6
.LBB286_5:
	v_pk_mov_b32 v[14:15], v[6:7], v[6:7] op_sel:[0,1]
	v_pk_mov_b32 v[12:13], v[4:5], v[4:5] op_sel:[0,1]
	;; [unrolled: 1-line block ×4, first 2 shown]
.LBB286_6:
	s_load_dwordx4 s[8:11], s[4:5], 0x30
	s_mov_b32 s25, 0
	v_cmp_eq_u32_e64 s[0:1], 0, v21
	s_waitcnt lgkmcnt(0)
	s_bitcmp1_b32 s11, 0
	s_cselect_b64 vcc, -1, 0
	s_cmp_gt_i32 s8, 0
	s_cselect_b64 s[20:21], -1, 0
	s_cmp_lt_i32 s8, 1
	s_cbranch_scc1 .LBB286_32
; %bb.7:
	v_mbcnt_lo_u32_b32 v16, -1, 0
	v_mbcnt_hi_u32_b32 v16, -1, v16
	v_and_b32_e32 v18, 0x60, v16
	v_add_u32_e32 v18, 32, v18
	v_xor_b32_e32 v19, 16, v16
	v_cmp_lt_i32_e64 s[2:3], v19, v18
	v_cndmask_b32_e64 v19, v16, v19, s[2:3]
	v_lshlrev_b32_e32 v25, 2, v19
	v_xor_b32_e32 v19, 8, v16
	v_cmp_lt_i32_e64 s[2:3], v19, v18
	v_cndmask_b32_e64 v19, v16, v19, s[2:3]
	v_lshlrev_b32_e32 v26, 2, v19
	;; [unrolled: 4-line block ×3, first 2 shown]
	v_xor_b32_e32 v19, 2, v16
	v_cmp_lt_i32_e64 s[2:3], v19, v18
	s_load_dwordx4 s[12:15], s[4:5], 0x20
	v_cndmask_b32_e64 v19, v16, v19, s[2:3]
	v_lshlrev_b32_e32 v28, 2, v19
	v_xor_b32_e32 v19, 1, v16
	v_cmp_lt_i32_e64 s[2:3], v19, v18
	v_cndmask_b32_e64 v16, v16, v19, s[2:3]
	v_mul_lo_u32 v24, v17, s8
	v_lshlrev_b32_e32 v29, 2, v16
	v_mov_b32_e32 v23, 0
	v_mov_b32_e32 v30, 0x100
	;; [unrolled: 1-line block ×4, first 2 shown]
	s_branch .LBB286_10
.LBB286_8:                              ;   in Loop: Header=BB286_10 Depth=1
	s_or_b64 exec, exec, s[4:5]
.LBB286_9:                              ;   in Loop: Header=BB286_10 Depth=1
	s_cmp_eq_u32 s8, s25
	v_add_u32_e32 v32, s24, v32
	s_cbranch_scc1 .LBB286_33
.LBB286_10:                             ; =>This Inner Loop Header: Depth=1
	v_cmp_gt_f32_e64 s[2:3], v9, v8
	s_waitcnt lgkmcnt(0)
	v_cndmask_b32_e64 v19, v8, v9, s[2:3]
	v_cndmask_b32_e64 v16, 0, 1, s[2:3]
	v_cndmask_b32_e64 v18, v0, v1, s[2:3]
	v_cmp_gt_f32_e64 s[2:3], v10, v19
	v_cndmask_b32_e64 v19, v19, v10, s[2:3]
	v_cndmask_b32_e64 v16, v16, 2, s[2:3]
	v_cndmask_b32_e64 v18, v18, v2, s[2:3]
	v_cmp_gt_f32_e64 s[2:3], v11, v19
	;; [unrolled: 4-line block ×6, first 2 shown]
	v_cndmask_b32_e64 v16, v16, 7, s[2:3]
	v_cndmask_b32_e64 v33, v19, v15, s[2:3]
	v_or_b32_e32 v34, v22, v16
	v_cndmask_b32_e64 v16, v18, v7, s[2:3]
	ds_bpermute_b32 v36, v25, v33
	ds_bpermute_b32 v20, v25, v16
	;; [unrolled: 1-line block ×3, first 2 shown]
                                        ; implicit-def: $vgpr18_vgpr19
	s_waitcnt lgkmcnt(0)
	v_cmp_lt_f32_e64 s[6:7], v33, v36
	v_cmp_nlt_f32_e64 s[2:3], v33, v36
	s_and_saveexec_b64 s[22:23], s[2:3]
; %bb.11:                               ;   in Loop: Header=BB286_10 Depth=1
	v_cmp_eq_f32_e64 s[2:3], v33, v36
	v_cmp_lt_i32_e64 s[4:5], v35, v34
	s_and_b64 s[2:3], s[2:3], s[4:5]
	s_andn2_b64 s[4:5], s[6:7], exec
	s_and_b64 s[2:3], s[2:3], exec
	s_or_b64 s[6:7], s[4:5], s[2:3]
	v_pk_mov_b32 v[18:19], v[16:17], v[16:17] op_sel:[0,1]
; %bb.12:                               ;   in Loop: Header=BB286_10 Depth=1
	s_or_b64 exec, exec, s[22:23]
	s_and_saveexec_b64 s[2:3], s[6:7]
; %bb.13:                               ;   in Loop: Header=BB286_10 Depth=1
	v_mov_b32_e32 v33, v36
	v_mov_b32_e32 v16, v20
	;; [unrolled: 1-line block ×3, first 2 shown]
	v_pk_mov_b32 v[18:19], v[20:21], v[20:21] op_sel:[0,1]
; %bb.14:                               ;   in Loop: Header=BB286_10 Depth=1
	s_or_b64 exec, exec, s[2:3]
	ds_bpermute_b32 v35, v26, v33
	ds_bpermute_b32 v20, v26, v16
	;; [unrolled: 1-line block ×3, first 2 shown]
	s_waitcnt lgkmcnt(2)
	v_cmp_lt_f32_e64 s[6:7], v33, v35
	v_cmp_nlt_f32_e64 s[2:3], v33, v35
	s_and_saveexec_b64 s[22:23], s[2:3]
	s_cbranch_execz .LBB286_16
; %bb.15:                               ;   in Loop: Header=BB286_10 Depth=1
	v_cmp_eq_f32_e64 s[2:3], v33, v35
	s_waitcnt lgkmcnt(0)
	v_cmp_lt_i32_e64 s[4:5], v19, v34
	s_and_b64 s[2:3], s[2:3], s[4:5]
	s_andn2_b64 s[4:5], s[6:7], exec
	s_and_b64 s[2:3], s[2:3], exec
	s_or_b64 s[6:7], s[4:5], s[2:3]
.LBB286_16:                             ;   in Loop: Header=BB286_10 Depth=1
	s_or_b64 exec, exec, s[22:23]
	s_and_saveexec_b64 s[2:3], s[6:7]
	s_cbranch_execz .LBB286_18
; %bb.17:                               ;   in Loop: Header=BB286_10 Depth=1
	v_mov_b32_e32 v33, v35
	s_waitcnt lgkmcnt(1)
	v_mov_b32_e32 v16, v20
	s_waitcnt lgkmcnt(0)
	v_mov_b32_e32 v34, v19
	v_pk_mov_b32 v[18:19], v[20:21], v[20:21] op_sel:[0,1]
.LBB286_18:                             ;   in Loop: Header=BB286_10 Depth=1
	s_or_b64 exec, exec, s[2:3]
	ds_bpermute_b32 v35, v27, v33
	s_waitcnt lgkmcnt(2)
	ds_bpermute_b32 v20, v27, v16
	s_waitcnt lgkmcnt(2)
	;; [unrolled: 2-line block ×3, first 2 shown]
	v_cmp_lt_f32_e64 s[6:7], v33, v35
	v_cmp_nlt_f32_e64 s[2:3], v33, v35
	s_and_saveexec_b64 s[22:23], s[2:3]
	s_cbranch_execz .LBB286_20
; %bb.19:                               ;   in Loop: Header=BB286_10 Depth=1
	v_cmp_eq_f32_e64 s[2:3], v33, v35
	s_waitcnt lgkmcnt(0)
	v_cmp_lt_i32_e64 s[4:5], v19, v34
	s_and_b64 s[2:3], s[2:3], s[4:5]
	s_andn2_b64 s[4:5], s[6:7], exec
	s_and_b64 s[2:3], s[2:3], exec
	s_or_b64 s[6:7], s[4:5], s[2:3]
.LBB286_20:                             ;   in Loop: Header=BB286_10 Depth=1
	s_or_b64 exec, exec, s[22:23]
	s_and_saveexec_b64 s[2:3], s[6:7]
	s_cbranch_execz .LBB286_22
; %bb.21:                               ;   in Loop: Header=BB286_10 Depth=1
	v_mov_b32_e32 v33, v35
	s_waitcnt lgkmcnt(1)
	v_mov_b32_e32 v16, v20
	s_waitcnt lgkmcnt(0)
	v_mov_b32_e32 v34, v19
	v_pk_mov_b32 v[18:19], v[20:21], v[20:21] op_sel:[0,1]
.LBB286_22:                             ;   in Loop: Header=BB286_10 Depth=1
	s_or_b64 exec, exec, s[2:3]
	ds_bpermute_b32 v35, v28, v33
	s_waitcnt lgkmcnt(2)
	ds_bpermute_b32 v20, v28, v16
	s_waitcnt lgkmcnt(2)
	;; [unrolled: 2-line block ×3, first 2 shown]
	v_cmp_lt_f32_e64 s[6:7], v33, v35
	v_cmp_nlt_f32_e64 s[2:3], v33, v35
	s_and_saveexec_b64 s[22:23], s[2:3]
	s_cbranch_execz .LBB286_24
; %bb.23:                               ;   in Loop: Header=BB286_10 Depth=1
	v_cmp_eq_f32_e64 s[2:3], v33, v35
	s_waitcnt lgkmcnt(0)
	v_cmp_lt_i32_e64 s[4:5], v19, v34
	s_and_b64 s[2:3], s[2:3], s[4:5]
	s_andn2_b64 s[4:5], s[6:7], exec
	s_and_b64 s[2:3], s[2:3], exec
	s_or_b64 s[6:7], s[4:5], s[2:3]
.LBB286_24:                             ;   in Loop: Header=BB286_10 Depth=1
	s_or_b64 exec, exec, s[22:23]
	s_and_saveexec_b64 s[2:3], s[6:7]
	s_cbranch_execz .LBB286_26
; %bb.25:                               ;   in Loop: Header=BB286_10 Depth=1
	v_mov_b32_e32 v33, v35
	s_waitcnt lgkmcnt(1)
	v_mov_b32_e32 v16, v20
	s_waitcnt lgkmcnt(0)
	v_mov_b32_e32 v34, v19
	v_pk_mov_b32 v[18:19], v[20:21], v[20:21] op_sel:[0,1]
.LBB286_26:                             ;   in Loop: Header=BB286_10 Depth=1
	s_or_b64 exec, exec, s[2:3]
	s_waitcnt lgkmcnt(1)
	ds_bpermute_b32 v20, v29, v33
	ds_bpermute_b32 v35, v29, v34
	s_waitcnt lgkmcnt(2)
	ds_bpermute_b32 v19, v29, v16
	s_waitcnt lgkmcnt(2)
	v_cmp_eq_f32_e64 s[4:5], v33, v20
	s_waitcnt lgkmcnt(1)
	v_cmp_lt_i32_e64 s[6:7], v35, v34
	v_cmp_lt_f32_e64 s[2:3], v33, v20
	s_and_b64 s[4:5], s[4:5], s[6:7]
	s_or_b64 s[2:3], s[2:3], s[4:5]
	v_cndmask_b32_e64 v16, v34, v35, s[2:3]
	s_and_saveexec_b64 s[6:7], s[0:1]
	s_cbranch_execnz .LBB286_28
; %bb.27:                               ;   in Loop: Header=BB286_10 Depth=1
	s_or_b64 exec, exec, s[6:7]
	s_add_i32 s25, s25, 1
	s_cmp_ge_i32 s25, s8
	s_cbranch_scc1 .LBB286_9
	s_branch .LBB286_29
.LBB286_28:                             ;   in Loop: Header=BB286_10 Depth=1
	s_waitcnt lgkmcnt(0)
	v_cndmask_b32_e64 v20, v18, v19, s[2:3]
	v_add_u32_e32 v18, s25, v24
	v_ashrrev_i32_e32 v19, 31, v18
	v_cmp_le_i32_e64 s[2:3], s9, v16
	v_cmp_gt_i32_e64 s[4:5], s10, v16
	v_lshlrev_b64 v[18:19], 2, v[18:19]
	s_and_b64 s[4:5], s[2:3], s[4:5]
	v_mov_b32_e32 v33, s17
	v_add_co_u32_e64 v34, s[2:3], s16, v18
	v_addc_co_u32_e64 v35, s[2:3], v33, v19, s[2:3]
	v_subrev_u32_e32 v33, s9, v16
	s_and_b64 s[2:3], s[18:19], s[4:5]
	global_store_dword v[34:35], v20, off
	v_cndmask_b32_e64 v33, v30, v33, s[2:3]
	v_mov_b32_e32 v35, s13
	v_add_co_u32_e64 v34, s[2:3], s12, v18
	v_addc_co_u32_e64 v35, s[2:3], v35, v19, s[2:3]
	global_store_dword v[34:35], v33, off
	v_mov_b32_e32 v33, s15
	v_add_co_u32_e64 v18, s[2:3], s14, v18
	v_addc_co_u32_e64 v19, s[2:3], v33, v19, s[2:3]
	global_store_dword v[18:19], v32, off
	v_add_f32_e32 v18, v23, v20
	v_cndmask_b32_e32 v23, v23, v18, vcc
	s_or_b64 exec, exec, s[6:7]
	s_add_i32 s25, s25, 1
	s_cmp_ge_i32 s25, s8
	s_cbranch_scc1 .LBB286_9
.LBB286_29:                             ;   in Loop: Header=BB286_10 Depth=1
	v_ashrrev_i32_e32 v18, 31, v16
	s_waitcnt lgkmcnt(0)
	v_lshrrev_b32_e32 v19, 29, v18
	v_add_u32_e32 v20, v16, v19
	v_ashrrev_i32_e32 v19, 3, v20
	v_ashrrev_i32_e32 v20, 31, v20
	v_lshrrev_b32_e32 v20, 27, v20
	v_add_u32_e32 v20, v19, v20
	v_and_b32_e32 v20, 0xffffffe0, v20
	v_sub_u32_e32 v20, v19, v20
	v_cmp_eq_u32_e64 s[2:3], v21, v20
	s_and_saveexec_b64 s[4:5], s[2:3]
	s_cbranch_execz .LBB286_8
; %bb.30:                               ;   in Loop: Header=BB286_10 Depth=1
	v_add_u32_sdwa v18, v16, v18 dst_sel:DWORD dst_unused:UNUSED_PAD src0_sel:DWORD src1_sel:BYTE_3
	v_lshlrev_b32_e32 v19, 3, v19
	v_ashrrev_i32_e32 v18, 8, v18
	v_sub_u32_e32 v16, v16, v19
	v_lshl_add_u32 v16, v18, 3, v16
	v_cmp_ne_u32_e64 s[2:3], 7, v16
	v_cndmask_b32_e64 v15, v31, v15, s[2:3]
	v_cmp_ne_u32_e64 s[2:3], 6, v16
	v_cndmask_b32_e64 v14, v31, v14, s[2:3]
	;; [unrolled: 2-line block ×8, first 2 shown]
	s_branch .LBB286_8
.LBB286_31:
                                        ; implicit-def: $vgpr8_vgpr9_vgpr10_vgpr11_vgpr12_vgpr13_vgpr14_vgpr15
	s_andn2_b64 vcc, exec, s[8:9]
	s_cbranch_vccz .LBB286_5
	s_branch .LBB286_6
.LBB286_32:
	v_mov_b32_e32 v23, 0
.LBB286_33:
	v_cmp_eq_u32_e64 s[0:1], 0, v21
	s_and_b64 s[0:1], s[0:1], vcc
	s_and_b64 exec, exec, s[0:1]
	s_cbranch_execz .LBB286_42
; %bb.34:
	s_andn2_b64 vcc, exec, s[20:21]
	s_cbranch_vccnz .LBB286_42
; %bb.35:
	v_cmp_lt_f32_e32 vcc, 0, v23
	s_mov_b32 s2, 0
	v_cndmask_b32_e32 v0, 1.0, v23, vcc
	v_mul_lo_u32 v4, v17, s8
	s_cmp_eq_u32 s8, 1
	s_mov_b64 s[0:1], -1
	s_cbranch_scc1 .LBB286_39
; %bb.36:
	s_and_b32 s2, s8, 0x7ffffffe
	v_mov_b32_e32 v1, v0
	v_mov_b32_e32 v5, s17
	s_mov_b32 s3, s2
	v_mov_b32_e32 v2, v4
.LBB286_37:                             ; =>This Inner Loop Header: Depth=1
	v_ashrrev_i32_e32 v3, 31, v2
	v_lshlrev_b64 v[6:7], 2, v[2:3]
	v_add_co_u32_e32 v6, vcc, s16, v6
	v_addc_co_u32_e32 v7, vcc, v5, v7, vcc
	global_load_dwordx2 v[8:9], v[6:7], off
	s_add_i32 s3, s3, -2
	s_cmp_lg_u32 s3, 0
	v_add_u32_e32 v2, 2, v2
	s_waitcnt vmcnt(0)
	v_div_scale_f32 v3, s[0:1], v1, v1, v9
	v_div_scale_f32 v11, s[0:1], v0, v0, v8
	v_rcp_f32_e32 v12, v3
	v_rcp_f32_e32 v13, v11
	v_div_scale_f32 v10, vcc, v9, v1, v9
	v_fma_f32 v15, -v3, v12, 1.0
	v_fma_f32 v16, -v11, v13, 1.0
	v_fmac_f32_e32 v12, v15, v12
	v_div_scale_f32 v14, s[0:1], v8, v0, v8
	v_fmac_f32_e32 v13, v16, v13
	v_mul_f32_e32 v15, v10, v12
	v_mul_f32_e32 v16, v14, v13
	v_fma_f32 v17, -v3, v15, v10
	v_fma_f32 v18, -v11, v16, v14
	v_fmac_f32_e32 v15, v17, v12
	v_fmac_f32_e32 v16, v18, v13
	v_fma_f32 v3, -v3, v15, v10
	v_fma_f32 v10, -v11, v16, v14
	v_div_fmas_f32 v3, v3, v12, v15
	s_mov_b64 vcc, s[0:1]
	v_div_fixup_f32 v9, v3, v1, v9
	v_div_fmas_f32 v3, v10, v13, v16
	v_div_fixup_f32 v8, v3, v0, v8
	global_store_dwordx2 v[6:7], v[8:9], off
	s_cbranch_scc1 .LBB286_37
; %bb.38:
	s_cmp_lg_u32 s2, s8
	s_cselect_b64 s[0:1], -1, 0
.LBB286_39:
	s_and_b64 vcc, exec, s[0:1]
	s_cbranch_vccz .LBB286_42
; %bb.40:
	v_ashrrev_i32_e32 v1, 31, v4
	v_add_co_u32_e32 v2, vcc, s2, v4
	v_addc_co_u32_e32 v3, vcc, 0, v1, vcc
	v_lshlrev_b64 v[2:3], 2, v[2:3]
	v_mov_b32_e32 v1, s17
	v_add_co_u32_e32 v2, vcc, s16, v2
	s_sub_i32 s0, s8, s2
	v_addc_co_u32_e32 v3, vcc, v1, v3, vcc
.LBB286_41:                             ; =>This Inner Loop Header: Depth=1
	global_load_dword v1, v[2:3], off
	s_add_i32 s0, s0, -1
	s_cmp_lg_u32 s0, 0
	s_waitcnt vmcnt(0)
	v_div_scale_f32 v4, s[2:3], v0, v0, v1
	v_rcp_f32_e32 v5, v4
	v_div_scale_f32 v6, vcc, v1, v0, v1
	v_fma_f32 v7, -v4, v5, 1.0
	v_fmac_f32_e32 v5, v7, v5
	v_mul_f32_e32 v7, v6, v5
	v_fma_f32 v8, -v4, v7, v6
	v_fmac_f32_e32 v7, v8, v5
	v_fma_f32 v4, -v4, v7, v6
	v_div_fmas_f32 v4, v4, v5, v7
	v_div_fixup_f32 v1, v4, v0, v1
	global_store_dword v[2:3], v1, off
	v_add_co_u32_e32 v2, vcc, 4, v2
	v_addc_co_u32_e32 v3, vcc, 0, v3, vcc
	s_cbranch_scc1 .LBB286_41
.LBB286_42:
	s_endpgm
	.section	.rodata,"a",@progbits
	.p2align	6, 0x0
	.amdhsa_kernel _ZN4vllm3moe10topkGatingILi8ELi256ELi4ELi16ELi64Ej6__halfLNS0_11ScoringFuncE1EEEvPKT5_PKbPfiPT4_PiiiibPKf
		.amdhsa_group_segment_fixed_size 0
		.amdhsa_private_segment_fixed_size 0
		.amdhsa_kernarg_size 72
		.amdhsa_user_sgpr_count 6
		.amdhsa_user_sgpr_private_segment_buffer 1
		.amdhsa_user_sgpr_dispatch_ptr 0
		.amdhsa_user_sgpr_queue_ptr 0
		.amdhsa_user_sgpr_kernarg_segment_ptr 1
		.amdhsa_user_sgpr_dispatch_id 0
		.amdhsa_user_sgpr_flat_scratch_init 0
		.amdhsa_user_sgpr_kernarg_preload_length 0
		.amdhsa_user_sgpr_kernarg_preload_offset 0
		.amdhsa_user_sgpr_private_segment_size 0
		.amdhsa_uses_dynamic_stack 0
		.amdhsa_system_sgpr_private_segment_wavefront_offset 0
		.amdhsa_system_sgpr_workgroup_id_x 1
		.amdhsa_system_sgpr_workgroup_id_y 0
		.amdhsa_system_sgpr_workgroup_id_z 0
		.amdhsa_system_sgpr_workgroup_info 0
		.amdhsa_system_vgpr_workitem_id 1
		.amdhsa_next_free_vgpr 37
		.amdhsa_next_free_sgpr 26
		.amdhsa_accum_offset 40
		.amdhsa_reserve_vcc 1
		.amdhsa_reserve_flat_scratch 0
		.amdhsa_float_round_mode_32 0
		.amdhsa_float_round_mode_16_64 0
		.amdhsa_float_denorm_mode_32 3
		.amdhsa_float_denorm_mode_16_64 3
		.amdhsa_dx10_clamp 1
		.amdhsa_ieee_mode 1
		.amdhsa_fp16_overflow 0
		.amdhsa_tg_split 0
		.amdhsa_exception_fp_ieee_invalid_op 0
		.amdhsa_exception_fp_denorm_src 0
		.amdhsa_exception_fp_ieee_div_zero 0
		.amdhsa_exception_fp_ieee_overflow 0
		.amdhsa_exception_fp_ieee_underflow 0
		.amdhsa_exception_fp_ieee_inexact 0
		.amdhsa_exception_int_div_zero 0
	.end_amdhsa_kernel
	.section	.text._ZN4vllm3moe10topkGatingILi8ELi256ELi4ELi16ELi64Ej6__halfLNS0_11ScoringFuncE1EEEvPKT5_PKbPfiPT4_PiiiibPKf,"axG",@progbits,_ZN4vllm3moe10topkGatingILi8ELi256ELi4ELi16ELi64Ej6__halfLNS0_11ScoringFuncE1EEEvPKT5_PKbPfiPT4_PiiiibPKf,comdat
.Lfunc_end286:
	.size	_ZN4vllm3moe10topkGatingILi8ELi256ELi4ELi16ELi64Ej6__halfLNS0_11ScoringFuncE1EEEvPKT5_PKbPfiPT4_PiiiibPKf, .Lfunc_end286-_ZN4vllm3moe10topkGatingILi8ELi256ELi4ELi16ELi64Ej6__halfLNS0_11ScoringFuncE1EEEvPKT5_PKbPfiPT4_PiiiibPKf
                                        ; -- End function
	.section	.AMDGPU.csdata,"",@progbits
; Kernel info:
; codeLenInByte = 3176
; NumSgprs: 30
; NumVgprs: 37
; NumAgprs: 0
; TotalNumVgprs: 37
; ScratchSize: 0
; MemoryBound: 0
; FloatMode: 240
; IeeeMode: 1
; LDSByteSize: 0 bytes/workgroup (compile time only)
; SGPRBlocks: 3
; VGPRBlocks: 4
; NumSGPRsForWavesPerEU: 30
; NumVGPRsForWavesPerEU: 37
; AccumOffset: 40
; Occupancy: 8
; WaveLimiterHint : 0
; COMPUTE_PGM_RSRC2:SCRATCH_EN: 0
; COMPUTE_PGM_RSRC2:USER_SGPR: 6
; COMPUTE_PGM_RSRC2:TRAP_HANDLER: 0
; COMPUTE_PGM_RSRC2:TGID_X_EN: 1
; COMPUTE_PGM_RSRC2:TGID_Y_EN: 0
; COMPUTE_PGM_RSRC2:TGID_Z_EN: 0
; COMPUTE_PGM_RSRC2:TIDIG_COMP_CNT: 1
; COMPUTE_PGM_RSRC3_GFX90A:ACCUM_OFFSET: 9
; COMPUTE_PGM_RSRC3_GFX90A:TG_SPLIT: 0
	.section	.text._ZN4vllm3moe10topkGatingILi8ELi256ELi4ELi16ELi32Ej6__halfLNS0_11ScoringFuncE1EEEvPKT5_PKbPfiPT4_PiiiibPKf,"axG",@progbits,_ZN4vllm3moe10topkGatingILi8ELi256ELi4ELi16ELi32Ej6__halfLNS0_11ScoringFuncE1EEEvPKT5_PKbPfiPT4_PiiiibPKf,comdat
	.protected	_ZN4vllm3moe10topkGatingILi8ELi256ELi4ELi16ELi32Ej6__halfLNS0_11ScoringFuncE1EEEvPKT5_PKbPfiPT4_PiiiibPKf ; -- Begin function _ZN4vllm3moe10topkGatingILi8ELi256ELi4ELi16ELi32Ej6__halfLNS0_11ScoringFuncE1EEEvPKT5_PKbPfiPT4_PiiiibPKf
	.globl	_ZN4vllm3moe10topkGatingILi8ELi256ELi4ELi16ELi32Ej6__halfLNS0_11ScoringFuncE1EEEvPKT5_PKbPfiPT4_PiiiibPKf
	.p2align	8
	.type	_ZN4vllm3moe10topkGatingILi8ELi256ELi4ELi16ELi32Ej6__halfLNS0_11ScoringFuncE1EEEvPKT5_PKbPfiPT4_PiiiibPKf,@function
_ZN4vllm3moe10topkGatingILi8ELi256ELi4ELi16ELi32Ej6__halfLNS0_11ScoringFuncE1EEEvPKT5_PKbPfiPT4_PiiiibPKf: ; @_ZN4vllm3moe10topkGatingILi8ELi256ELi4ELi16ELi32Ej6__halfLNS0_11ScoringFuncE1EEEvPKT5_PKbPfiPT4_PiiiibPKf
; %bb.0:
	s_load_dword s24, s[4:5], 0x18
	v_and_b32_e32 v1, 0x3ff, v0
	s_lshl_b32 s0, s6, 2
	v_lshrrev_b32_e32 v2, 5, v1
	v_bfe_u32 v0, v0, 10, 10
	v_add3_u32 v17, s0, v0, v2
	s_waitcnt lgkmcnt(0)
	v_cmp_gt_i32_e32 vcc, s24, v17
	s_and_saveexec_b64 s[0:1], vcc
	s_cbranch_execz .LBB287_42
; %bb.1:
	s_load_dwordx4 s[0:3], s[4:5], 0x0
	s_load_dwordx2 s[16:17], s[4:5], 0x10
	s_mov_b64 s[8:9], -1
	s_mov_b64 s[18:19], -1
	s_waitcnt lgkmcnt(0)
	s_cmp_eq_u64 s[2:3], 0
	s_cbranch_scc1 .LBB287_3
; %bb.2:
	v_ashrrev_i32_e32 v0, 31, v17
	v_mov_b32_e32 v3, s3
	v_add_co_u32_e32 v2, vcc, s2, v17
	v_addc_co_u32_e32 v3, vcc, v3, v0, vcc
	global_load_ubyte v0, v[2:3], off
	s_waitcnt vmcnt(0)
	v_and_b32_e32 v0, 1, v0
	v_cmp_eq_u32_e32 vcc, 1, v0
	s_xor_b64 s[2:3], vcc, -1
	s_orn2_b64 s[18:19], s[2:3], exec
.LBB287_3:
	v_lshlrev_b32_e32 v2, 8, v17
	v_ashrrev_i32_e32 v3, 31, v2
	v_lshlrev_b64 v[2:3], 1, v[2:3]
	v_mov_b32_e32 v0, s1
	v_add_co_u32_e32 v2, vcc, s0, v2
	v_and_b32_e32 v21, 31, v1
	v_addc_co_u32_e32 v3, vcc, v0, v3, vcc
	v_lshlrev_b32_e32 v0, 4, v21
	v_add_co_u32_e32 v0, vcc, v2, v0
	v_addc_co_u32_e32 v1, vcc, 0, v3, vcc
	global_load_dwordx4 v[0:3], v[0:1], off
	v_mov_b32_e32 v8, 0x207
	s_load_dwordx2 s[10:11], s[4:5], 0x40
	v_lshlrev_b32_e32 v22, 3, v21
	s_waitcnt lgkmcnt(0)
	s_cmp_eq_u64 s[10:11], 0
	s_waitcnt vmcnt(0)
	v_cvt_f32_f16_e32 v4, v0
	v_cvt_f32_f16_sdwa v0, v0 dst_sel:DWORD dst_unused:UNUSED_PAD src0_sel:WORD_1
	v_cvt_f32_f16_e32 v5, v1
	v_cvt_f32_f16_sdwa v1, v1 dst_sel:DWORD dst_unused:UNUSED_PAD src0_sel:WORD_1
	v_mul_f32_e32 v4, 0xbfb8aa3b, v4
	v_mul_f32_e32 v9, 0xbfb8aa3b, v0
	v_cvt_f32_f16_e32 v6, v2
	v_cvt_f32_f16_sdwa v2, v2 dst_sel:DWORD dst_unused:UNUSED_PAD src0_sel:WORD_1
	v_cvt_f32_f16_e32 v7, v3
	v_cvt_f32_f16_sdwa v3, v3 dst_sel:DWORD dst_unused:UNUSED_PAD src0_sel:WORD_1
	v_mul_f32_e32 v10, 0xbfb8aa3b, v1
	v_exp_f32_e32 v0, v4
	v_exp_f32_e32 v1, v9
	v_mul_f32_e32 v5, 0xbfb8aa3b, v5
	v_mul_f32_e32 v11, 0xbfb8aa3b, v2
	;; [unrolled: 1-line block ×3, first 2 shown]
	v_exp_f32_e32 v2, v5
	v_exp_f32_e32 v3, v10
	v_pk_add_f32 v[0:1], v[0:1], 1.0 op_sel_hi:[1,0]
	v_div_scale_f32 v9, s[0:1], v1, v1, 1.0
	v_rcp_f32_e32 v19, v9
	v_exp_f32_e32 v5, v11
	v_div_scale_f32 v11, s[0:1], v0, v0, 1.0
	v_pk_add_f32 v[2:3], v[2:3], 1.0 op_sel_hi:[1,0]
	v_rcp_f32_e32 v20, v11
	v_div_scale_f32 v13, s[2:3], v3, v3, 1.0
	v_rcp_f32_e32 v23, v13
	v_fma_f32 v26, -v9, v19, 1.0
	v_div_scale_f32 v10, vcc, 1.0, v1, 1.0
	v_div_scale_f32 v15, s[6:7], v2, v2, 1.0
	v_fmac_f32_e32 v19, v26, v19
	v_mul_f32_e32 v6, 0xbfb8aa3b, v6
	v_mul_f32_e32 v7, 0xbfb8aa3b, v7
	v_rcp_f32_e32 v24, v15
	v_fma_f32 v27, -v11, v20, 1.0
	v_mul_f32_e32 v26, v10, v19
	v_exp_f32_e32 v4, v6
	v_exp_f32_e32 v6, v7
	;; [unrolled: 1-line block ×3, first 2 shown]
	v_div_scale_f32 v12, s[0:1], 1.0, v0, 1.0
	v_fmac_f32_e32 v20, v27, v20
	v_fma_f32 v30, -v9, v26, v10
	v_fma_f32 v28, -v13, v23, 1.0
	v_mul_f32_e32 v27, v12, v20
	v_fmac_f32_e32 v26, v30, v19
	v_div_scale_f32 v14, s[2:3], 1.0, v3, 1.0
	v_fmac_f32_e32 v23, v28, v23
	v_fma_f32 v31, -v11, v27, v12
	v_fma_f32 v9, -v9, v26, v10
	v_fma_f32 v29, -v15, v24, 1.0
	v_mul_f32_e32 v28, v14, v23
	v_fmac_f32_e32 v27, v31, v20
	v_div_fmas_f32 v9, v9, v19, v26
	v_div_scale_f32 v16, s[6:7], 1.0, v2, 1.0
	v_fmac_f32_e32 v24, v29, v24
	v_fma_f32 v32, -v13, v28, v14
	v_fma_f32 v10, -v11, v27, v12
	v_div_fixup_f32 v1, v9, v1, 1.0
	s_mov_b64 vcc, s[0:1]
	v_pk_add_f32 v[4:5], v[4:5], 1.0 op_sel_hi:[1,0]
	v_mul_f32_e32 v29, v16, v24
	v_fmac_f32_e32 v28, v32, v23
	v_div_fmas_f32 v9, v10, v20, v27
	v_cmp_class_f32_e32 vcc, v1, v8
	v_div_scale_f32 v18, s[12:13], v5, v5, 1.0
	v_fma_f32 v33, -v15, v29, v16
	v_fma_f32 v11, -v13, v28, v14
	v_div_fixup_f32 v0, v9, v0, 1.0
	v_cndmask_b32_e64 v1, v1, 0, vcc
	s_mov_b64 vcc, s[2:3]
	v_rcp_f32_e32 v25, v18
	v_fmac_f32_e32 v29, v33, v24
	v_div_fmas_f32 v9, v11, v23, v28
	v_cmp_class_f32_e32 vcc, v0, v8
	v_fma_f32 v12, -v15, v29, v16
	v_cndmask_b32_e64 v0, v0, 0, vcc
	s_mov_b64 vcc, s[6:7]
	v_div_fixup_f32 v3, v9, v3, 1.0
	v_div_fmas_f32 v9, v12, v24, v29
	v_div_fixup_f32 v2, v9, v2, 1.0
	v_cmp_class_f32_e32 vcc, v3, v8
	v_cndmask_b32_e64 v3, v3, 0, vcc
	v_cmp_class_f32_e32 vcc, v2, v8
	v_fma_f32 v9, -v18, v25, 1.0
	v_cndmask_b32_e64 v2, v2, 0, vcc
	v_fmac_f32_e32 v25, v9, v25
	v_div_scale_f32 v9, vcc, 1.0, v5, 1.0
	v_mul_f32_e32 v10, v9, v25
	v_fma_f32 v11, -v18, v10, v9
	v_fmac_f32_e32 v10, v11, v25
	v_div_scale_f32 v11, s[0:1], v4, v4, 1.0
	v_rcp_f32_e32 v12, v11
	v_fma_f32 v9, -v18, v10, v9
	v_div_fmas_f32 v9, v9, v25, v10
	v_div_fixup_f32 v5, v9, v5, 1.0
	v_fma_f32 v9, -v11, v12, 1.0
	v_fmac_f32_e32 v12, v9, v12
	v_div_scale_f32 v9, vcc, 1.0, v4, 1.0
	v_mul_f32_e32 v10, v9, v12
	v_fma_f32 v13, -v11, v10, v9
	v_fmac_f32_e32 v10, v13, v12
	v_fma_f32 v9, -v11, v10, v9
	v_div_fmas_f32 v9, v9, v12, v10
	v_pk_add_f32 v[6:7], v[6:7], 1.0 op_sel_hi:[1,0]
	v_div_fixup_f32 v4, v9, v4, 1.0
	v_div_scale_f32 v9, s[0:1], v7, v7, 1.0
	v_rcp_f32_e32 v10, v9
	v_cmp_class_f32_e32 vcc, v5, v8
	v_cndmask_b32_e64 v5, v5, 0, vcc
	v_cmp_class_f32_e32 vcc, v4, v8
	v_fma_f32 v11, -v9, v10, 1.0
	v_cndmask_b32_e64 v4, v4, 0, vcc
	v_fmac_f32_e32 v10, v11, v10
	v_div_scale_f32 v11, vcc, 1.0, v7, 1.0
	v_mul_f32_e32 v12, v11, v10
	v_fma_f32 v13, -v9, v12, v11
	v_fmac_f32_e32 v12, v13, v10
	v_fma_f32 v9, -v9, v12, v11
	v_div_scale_f32 v11, s[0:1], v6, v6, 1.0
	v_rcp_f32_e32 v13, v11
	v_div_fmas_f32 v9, v9, v10, v12
	v_div_fixup_f32 v7, v9, v7, 1.0
	v_fma_f32 v9, -v11, v13, 1.0
	v_fmac_f32_e32 v13, v9, v13
	v_div_scale_f32 v9, vcc, 1.0, v6, 1.0
	v_mul_f32_e32 v10, v9, v13
	v_fma_f32 v12, -v11, v10, v9
	v_fmac_f32_e32 v10, v12, v13
	v_fma_f32 v9, -v11, v10, v9
	v_div_fmas_f32 v9, v9, v13, v10
	v_div_fixup_f32 v6, v9, v6, 1.0
	v_cmp_class_f32_e32 vcc, v7, v8
	v_cndmask_b32_e64 v7, v7, 0, vcc
	v_cmp_class_f32_e32 vcc, v6, v8
	v_cndmask_b32_e64 v6, v6, 0, vcc
	s_cbranch_scc1 .LBB287_31
; %bb.4:
	v_lshlrev_b32_e32 v16, 2, v22
	global_load_dwordx4 v[8:11], v16, s[10:11]
	global_load_dwordx4 v[12:15], v16, s[10:11] offset:16
	s_waitcnt vmcnt(1)
	v_pk_add_f32 v[8:9], v[8:9], v[0:1]
	v_pk_add_f32 v[10:11], v[10:11], v[2:3]
	s_waitcnt vmcnt(0)
	v_pk_add_f32 v[12:13], v[12:13], v[4:5]
	v_pk_add_f32 v[14:15], v[14:15], v[6:7]
	s_cbranch_execnz .LBB287_6
.LBB287_5:
	v_pk_mov_b32 v[14:15], v[6:7], v[6:7] op_sel:[0,1]
	v_pk_mov_b32 v[12:13], v[4:5], v[4:5] op_sel:[0,1]
	;; [unrolled: 1-line block ×4, first 2 shown]
.LBB287_6:
	s_load_dwordx4 s[8:11], s[4:5], 0x30
	s_mov_b32 s25, 0
	v_cmp_eq_u32_e64 s[0:1], 0, v21
	s_waitcnt lgkmcnt(0)
	s_bitcmp1_b32 s11, 0
	s_cselect_b64 vcc, -1, 0
	s_cmp_gt_i32 s8, 0
	s_cselect_b64 s[20:21], -1, 0
	s_cmp_lt_i32 s8, 1
	s_cbranch_scc1 .LBB287_32
; %bb.7:
	v_mbcnt_lo_u32_b32 v16, -1, 0
	v_mbcnt_hi_u32_b32 v16, -1, v16
	v_and_b32_e32 v18, 0x60, v16
	v_add_u32_e32 v18, 32, v18
	v_xor_b32_e32 v19, 16, v16
	v_cmp_lt_i32_e64 s[2:3], v19, v18
	v_cndmask_b32_e64 v19, v16, v19, s[2:3]
	v_lshlrev_b32_e32 v25, 2, v19
	v_xor_b32_e32 v19, 8, v16
	v_cmp_lt_i32_e64 s[2:3], v19, v18
	v_cndmask_b32_e64 v19, v16, v19, s[2:3]
	v_lshlrev_b32_e32 v26, 2, v19
	;; [unrolled: 4-line block ×3, first 2 shown]
	v_xor_b32_e32 v19, 2, v16
	v_cmp_lt_i32_e64 s[2:3], v19, v18
	s_load_dwordx4 s[12:15], s[4:5], 0x20
	v_cndmask_b32_e64 v19, v16, v19, s[2:3]
	v_lshlrev_b32_e32 v28, 2, v19
	v_xor_b32_e32 v19, 1, v16
	v_cmp_lt_i32_e64 s[2:3], v19, v18
	v_cndmask_b32_e64 v16, v16, v19, s[2:3]
	v_mul_lo_u32 v24, v17, s8
	v_lshlrev_b32_e32 v29, 2, v16
	v_mov_b32_e32 v23, 0
	v_mov_b32_e32 v30, 0x100
	;; [unrolled: 1-line block ×4, first 2 shown]
	s_branch .LBB287_10
.LBB287_8:                              ;   in Loop: Header=BB287_10 Depth=1
	s_or_b64 exec, exec, s[4:5]
.LBB287_9:                              ;   in Loop: Header=BB287_10 Depth=1
	s_cmp_eq_u32 s8, s25
	v_add_u32_e32 v32, s24, v32
	s_cbranch_scc1 .LBB287_33
.LBB287_10:                             ; =>This Inner Loop Header: Depth=1
	v_cmp_gt_f32_e64 s[2:3], v9, v8
	s_waitcnt lgkmcnt(0)
	v_cndmask_b32_e64 v19, v8, v9, s[2:3]
	v_cndmask_b32_e64 v16, 0, 1, s[2:3]
	v_cndmask_b32_e64 v18, v0, v1, s[2:3]
	v_cmp_gt_f32_e64 s[2:3], v10, v19
	v_cndmask_b32_e64 v19, v19, v10, s[2:3]
	v_cndmask_b32_e64 v16, v16, 2, s[2:3]
	v_cndmask_b32_e64 v18, v18, v2, s[2:3]
	v_cmp_gt_f32_e64 s[2:3], v11, v19
	;; [unrolled: 4-line block ×6, first 2 shown]
	v_cndmask_b32_e64 v16, v16, 7, s[2:3]
	v_cndmask_b32_e64 v33, v19, v15, s[2:3]
	v_or_b32_e32 v34, v22, v16
	v_cndmask_b32_e64 v16, v18, v7, s[2:3]
	ds_bpermute_b32 v36, v25, v33
	ds_bpermute_b32 v20, v25, v16
	;; [unrolled: 1-line block ×3, first 2 shown]
                                        ; implicit-def: $vgpr18_vgpr19
	s_waitcnt lgkmcnt(0)
	v_cmp_lt_f32_e64 s[6:7], v33, v36
	v_cmp_nlt_f32_e64 s[2:3], v33, v36
	s_and_saveexec_b64 s[22:23], s[2:3]
; %bb.11:                               ;   in Loop: Header=BB287_10 Depth=1
	v_cmp_eq_f32_e64 s[2:3], v33, v36
	v_cmp_lt_i32_e64 s[4:5], v35, v34
	s_and_b64 s[2:3], s[2:3], s[4:5]
	s_andn2_b64 s[4:5], s[6:7], exec
	s_and_b64 s[2:3], s[2:3], exec
	s_or_b64 s[6:7], s[4:5], s[2:3]
	v_pk_mov_b32 v[18:19], v[16:17], v[16:17] op_sel:[0,1]
; %bb.12:                               ;   in Loop: Header=BB287_10 Depth=1
	s_or_b64 exec, exec, s[22:23]
	s_and_saveexec_b64 s[2:3], s[6:7]
; %bb.13:                               ;   in Loop: Header=BB287_10 Depth=1
	v_mov_b32_e32 v33, v36
	v_mov_b32_e32 v16, v20
	;; [unrolled: 1-line block ×3, first 2 shown]
	v_pk_mov_b32 v[18:19], v[20:21], v[20:21] op_sel:[0,1]
; %bb.14:                               ;   in Loop: Header=BB287_10 Depth=1
	s_or_b64 exec, exec, s[2:3]
	ds_bpermute_b32 v35, v26, v33
	ds_bpermute_b32 v20, v26, v16
	;; [unrolled: 1-line block ×3, first 2 shown]
	s_waitcnt lgkmcnt(2)
	v_cmp_lt_f32_e64 s[6:7], v33, v35
	v_cmp_nlt_f32_e64 s[2:3], v33, v35
	s_and_saveexec_b64 s[22:23], s[2:3]
	s_cbranch_execz .LBB287_16
; %bb.15:                               ;   in Loop: Header=BB287_10 Depth=1
	v_cmp_eq_f32_e64 s[2:3], v33, v35
	s_waitcnt lgkmcnt(0)
	v_cmp_lt_i32_e64 s[4:5], v19, v34
	s_and_b64 s[2:3], s[2:3], s[4:5]
	s_andn2_b64 s[4:5], s[6:7], exec
	s_and_b64 s[2:3], s[2:3], exec
	s_or_b64 s[6:7], s[4:5], s[2:3]
.LBB287_16:                             ;   in Loop: Header=BB287_10 Depth=1
	s_or_b64 exec, exec, s[22:23]
	s_and_saveexec_b64 s[2:3], s[6:7]
	s_cbranch_execz .LBB287_18
; %bb.17:                               ;   in Loop: Header=BB287_10 Depth=1
	v_mov_b32_e32 v33, v35
	s_waitcnt lgkmcnt(1)
	v_mov_b32_e32 v16, v20
	s_waitcnt lgkmcnt(0)
	v_mov_b32_e32 v34, v19
	v_pk_mov_b32 v[18:19], v[20:21], v[20:21] op_sel:[0,1]
.LBB287_18:                             ;   in Loop: Header=BB287_10 Depth=1
	s_or_b64 exec, exec, s[2:3]
	ds_bpermute_b32 v35, v27, v33
	s_waitcnt lgkmcnt(2)
	ds_bpermute_b32 v20, v27, v16
	s_waitcnt lgkmcnt(2)
	;; [unrolled: 2-line block ×3, first 2 shown]
	v_cmp_lt_f32_e64 s[6:7], v33, v35
	v_cmp_nlt_f32_e64 s[2:3], v33, v35
	s_and_saveexec_b64 s[22:23], s[2:3]
	s_cbranch_execz .LBB287_20
; %bb.19:                               ;   in Loop: Header=BB287_10 Depth=1
	v_cmp_eq_f32_e64 s[2:3], v33, v35
	s_waitcnt lgkmcnt(0)
	v_cmp_lt_i32_e64 s[4:5], v19, v34
	s_and_b64 s[2:3], s[2:3], s[4:5]
	s_andn2_b64 s[4:5], s[6:7], exec
	s_and_b64 s[2:3], s[2:3], exec
	s_or_b64 s[6:7], s[4:5], s[2:3]
.LBB287_20:                             ;   in Loop: Header=BB287_10 Depth=1
	s_or_b64 exec, exec, s[22:23]
	s_and_saveexec_b64 s[2:3], s[6:7]
	s_cbranch_execz .LBB287_22
; %bb.21:                               ;   in Loop: Header=BB287_10 Depth=1
	v_mov_b32_e32 v33, v35
	s_waitcnt lgkmcnt(1)
	v_mov_b32_e32 v16, v20
	s_waitcnt lgkmcnt(0)
	v_mov_b32_e32 v34, v19
	v_pk_mov_b32 v[18:19], v[20:21], v[20:21] op_sel:[0,1]
.LBB287_22:                             ;   in Loop: Header=BB287_10 Depth=1
	s_or_b64 exec, exec, s[2:3]
	ds_bpermute_b32 v35, v28, v33
	s_waitcnt lgkmcnt(2)
	ds_bpermute_b32 v20, v28, v16
	s_waitcnt lgkmcnt(2)
	;; [unrolled: 2-line block ×3, first 2 shown]
	v_cmp_lt_f32_e64 s[6:7], v33, v35
	v_cmp_nlt_f32_e64 s[2:3], v33, v35
	s_and_saveexec_b64 s[22:23], s[2:3]
	s_cbranch_execz .LBB287_24
; %bb.23:                               ;   in Loop: Header=BB287_10 Depth=1
	v_cmp_eq_f32_e64 s[2:3], v33, v35
	s_waitcnt lgkmcnt(0)
	v_cmp_lt_i32_e64 s[4:5], v19, v34
	s_and_b64 s[2:3], s[2:3], s[4:5]
	s_andn2_b64 s[4:5], s[6:7], exec
	s_and_b64 s[2:3], s[2:3], exec
	s_or_b64 s[6:7], s[4:5], s[2:3]
.LBB287_24:                             ;   in Loop: Header=BB287_10 Depth=1
	s_or_b64 exec, exec, s[22:23]
	s_and_saveexec_b64 s[2:3], s[6:7]
	s_cbranch_execz .LBB287_26
; %bb.25:                               ;   in Loop: Header=BB287_10 Depth=1
	v_mov_b32_e32 v33, v35
	s_waitcnt lgkmcnt(1)
	v_mov_b32_e32 v16, v20
	s_waitcnt lgkmcnt(0)
	v_mov_b32_e32 v34, v19
	v_pk_mov_b32 v[18:19], v[20:21], v[20:21] op_sel:[0,1]
.LBB287_26:                             ;   in Loop: Header=BB287_10 Depth=1
	s_or_b64 exec, exec, s[2:3]
	s_waitcnt lgkmcnt(1)
	ds_bpermute_b32 v20, v29, v33
	ds_bpermute_b32 v35, v29, v34
	s_waitcnt lgkmcnt(2)
	ds_bpermute_b32 v19, v29, v16
	s_waitcnt lgkmcnt(2)
	v_cmp_eq_f32_e64 s[4:5], v33, v20
	s_waitcnt lgkmcnt(1)
	v_cmp_lt_i32_e64 s[6:7], v35, v34
	v_cmp_lt_f32_e64 s[2:3], v33, v20
	s_and_b64 s[4:5], s[4:5], s[6:7]
	s_or_b64 s[2:3], s[2:3], s[4:5]
	v_cndmask_b32_e64 v16, v34, v35, s[2:3]
	s_and_saveexec_b64 s[6:7], s[0:1]
	s_cbranch_execnz .LBB287_28
; %bb.27:                               ;   in Loop: Header=BB287_10 Depth=1
	s_or_b64 exec, exec, s[6:7]
	s_add_i32 s25, s25, 1
	s_cmp_ge_i32 s25, s8
	s_cbranch_scc1 .LBB287_9
	s_branch .LBB287_29
.LBB287_28:                             ;   in Loop: Header=BB287_10 Depth=1
	s_waitcnt lgkmcnt(0)
	v_cndmask_b32_e64 v20, v18, v19, s[2:3]
	v_add_u32_e32 v18, s25, v24
	v_ashrrev_i32_e32 v19, 31, v18
	v_cmp_le_i32_e64 s[2:3], s9, v16
	v_cmp_gt_i32_e64 s[4:5], s10, v16
	v_lshlrev_b64 v[18:19], 2, v[18:19]
	s_and_b64 s[4:5], s[2:3], s[4:5]
	v_mov_b32_e32 v33, s17
	v_add_co_u32_e64 v34, s[2:3], s16, v18
	v_addc_co_u32_e64 v35, s[2:3], v33, v19, s[2:3]
	v_subrev_u32_e32 v33, s9, v16
	s_and_b64 s[2:3], s[18:19], s[4:5]
	global_store_dword v[34:35], v20, off
	v_cndmask_b32_e64 v33, v30, v33, s[2:3]
	v_mov_b32_e32 v35, s13
	v_add_co_u32_e64 v34, s[2:3], s12, v18
	v_addc_co_u32_e64 v35, s[2:3], v35, v19, s[2:3]
	global_store_dword v[34:35], v33, off
	v_mov_b32_e32 v33, s15
	v_add_co_u32_e64 v18, s[2:3], s14, v18
	v_addc_co_u32_e64 v19, s[2:3], v33, v19, s[2:3]
	global_store_dword v[18:19], v32, off
	v_add_f32_e32 v18, v23, v20
	v_cndmask_b32_e32 v23, v23, v18, vcc
	s_or_b64 exec, exec, s[6:7]
	s_add_i32 s25, s25, 1
	s_cmp_ge_i32 s25, s8
	s_cbranch_scc1 .LBB287_9
.LBB287_29:                             ;   in Loop: Header=BB287_10 Depth=1
	v_ashrrev_i32_e32 v18, 31, v16
	s_waitcnt lgkmcnt(0)
	v_lshrrev_b32_e32 v19, 29, v18
	v_add_u32_e32 v20, v16, v19
	v_ashrrev_i32_e32 v19, 3, v20
	v_ashrrev_i32_e32 v20, 31, v20
	v_lshrrev_b32_e32 v20, 27, v20
	v_add_u32_e32 v20, v19, v20
	v_and_b32_e32 v20, 0xffffffe0, v20
	v_sub_u32_e32 v20, v19, v20
	v_cmp_eq_u32_e64 s[2:3], v21, v20
	s_and_saveexec_b64 s[4:5], s[2:3]
	s_cbranch_execz .LBB287_8
; %bb.30:                               ;   in Loop: Header=BB287_10 Depth=1
	v_add_u32_sdwa v18, v16, v18 dst_sel:DWORD dst_unused:UNUSED_PAD src0_sel:DWORD src1_sel:BYTE_3
	v_lshlrev_b32_e32 v19, 3, v19
	v_ashrrev_i32_e32 v18, 8, v18
	v_sub_u32_e32 v16, v16, v19
	v_lshl_add_u32 v16, v18, 3, v16
	v_cmp_ne_u32_e64 s[2:3], 7, v16
	v_cndmask_b32_e64 v15, v31, v15, s[2:3]
	v_cmp_ne_u32_e64 s[2:3], 6, v16
	v_cndmask_b32_e64 v14, v31, v14, s[2:3]
	;; [unrolled: 2-line block ×8, first 2 shown]
	s_branch .LBB287_8
.LBB287_31:
                                        ; implicit-def: $vgpr8_vgpr9_vgpr10_vgpr11_vgpr12_vgpr13_vgpr14_vgpr15
	s_andn2_b64 vcc, exec, s[8:9]
	s_cbranch_vccz .LBB287_5
	s_branch .LBB287_6
.LBB287_32:
	v_mov_b32_e32 v23, 0
.LBB287_33:
	v_cmp_eq_u32_e64 s[0:1], 0, v21
	s_and_b64 s[0:1], s[0:1], vcc
	s_and_b64 exec, exec, s[0:1]
	s_cbranch_execz .LBB287_42
; %bb.34:
	s_andn2_b64 vcc, exec, s[20:21]
	s_cbranch_vccnz .LBB287_42
; %bb.35:
	v_cmp_lt_f32_e32 vcc, 0, v23
	s_mov_b32 s2, 0
	v_cndmask_b32_e32 v0, 1.0, v23, vcc
	v_mul_lo_u32 v4, v17, s8
	s_cmp_eq_u32 s8, 1
	s_mov_b64 s[0:1], -1
	s_cbranch_scc1 .LBB287_39
; %bb.36:
	s_and_b32 s2, s8, 0x7ffffffe
	v_mov_b32_e32 v1, v0
	v_mov_b32_e32 v5, s17
	s_mov_b32 s3, s2
	v_mov_b32_e32 v2, v4
.LBB287_37:                             ; =>This Inner Loop Header: Depth=1
	v_ashrrev_i32_e32 v3, 31, v2
	v_lshlrev_b64 v[6:7], 2, v[2:3]
	v_add_co_u32_e32 v6, vcc, s16, v6
	v_addc_co_u32_e32 v7, vcc, v5, v7, vcc
	global_load_dwordx2 v[8:9], v[6:7], off
	s_add_i32 s3, s3, -2
	s_cmp_lg_u32 s3, 0
	v_add_u32_e32 v2, 2, v2
	s_waitcnt vmcnt(0)
	v_div_scale_f32 v3, s[0:1], v1, v1, v9
	v_div_scale_f32 v11, s[0:1], v0, v0, v8
	v_rcp_f32_e32 v12, v3
	v_rcp_f32_e32 v13, v11
	v_div_scale_f32 v10, vcc, v9, v1, v9
	v_fma_f32 v15, -v3, v12, 1.0
	v_fma_f32 v16, -v11, v13, 1.0
	v_fmac_f32_e32 v12, v15, v12
	v_div_scale_f32 v14, s[0:1], v8, v0, v8
	v_fmac_f32_e32 v13, v16, v13
	v_mul_f32_e32 v15, v10, v12
	v_mul_f32_e32 v16, v14, v13
	v_fma_f32 v17, -v3, v15, v10
	v_fma_f32 v18, -v11, v16, v14
	v_fmac_f32_e32 v15, v17, v12
	v_fmac_f32_e32 v16, v18, v13
	v_fma_f32 v3, -v3, v15, v10
	v_fma_f32 v10, -v11, v16, v14
	v_div_fmas_f32 v3, v3, v12, v15
	s_mov_b64 vcc, s[0:1]
	v_div_fixup_f32 v9, v3, v1, v9
	v_div_fmas_f32 v3, v10, v13, v16
	v_div_fixup_f32 v8, v3, v0, v8
	global_store_dwordx2 v[6:7], v[8:9], off
	s_cbranch_scc1 .LBB287_37
; %bb.38:
	s_cmp_lg_u32 s2, s8
	s_cselect_b64 s[0:1], -1, 0
.LBB287_39:
	s_and_b64 vcc, exec, s[0:1]
	s_cbranch_vccz .LBB287_42
; %bb.40:
	v_ashrrev_i32_e32 v1, 31, v4
	v_add_co_u32_e32 v2, vcc, s2, v4
	v_addc_co_u32_e32 v3, vcc, 0, v1, vcc
	v_lshlrev_b64 v[2:3], 2, v[2:3]
	v_mov_b32_e32 v1, s17
	v_add_co_u32_e32 v2, vcc, s16, v2
	s_sub_i32 s0, s8, s2
	v_addc_co_u32_e32 v3, vcc, v1, v3, vcc
.LBB287_41:                             ; =>This Inner Loop Header: Depth=1
	global_load_dword v1, v[2:3], off
	s_add_i32 s0, s0, -1
	s_cmp_lg_u32 s0, 0
	s_waitcnt vmcnt(0)
	v_div_scale_f32 v4, s[2:3], v0, v0, v1
	v_rcp_f32_e32 v5, v4
	v_div_scale_f32 v6, vcc, v1, v0, v1
	v_fma_f32 v7, -v4, v5, 1.0
	v_fmac_f32_e32 v5, v7, v5
	v_mul_f32_e32 v7, v6, v5
	v_fma_f32 v8, -v4, v7, v6
	v_fmac_f32_e32 v7, v8, v5
	v_fma_f32 v4, -v4, v7, v6
	v_div_fmas_f32 v4, v4, v5, v7
	v_div_fixup_f32 v1, v4, v0, v1
	global_store_dword v[2:3], v1, off
	v_add_co_u32_e32 v2, vcc, 4, v2
	v_addc_co_u32_e32 v3, vcc, 0, v3, vcc
	s_cbranch_scc1 .LBB287_41
.LBB287_42:
	s_endpgm
	.section	.rodata,"a",@progbits
	.p2align	6, 0x0
	.amdhsa_kernel _ZN4vllm3moe10topkGatingILi8ELi256ELi4ELi16ELi32Ej6__halfLNS0_11ScoringFuncE1EEEvPKT5_PKbPfiPT4_PiiiibPKf
		.amdhsa_group_segment_fixed_size 0
		.amdhsa_private_segment_fixed_size 0
		.amdhsa_kernarg_size 72
		.amdhsa_user_sgpr_count 6
		.amdhsa_user_sgpr_private_segment_buffer 1
		.amdhsa_user_sgpr_dispatch_ptr 0
		.amdhsa_user_sgpr_queue_ptr 0
		.amdhsa_user_sgpr_kernarg_segment_ptr 1
		.amdhsa_user_sgpr_dispatch_id 0
		.amdhsa_user_sgpr_flat_scratch_init 0
		.amdhsa_user_sgpr_kernarg_preload_length 0
		.amdhsa_user_sgpr_kernarg_preload_offset 0
		.amdhsa_user_sgpr_private_segment_size 0
		.amdhsa_uses_dynamic_stack 0
		.amdhsa_system_sgpr_private_segment_wavefront_offset 0
		.amdhsa_system_sgpr_workgroup_id_x 1
		.amdhsa_system_sgpr_workgroup_id_y 0
		.amdhsa_system_sgpr_workgroup_id_z 0
		.amdhsa_system_sgpr_workgroup_info 0
		.amdhsa_system_vgpr_workitem_id 1
		.amdhsa_next_free_vgpr 37
		.amdhsa_next_free_sgpr 26
		.amdhsa_accum_offset 40
		.amdhsa_reserve_vcc 1
		.amdhsa_reserve_flat_scratch 0
		.amdhsa_float_round_mode_32 0
		.amdhsa_float_round_mode_16_64 0
		.amdhsa_float_denorm_mode_32 3
		.amdhsa_float_denorm_mode_16_64 3
		.amdhsa_dx10_clamp 1
		.amdhsa_ieee_mode 1
		.amdhsa_fp16_overflow 0
		.amdhsa_tg_split 0
		.amdhsa_exception_fp_ieee_invalid_op 0
		.amdhsa_exception_fp_denorm_src 0
		.amdhsa_exception_fp_ieee_div_zero 0
		.amdhsa_exception_fp_ieee_overflow 0
		.amdhsa_exception_fp_ieee_underflow 0
		.amdhsa_exception_fp_ieee_inexact 0
		.amdhsa_exception_int_div_zero 0
	.end_amdhsa_kernel
	.section	.text._ZN4vllm3moe10topkGatingILi8ELi256ELi4ELi16ELi32Ej6__halfLNS0_11ScoringFuncE1EEEvPKT5_PKbPfiPT4_PiiiibPKf,"axG",@progbits,_ZN4vllm3moe10topkGatingILi8ELi256ELi4ELi16ELi32Ej6__halfLNS0_11ScoringFuncE1EEEvPKT5_PKbPfiPT4_PiiiibPKf,comdat
.Lfunc_end287:
	.size	_ZN4vllm3moe10topkGatingILi8ELi256ELi4ELi16ELi32Ej6__halfLNS0_11ScoringFuncE1EEEvPKT5_PKbPfiPT4_PiiiibPKf, .Lfunc_end287-_ZN4vllm3moe10topkGatingILi8ELi256ELi4ELi16ELi32Ej6__halfLNS0_11ScoringFuncE1EEEvPKT5_PKbPfiPT4_PiiiibPKf
                                        ; -- End function
	.section	.AMDGPU.csdata,"",@progbits
; Kernel info:
; codeLenInByte = 3172
; NumSgprs: 30
; NumVgprs: 37
; NumAgprs: 0
; TotalNumVgprs: 37
; ScratchSize: 0
; MemoryBound: 0
; FloatMode: 240
; IeeeMode: 1
; LDSByteSize: 0 bytes/workgroup (compile time only)
; SGPRBlocks: 3
; VGPRBlocks: 4
; NumSGPRsForWavesPerEU: 30
; NumVGPRsForWavesPerEU: 37
; AccumOffset: 40
; Occupancy: 8
; WaveLimiterHint : 0
; COMPUTE_PGM_RSRC2:SCRATCH_EN: 0
; COMPUTE_PGM_RSRC2:USER_SGPR: 6
; COMPUTE_PGM_RSRC2:TRAP_HANDLER: 0
; COMPUTE_PGM_RSRC2:TGID_X_EN: 1
; COMPUTE_PGM_RSRC2:TGID_Y_EN: 0
; COMPUTE_PGM_RSRC2:TGID_Z_EN: 0
; COMPUTE_PGM_RSRC2:TIDIG_COMP_CNT: 1
; COMPUTE_PGM_RSRC3_GFX90A:ACCUM_OFFSET: 9
; COMPUTE_PGM_RSRC3_GFX90A:TG_SPLIT: 0
	.section	.text._ZN4vllm3moe10topkGatingILi8ELi512ELi4ELi16ELi64Ej6__halfLNS0_11ScoringFuncE1EEEvPKT5_PKbPfiPT4_PiiiibPKf,"axG",@progbits,_ZN4vllm3moe10topkGatingILi8ELi512ELi4ELi16ELi64Ej6__halfLNS0_11ScoringFuncE1EEEvPKT5_PKbPfiPT4_PiiiibPKf,comdat
	.protected	_ZN4vllm3moe10topkGatingILi8ELi512ELi4ELi16ELi64Ej6__halfLNS0_11ScoringFuncE1EEEvPKT5_PKbPfiPT4_PiiiibPKf ; -- Begin function _ZN4vllm3moe10topkGatingILi8ELi512ELi4ELi16ELi64Ej6__halfLNS0_11ScoringFuncE1EEEvPKT5_PKbPfiPT4_PiiiibPKf
	.globl	_ZN4vllm3moe10topkGatingILi8ELi512ELi4ELi16ELi64Ej6__halfLNS0_11ScoringFuncE1EEEvPKT5_PKbPfiPT4_PiiiibPKf
	.p2align	8
	.type	_ZN4vllm3moe10topkGatingILi8ELi512ELi4ELi16ELi64Ej6__halfLNS0_11ScoringFuncE1EEEvPKT5_PKbPfiPT4_PiiiibPKf,@function
_ZN4vllm3moe10topkGatingILi8ELi512ELi4ELi16ELi64Ej6__halfLNS0_11ScoringFuncE1EEEvPKT5_PKbPfiPT4_PiiiibPKf: ; @_ZN4vllm3moe10topkGatingILi8ELi512ELi4ELi16ELi64Ej6__halfLNS0_11ScoringFuncE1EEEvPKT5_PKbPfiPT4_PiiiibPKf
; %bb.0:
	s_load_dword s24, s[4:5], 0x18
	v_and_b32_e32 v1, 0x3ff, v0
	s_lshl_b32 s0, s6, 2
	v_lshrrev_b32_e32 v2, 6, v1
	v_bfe_u32 v0, v0, 10, 10
	v_add3_u32 v17, s0, v0, v2
	s_waitcnt lgkmcnt(0)
	v_cmp_gt_i32_e32 vcc, s24, v17
	s_and_saveexec_b64 s[0:1], vcc
	s_cbranch_execz .LBB288_46
; %bb.1:
	s_load_dwordx4 s[0:3], s[4:5], 0x0
	s_load_dwordx2 s[16:17], s[4:5], 0x10
	s_mov_b64 s[8:9], -1
	s_mov_b64 s[18:19], -1
	s_waitcnt lgkmcnt(0)
	s_cmp_eq_u64 s[2:3], 0
	s_cbranch_scc1 .LBB288_3
; %bb.2:
	v_ashrrev_i32_e32 v0, 31, v17
	v_mov_b32_e32 v3, s3
	v_add_co_u32_e32 v2, vcc, s2, v17
	v_addc_co_u32_e32 v3, vcc, v3, v0, vcc
	global_load_ubyte v0, v[2:3], off
	s_waitcnt vmcnt(0)
	v_and_b32_e32 v0, 1, v0
	v_cmp_eq_u32_e32 vcc, 1, v0
	s_xor_b64 s[2:3], vcc, -1
	s_orn2_b64 s[18:19], s[2:3], exec
.LBB288_3:
	v_lshlrev_b32_e32 v2, 9, v17
	v_ashrrev_i32_e32 v3, 31, v2
	v_lshlrev_b64 v[2:3], 1, v[2:3]
	v_mov_b32_e32 v0, s1
	v_add_co_u32_e32 v2, vcc, s0, v2
	v_and_b32_e32 v21, 63, v1
	v_addc_co_u32_e32 v3, vcc, v0, v3, vcc
	v_lshlrev_b32_e32 v0, 4, v21
	v_add_co_u32_e32 v0, vcc, v2, v0
	v_addc_co_u32_e32 v1, vcc, 0, v3, vcc
	global_load_dwordx4 v[0:3], v[0:1], off
	v_mov_b32_e32 v8, 0x207
	s_load_dwordx2 s[10:11], s[4:5], 0x40
	v_lshlrev_b32_e32 v22, 3, v21
	s_waitcnt lgkmcnt(0)
	s_cmp_eq_u64 s[10:11], 0
	s_waitcnt vmcnt(0)
	v_cvt_f32_f16_e32 v4, v0
	v_cvt_f32_f16_sdwa v0, v0 dst_sel:DWORD dst_unused:UNUSED_PAD src0_sel:WORD_1
	v_cvt_f32_f16_e32 v5, v1
	v_cvt_f32_f16_sdwa v1, v1 dst_sel:DWORD dst_unused:UNUSED_PAD src0_sel:WORD_1
	v_mul_f32_e32 v4, 0xbfb8aa3b, v4
	v_mul_f32_e32 v9, 0xbfb8aa3b, v0
	v_cvt_f32_f16_e32 v6, v2
	v_cvt_f32_f16_sdwa v2, v2 dst_sel:DWORD dst_unused:UNUSED_PAD src0_sel:WORD_1
	v_cvt_f32_f16_e32 v7, v3
	v_cvt_f32_f16_sdwa v3, v3 dst_sel:DWORD dst_unused:UNUSED_PAD src0_sel:WORD_1
	v_mul_f32_e32 v10, 0xbfb8aa3b, v1
	v_exp_f32_e32 v0, v4
	v_exp_f32_e32 v1, v9
	v_mul_f32_e32 v5, 0xbfb8aa3b, v5
	v_mul_f32_e32 v11, 0xbfb8aa3b, v2
	;; [unrolled: 1-line block ×3, first 2 shown]
	v_exp_f32_e32 v2, v5
	v_exp_f32_e32 v3, v10
	v_pk_add_f32 v[0:1], v[0:1], 1.0 op_sel_hi:[1,0]
	v_div_scale_f32 v9, s[0:1], v1, v1, 1.0
	v_rcp_f32_e32 v19, v9
	v_exp_f32_e32 v5, v11
	v_div_scale_f32 v11, s[0:1], v0, v0, 1.0
	v_pk_add_f32 v[2:3], v[2:3], 1.0 op_sel_hi:[1,0]
	v_rcp_f32_e32 v20, v11
	v_div_scale_f32 v13, s[2:3], v3, v3, 1.0
	v_rcp_f32_e32 v23, v13
	v_fma_f32 v26, -v9, v19, 1.0
	v_div_scale_f32 v10, vcc, 1.0, v1, 1.0
	v_div_scale_f32 v15, s[6:7], v2, v2, 1.0
	v_fmac_f32_e32 v19, v26, v19
	v_mul_f32_e32 v6, 0xbfb8aa3b, v6
	v_mul_f32_e32 v7, 0xbfb8aa3b, v7
	v_rcp_f32_e32 v24, v15
	v_fma_f32 v27, -v11, v20, 1.0
	v_mul_f32_e32 v26, v10, v19
	v_exp_f32_e32 v4, v6
	v_exp_f32_e32 v6, v7
	;; [unrolled: 1-line block ×3, first 2 shown]
	v_div_scale_f32 v12, s[0:1], 1.0, v0, 1.0
	v_fmac_f32_e32 v20, v27, v20
	v_fma_f32 v30, -v9, v26, v10
	v_fma_f32 v28, -v13, v23, 1.0
	v_mul_f32_e32 v27, v12, v20
	v_fmac_f32_e32 v26, v30, v19
	v_div_scale_f32 v14, s[2:3], 1.0, v3, 1.0
	v_fmac_f32_e32 v23, v28, v23
	v_fma_f32 v31, -v11, v27, v12
	v_fma_f32 v9, -v9, v26, v10
	v_fma_f32 v29, -v15, v24, 1.0
	v_mul_f32_e32 v28, v14, v23
	v_fmac_f32_e32 v27, v31, v20
	v_div_fmas_f32 v9, v9, v19, v26
	v_div_scale_f32 v16, s[6:7], 1.0, v2, 1.0
	v_fmac_f32_e32 v24, v29, v24
	v_fma_f32 v32, -v13, v28, v14
	v_fma_f32 v10, -v11, v27, v12
	v_div_fixup_f32 v1, v9, v1, 1.0
	s_mov_b64 vcc, s[0:1]
	v_pk_add_f32 v[4:5], v[4:5], 1.0 op_sel_hi:[1,0]
	v_mul_f32_e32 v29, v16, v24
	v_fmac_f32_e32 v28, v32, v23
	v_div_fmas_f32 v9, v10, v20, v27
	v_cmp_class_f32_e32 vcc, v1, v8
	v_div_scale_f32 v18, s[12:13], v5, v5, 1.0
	v_fma_f32 v33, -v15, v29, v16
	v_fma_f32 v11, -v13, v28, v14
	v_div_fixup_f32 v0, v9, v0, 1.0
	v_cndmask_b32_e64 v1, v1, 0, vcc
	s_mov_b64 vcc, s[2:3]
	v_rcp_f32_e32 v25, v18
	v_fmac_f32_e32 v29, v33, v24
	v_div_fmas_f32 v9, v11, v23, v28
	v_cmp_class_f32_e32 vcc, v0, v8
	v_fma_f32 v12, -v15, v29, v16
	v_cndmask_b32_e64 v0, v0, 0, vcc
	s_mov_b64 vcc, s[6:7]
	v_div_fixup_f32 v3, v9, v3, 1.0
	v_div_fmas_f32 v9, v12, v24, v29
	v_div_fixup_f32 v2, v9, v2, 1.0
	v_cmp_class_f32_e32 vcc, v3, v8
	v_cndmask_b32_e64 v3, v3, 0, vcc
	v_cmp_class_f32_e32 vcc, v2, v8
	v_fma_f32 v9, -v18, v25, 1.0
	v_cndmask_b32_e64 v2, v2, 0, vcc
	v_fmac_f32_e32 v25, v9, v25
	v_div_scale_f32 v9, vcc, 1.0, v5, 1.0
	v_mul_f32_e32 v10, v9, v25
	v_fma_f32 v11, -v18, v10, v9
	v_fmac_f32_e32 v10, v11, v25
	v_div_scale_f32 v11, s[0:1], v4, v4, 1.0
	v_rcp_f32_e32 v12, v11
	v_fma_f32 v9, -v18, v10, v9
	v_div_fmas_f32 v9, v9, v25, v10
	v_div_fixup_f32 v5, v9, v5, 1.0
	v_fma_f32 v9, -v11, v12, 1.0
	v_fmac_f32_e32 v12, v9, v12
	v_div_scale_f32 v9, vcc, 1.0, v4, 1.0
	v_mul_f32_e32 v10, v9, v12
	v_fma_f32 v13, -v11, v10, v9
	v_fmac_f32_e32 v10, v13, v12
	v_fma_f32 v9, -v11, v10, v9
	v_div_fmas_f32 v9, v9, v12, v10
	v_pk_add_f32 v[6:7], v[6:7], 1.0 op_sel_hi:[1,0]
	v_div_fixup_f32 v4, v9, v4, 1.0
	v_div_scale_f32 v9, s[0:1], v7, v7, 1.0
	v_rcp_f32_e32 v10, v9
	v_cmp_class_f32_e32 vcc, v5, v8
	v_cndmask_b32_e64 v5, v5, 0, vcc
	v_cmp_class_f32_e32 vcc, v4, v8
	v_fma_f32 v11, -v9, v10, 1.0
	v_cndmask_b32_e64 v4, v4, 0, vcc
	v_fmac_f32_e32 v10, v11, v10
	v_div_scale_f32 v11, vcc, 1.0, v7, 1.0
	v_mul_f32_e32 v12, v11, v10
	v_fma_f32 v13, -v9, v12, v11
	v_fmac_f32_e32 v12, v13, v10
	v_fma_f32 v9, -v9, v12, v11
	v_div_scale_f32 v11, s[0:1], v6, v6, 1.0
	v_rcp_f32_e32 v13, v11
	v_div_fmas_f32 v9, v9, v10, v12
	v_div_fixup_f32 v7, v9, v7, 1.0
	v_fma_f32 v9, -v11, v13, 1.0
	v_fmac_f32_e32 v13, v9, v13
	v_div_scale_f32 v9, vcc, 1.0, v6, 1.0
	v_mul_f32_e32 v10, v9, v13
	v_fma_f32 v12, -v11, v10, v9
	v_fmac_f32_e32 v10, v12, v13
	v_fma_f32 v9, -v11, v10, v9
	v_div_fmas_f32 v9, v9, v13, v10
	v_div_fixup_f32 v6, v9, v6, 1.0
	v_cmp_class_f32_e32 vcc, v7, v8
	v_cndmask_b32_e64 v7, v7, 0, vcc
	v_cmp_class_f32_e32 vcc, v6, v8
	v_cndmask_b32_e64 v6, v6, 0, vcc
	s_cbranch_scc1 .LBB288_35
; %bb.4:
	v_lshlrev_b32_e32 v16, 2, v22
	global_load_dwordx4 v[8:11], v16, s[10:11]
	global_load_dwordx4 v[12:15], v16, s[10:11] offset:16
	s_waitcnt vmcnt(1)
	v_pk_add_f32 v[8:9], v[8:9], v[0:1]
	v_pk_add_f32 v[10:11], v[10:11], v[2:3]
	s_waitcnt vmcnt(0)
	v_pk_add_f32 v[12:13], v[12:13], v[4:5]
	v_pk_add_f32 v[14:15], v[14:15], v[6:7]
	s_cbranch_execnz .LBB288_6
.LBB288_5:
	v_pk_mov_b32 v[14:15], v[6:7], v[6:7] op_sel:[0,1]
	v_pk_mov_b32 v[12:13], v[4:5], v[4:5] op_sel:[0,1]
	;; [unrolled: 1-line block ×4, first 2 shown]
.LBB288_6:
	s_load_dwordx4 s[8:11], s[4:5], 0x30
	s_mov_b32 s25, 0
	v_cmp_eq_u32_e64 s[0:1], 0, v21
	s_waitcnt lgkmcnt(0)
	s_bitcmp1_b32 s11, 0
	s_cselect_b64 vcc, -1, 0
	s_cmp_gt_i32 s8, 0
	s_cselect_b64 s[20:21], -1, 0
	s_cmp_lt_i32 s8, 1
	s_cbranch_scc1 .LBB288_36
; %bb.7:
	v_mbcnt_lo_u32_b32 v16, -1, 0
	v_mbcnt_hi_u32_b32 v16, -1, v16
	v_and_b32_e32 v18, 64, v16
	v_add_u32_e32 v18, 64, v18
	v_xor_b32_e32 v19, 32, v16
	v_cmp_lt_i32_e64 s[2:3], v19, v18
	v_cndmask_b32_e64 v19, v16, v19, s[2:3]
	v_lshlrev_b32_e32 v25, 2, v19
	v_xor_b32_e32 v19, 16, v16
	v_cmp_lt_i32_e64 s[2:3], v19, v18
	v_cndmask_b32_e64 v19, v16, v19, s[2:3]
	v_lshlrev_b32_e32 v26, 2, v19
	;; [unrolled: 4-line block ×4, first 2 shown]
	v_xor_b32_e32 v19, 2, v16
	v_cmp_lt_i32_e64 s[2:3], v19, v18
	s_load_dwordx4 s[12:15], s[4:5], 0x20
	v_cndmask_b32_e64 v19, v16, v19, s[2:3]
	v_lshlrev_b32_e32 v29, 2, v19
	v_xor_b32_e32 v19, 1, v16
	v_cmp_lt_i32_e64 s[2:3], v19, v18
	v_cndmask_b32_e64 v16, v16, v19, s[2:3]
	v_mul_lo_u32 v24, v17, s8
	v_lshlrev_b32_e32 v30, 2, v16
	v_mov_b32_e32 v23, 0
	v_mov_b32_e32 v31, 0x200
	;; [unrolled: 1-line block ×4, first 2 shown]
	s_branch .LBB288_10
.LBB288_8:                              ;   in Loop: Header=BB288_10 Depth=1
	s_or_b64 exec, exec, s[4:5]
.LBB288_9:                              ;   in Loop: Header=BB288_10 Depth=1
	s_cmp_eq_u32 s8, s25
	v_add_u32_e32 v33, s24, v33
	s_cbranch_scc1 .LBB288_37
.LBB288_10:                             ; =>This Inner Loop Header: Depth=1
	v_cmp_gt_f32_e64 s[2:3], v9, v8
	s_waitcnt lgkmcnt(0)
	v_cndmask_b32_e64 v19, v8, v9, s[2:3]
	v_cndmask_b32_e64 v16, 0, 1, s[2:3]
	v_cndmask_b32_e64 v18, v0, v1, s[2:3]
	v_cmp_gt_f32_e64 s[2:3], v10, v19
	v_cndmask_b32_e64 v19, v19, v10, s[2:3]
	v_cndmask_b32_e64 v16, v16, 2, s[2:3]
	v_cndmask_b32_e64 v18, v18, v2, s[2:3]
	v_cmp_gt_f32_e64 s[2:3], v11, v19
	;; [unrolled: 4-line block ×6, first 2 shown]
	v_cndmask_b32_e64 v16, v16, 7, s[2:3]
	v_cndmask_b32_e64 v34, v19, v15, s[2:3]
	v_or_b32_e32 v35, v22, v16
	v_cndmask_b32_e64 v16, v18, v7, s[2:3]
	ds_bpermute_b32 v37, v25, v34
	ds_bpermute_b32 v20, v25, v16
	;; [unrolled: 1-line block ×3, first 2 shown]
                                        ; implicit-def: $vgpr18_vgpr19
	s_waitcnt lgkmcnt(0)
	v_cmp_lt_f32_e64 s[6:7], v34, v37
	v_cmp_nlt_f32_e64 s[2:3], v34, v37
	s_and_saveexec_b64 s[22:23], s[2:3]
; %bb.11:                               ;   in Loop: Header=BB288_10 Depth=1
	v_cmp_eq_f32_e64 s[2:3], v34, v37
	v_cmp_lt_i32_e64 s[4:5], v36, v35
	s_and_b64 s[2:3], s[2:3], s[4:5]
	s_andn2_b64 s[4:5], s[6:7], exec
	s_and_b64 s[2:3], s[2:3], exec
	s_or_b64 s[6:7], s[4:5], s[2:3]
	v_pk_mov_b32 v[18:19], v[16:17], v[16:17] op_sel:[0,1]
; %bb.12:                               ;   in Loop: Header=BB288_10 Depth=1
	s_or_b64 exec, exec, s[22:23]
	s_and_saveexec_b64 s[2:3], s[6:7]
; %bb.13:                               ;   in Loop: Header=BB288_10 Depth=1
	v_mov_b32_e32 v34, v37
	v_mov_b32_e32 v16, v20
	;; [unrolled: 1-line block ×3, first 2 shown]
	v_pk_mov_b32 v[18:19], v[20:21], v[20:21] op_sel:[0,1]
; %bb.14:                               ;   in Loop: Header=BB288_10 Depth=1
	s_or_b64 exec, exec, s[2:3]
	ds_bpermute_b32 v36, v26, v34
	ds_bpermute_b32 v20, v26, v16
	;; [unrolled: 1-line block ×3, first 2 shown]
	s_waitcnt lgkmcnt(2)
	v_cmp_lt_f32_e64 s[6:7], v34, v36
	v_cmp_nlt_f32_e64 s[2:3], v34, v36
	s_and_saveexec_b64 s[22:23], s[2:3]
	s_cbranch_execz .LBB288_16
; %bb.15:                               ;   in Loop: Header=BB288_10 Depth=1
	v_cmp_eq_f32_e64 s[2:3], v34, v36
	s_waitcnt lgkmcnt(0)
	v_cmp_lt_i32_e64 s[4:5], v19, v35
	s_and_b64 s[2:3], s[2:3], s[4:5]
	s_andn2_b64 s[4:5], s[6:7], exec
	s_and_b64 s[2:3], s[2:3], exec
	s_or_b64 s[6:7], s[4:5], s[2:3]
.LBB288_16:                             ;   in Loop: Header=BB288_10 Depth=1
	s_or_b64 exec, exec, s[22:23]
	s_and_saveexec_b64 s[2:3], s[6:7]
	s_cbranch_execz .LBB288_18
; %bb.17:                               ;   in Loop: Header=BB288_10 Depth=1
	v_mov_b32_e32 v34, v36
	s_waitcnt lgkmcnt(1)
	v_mov_b32_e32 v16, v20
	s_waitcnt lgkmcnt(0)
	v_mov_b32_e32 v35, v19
	v_pk_mov_b32 v[18:19], v[20:21], v[20:21] op_sel:[0,1]
.LBB288_18:                             ;   in Loop: Header=BB288_10 Depth=1
	s_or_b64 exec, exec, s[2:3]
	ds_bpermute_b32 v36, v27, v34
	s_waitcnt lgkmcnt(2)
	ds_bpermute_b32 v20, v27, v16
	s_waitcnt lgkmcnt(2)
	ds_bpermute_b32 v19, v27, v35
	s_waitcnt lgkmcnt(2)
	v_cmp_lt_f32_e64 s[6:7], v34, v36
	v_cmp_nlt_f32_e64 s[2:3], v34, v36
	s_and_saveexec_b64 s[22:23], s[2:3]
	s_cbranch_execz .LBB288_20
; %bb.19:                               ;   in Loop: Header=BB288_10 Depth=1
	v_cmp_eq_f32_e64 s[2:3], v34, v36
	s_waitcnt lgkmcnt(0)
	v_cmp_lt_i32_e64 s[4:5], v19, v35
	s_and_b64 s[2:3], s[2:3], s[4:5]
	s_andn2_b64 s[4:5], s[6:7], exec
	s_and_b64 s[2:3], s[2:3], exec
	s_or_b64 s[6:7], s[4:5], s[2:3]
.LBB288_20:                             ;   in Loop: Header=BB288_10 Depth=1
	s_or_b64 exec, exec, s[22:23]
	s_and_saveexec_b64 s[2:3], s[6:7]
	s_cbranch_execz .LBB288_22
; %bb.21:                               ;   in Loop: Header=BB288_10 Depth=1
	v_mov_b32_e32 v34, v36
	s_waitcnt lgkmcnt(1)
	v_mov_b32_e32 v16, v20
	s_waitcnt lgkmcnt(0)
	v_mov_b32_e32 v35, v19
	v_pk_mov_b32 v[18:19], v[20:21], v[20:21] op_sel:[0,1]
.LBB288_22:                             ;   in Loop: Header=BB288_10 Depth=1
	s_or_b64 exec, exec, s[2:3]
	ds_bpermute_b32 v36, v28, v34
	s_waitcnt lgkmcnt(2)
	ds_bpermute_b32 v20, v28, v16
	s_waitcnt lgkmcnt(2)
	ds_bpermute_b32 v19, v28, v35
	;; [unrolled: 31-line block ×3, first 2 shown]
	s_waitcnt lgkmcnt(2)
	v_cmp_lt_f32_e64 s[6:7], v34, v36
	v_cmp_nlt_f32_e64 s[2:3], v34, v36
	s_and_saveexec_b64 s[22:23], s[2:3]
	s_cbranch_execz .LBB288_28
; %bb.27:                               ;   in Loop: Header=BB288_10 Depth=1
	v_cmp_eq_f32_e64 s[2:3], v34, v36
	s_waitcnt lgkmcnt(0)
	v_cmp_lt_i32_e64 s[4:5], v19, v35
	s_and_b64 s[2:3], s[2:3], s[4:5]
	s_andn2_b64 s[4:5], s[6:7], exec
	s_and_b64 s[2:3], s[2:3], exec
	s_or_b64 s[6:7], s[4:5], s[2:3]
.LBB288_28:                             ;   in Loop: Header=BB288_10 Depth=1
	s_or_b64 exec, exec, s[22:23]
	s_and_saveexec_b64 s[2:3], s[6:7]
	s_cbranch_execz .LBB288_30
; %bb.29:                               ;   in Loop: Header=BB288_10 Depth=1
	v_mov_b32_e32 v34, v36
	s_waitcnt lgkmcnt(1)
	v_mov_b32_e32 v16, v20
	s_waitcnt lgkmcnt(0)
	v_mov_b32_e32 v35, v19
	v_pk_mov_b32 v[18:19], v[20:21], v[20:21] op_sel:[0,1]
.LBB288_30:                             ;   in Loop: Header=BB288_10 Depth=1
	s_or_b64 exec, exec, s[2:3]
	s_waitcnt lgkmcnt(1)
	ds_bpermute_b32 v20, v30, v34
	ds_bpermute_b32 v36, v30, v35
	s_waitcnt lgkmcnt(2)
	ds_bpermute_b32 v19, v30, v16
	s_waitcnt lgkmcnt(2)
	v_cmp_eq_f32_e64 s[4:5], v34, v20
	s_waitcnt lgkmcnt(1)
	v_cmp_lt_i32_e64 s[6:7], v36, v35
	v_cmp_lt_f32_e64 s[2:3], v34, v20
	s_and_b64 s[4:5], s[4:5], s[6:7]
	s_or_b64 s[2:3], s[2:3], s[4:5]
	v_cndmask_b32_e64 v16, v35, v36, s[2:3]
	s_and_saveexec_b64 s[6:7], s[0:1]
	s_cbranch_execnz .LBB288_32
; %bb.31:                               ;   in Loop: Header=BB288_10 Depth=1
	s_or_b64 exec, exec, s[6:7]
	s_add_i32 s25, s25, 1
	s_cmp_ge_i32 s25, s8
	s_cbranch_scc1 .LBB288_9
	s_branch .LBB288_33
.LBB288_32:                             ;   in Loop: Header=BB288_10 Depth=1
	s_waitcnt lgkmcnt(0)
	v_cndmask_b32_e64 v20, v18, v19, s[2:3]
	v_add_u32_e32 v18, s25, v24
	v_ashrrev_i32_e32 v19, 31, v18
	v_cmp_le_i32_e64 s[2:3], s9, v16
	v_cmp_gt_i32_e64 s[4:5], s10, v16
	v_lshlrev_b64 v[18:19], 2, v[18:19]
	s_and_b64 s[4:5], s[2:3], s[4:5]
	v_mov_b32_e32 v35, s17
	v_add_co_u32_e64 v34, s[2:3], s16, v18
	v_addc_co_u32_e64 v35, s[2:3], v35, v19, s[2:3]
	global_store_dword v[34:35], v20, off
	v_subrev_u32_e32 v34, s9, v16
	s_and_b64 s[2:3], s[18:19], s[4:5]
	v_cndmask_b32_e64 v36, v31, v34, s[2:3]
	v_mov_b32_e32 v35, s13
	v_add_co_u32_e64 v34, s[2:3], s12, v18
	v_addc_co_u32_e64 v35, s[2:3], v35, v19, s[2:3]
	global_store_dword v[34:35], v36, off
	v_mov_b32_e32 v34, s15
	v_add_co_u32_e64 v18, s[2:3], s14, v18
	v_addc_co_u32_e64 v19, s[2:3], v34, v19, s[2:3]
	global_store_dword v[18:19], v33, off
	v_add_f32_e32 v18, v23, v20
	v_cndmask_b32_e32 v23, v23, v18, vcc
	s_or_b64 exec, exec, s[6:7]
	s_add_i32 s25, s25, 1
	s_cmp_ge_i32 s25, s8
	s_cbranch_scc1 .LBB288_9
.LBB288_33:                             ;   in Loop: Header=BB288_10 Depth=1
	s_waitcnt lgkmcnt(0)
	v_ashrrev_i32_e32 v19, 31, v16
	v_lshrrev_b32_e32 v18, 29, v19
	v_add_u32_e32 v20, v16, v18
	v_ashrrev_i32_e32 v18, 3, v20
	v_ashrrev_i32_e32 v20, 31, v20
	v_lshrrev_b32_e32 v20, 26, v20
	v_add_u32_e32 v20, v18, v20
	v_and_b32_e32 v20, 0xffffffc0, v20
	v_sub_u32_e32 v20, v18, v20
	v_cmp_eq_u32_e64 s[2:3], v21, v20
	s_and_saveexec_b64 s[4:5], s[2:3]
	s_cbranch_execz .LBB288_8
; %bb.34:                               ;   in Loop: Header=BB288_10 Depth=1
	v_lshrrev_b32_e32 v19, 23, v19
	v_add_u32_e32 v19, v16, v19
	v_lshlrev_b32_e32 v18, 3, v18
	v_ashrrev_i32_e32 v19, 9, v19
	v_sub_u32_e32 v16, v16, v18
	v_lshl_add_u32 v16, v19, 3, v16
	v_cmp_ne_u32_e64 s[2:3], 7, v16
	v_cndmask_b32_e64 v15, v32, v15, s[2:3]
	v_cmp_ne_u32_e64 s[2:3], 6, v16
	v_cndmask_b32_e64 v14, v32, v14, s[2:3]
	;; [unrolled: 2-line block ×8, first 2 shown]
	s_branch .LBB288_8
.LBB288_35:
                                        ; implicit-def: $vgpr8_vgpr9_vgpr10_vgpr11_vgpr12_vgpr13_vgpr14_vgpr15
	s_andn2_b64 vcc, exec, s[8:9]
	s_cbranch_vccz .LBB288_5
	s_branch .LBB288_6
.LBB288_36:
	v_mov_b32_e32 v23, 0
.LBB288_37:
	v_cmp_eq_u32_e64 s[0:1], 0, v21
	s_and_b64 s[0:1], s[0:1], vcc
	s_and_b64 exec, exec, s[0:1]
	s_cbranch_execz .LBB288_46
; %bb.38:
	s_andn2_b64 vcc, exec, s[20:21]
	s_cbranch_vccnz .LBB288_46
; %bb.39:
	v_cmp_lt_f32_e32 vcc, 0, v23
	s_mov_b32 s2, 0
	v_cndmask_b32_e32 v0, 1.0, v23, vcc
	v_mul_lo_u32 v4, v17, s8
	s_cmp_eq_u32 s8, 1
	s_mov_b64 s[0:1], -1
	s_cbranch_scc1 .LBB288_43
; %bb.40:
	s_and_b32 s2, s8, 0x7ffffffe
	v_mov_b32_e32 v1, v0
	v_mov_b32_e32 v5, s17
	s_mov_b32 s3, s2
	v_mov_b32_e32 v2, v4
.LBB288_41:                             ; =>This Inner Loop Header: Depth=1
	v_ashrrev_i32_e32 v3, 31, v2
	v_lshlrev_b64 v[6:7], 2, v[2:3]
	v_add_co_u32_e32 v6, vcc, s16, v6
	v_addc_co_u32_e32 v7, vcc, v5, v7, vcc
	global_load_dwordx2 v[8:9], v[6:7], off
	s_add_i32 s3, s3, -2
	s_cmp_lg_u32 s3, 0
	v_add_u32_e32 v2, 2, v2
	s_waitcnt vmcnt(0)
	v_div_scale_f32 v3, s[0:1], v1, v1, v9
	v_div_scale_f32 v11, s[0:1], v0, v0, v8
	v_rcp_f32_e32 v12, v3
	v_rcp_f32_e32 v13, v11
	v_div_scale_f32 v10, vcc, v9, v1, v9
	v_fma_f32 v15, -v3, v12, 1.0
	v_fma_f32 v16, -v11, v13, 1.0
	v_fmac_f32_e32 v12, v15, v12
	v_div_scale_f32 v14, s[0:1], v8, v0, v8
	v_fmac_f32_e32 v13, v16, v13
	v_mul_f32_e32 v15, v10, v12
	v_mul_f32_e32 v16, v14, v13
	v_fma_f32 v17, -v3, v15, v10
	v_fma_f32 v18, -v11, v16, v14
	v_fmac_f32_e32 v15, v17, v12
	v_fmac_f32_e32 v16, v18, v13
	v_fma_f32 v3, -v3, v15, v10
	v_fma_f32 v10, -v11, v16, v14
	v_div_fmas_f32 v3, v3, v12, v15
	s_mov_b64 vcc, s[0:1]
	v_div_fixup_f32 v9, v3, v1, v9
	v_div_fmas_f32 v3, v10, v13, v16
	v_div_fixup_f32 v8, v3, v0, v8
	global_store_dwordx2 v[6:7], v[8:9], off
	s_cbranch_scc1 .LBB288_41
; %bb.42:
	s_cmp_lg_u32 s2, s8
	s_cselect_b64 s[0:1], -1, 0
.LBB288_43:
	s_and_b64 vcc, exec, s[0:1]
	s_cbranch_vccz .LBB288_46
; %bb.44:
	v_ashrrev_i32_e32 v1, 31, v4
	v_add_co_u32_e32 v2, vcc, s2, v4
	v_addc_co_u32_e32 v3, vcc, 0, v1, vcc
	v_lshlrev_b64 v[2:3], 2, v[2:3]
	v_mov_b32_e32 v1, s17
	v_add_co_u32_e32 v2, vcc, s16, v2
	s_sub_i32 s0, s8, s2
	v_addc_co_u32_e32 v3, vcc, v1, v3, vcc
.LBB288_45:                             ; =>This Inner Loop Header: Depth=1
	global_load_dword v1, v[2:3], off
	s_add_i32 s0, s0, -1
	s_cmp_lg_u32 s0, 0
	s_waitcnt vmcnt(0)
	v_div_scale_f32 v4, s[2:3], v0, v0, v1
	v_rcp_f32_e32 v5, v4
	v_div_scale_f32 v6, vcc, v1, v0, v1
	v_fma_f32 v7, -v4, v5, 1.0
	v_fmac_f32_e32 v5, v7, v5
	v_mul_f32_e32 v7, v6, v5
	v_fma_f32 v8, -v4, v7, v6
	v_fmac_f32_e32 v7, v8, v5
	v_fma_f32 v4, -v4, v7, v6
	v_div_fmas_f32 v4, v4, v5, v7
	v_div_fixup_f32 v1, v4, v0, v1
	global_store_dword v[2:3], v1, off
	v_add_co_u32_e32 v2, vcc, 4, v2
	v_addc_co_u32_e32 v3, vcc, 0, v3, vcc
	s_cbranch_scc1 .LBB288_45
.LBB288_46:
	s_endpgm
	.section	.rodata,"a",@progbits
	.p2align	6, 0x0
	.amdhsa_kernel _ZN4vllm3moe10topkGatingILi8ELi512ELi4ELi16ELi64Ej6__halfLNS0_11ScoringFuncE1EEEvPKT5_PKbPfiPT4_PiiiibPKf
		.amdhsa_group_segment_fixed_size 0
		.amdhsa_private_segment_fixed_size 0
		.amdhsa_kernarg_size 72
		.amdhsa_user_sgpr_count 6
		.amdhsa_user_sgpr_private_segment_buffer 1
		.amdhsa_user_sgpr_dispatch_ptr 0
		.amdhsa_user_sgpr_queue_ptr 0
		.amdhsa_user_sgpr_kernarg_segment_ptr 1
		.amdhsa_user_sgpr_dispatch_id 0
		.amdhsa_user_sgpr_flat_scratch_init 0
		.amdhsa_user_sgpr_kernarg_preload_length 0
		.amdhsa_user_sgpr_kernarg_preload_offset 0
		.amdhsa_user_sgpr_private_segment_size 0
		.amdhsa_uses_dynamic_stack 0
		.amdhsa_system_sgpr_private_segment_wavefront_offset 0
		.amdhsa_system_sgpr_workgroup_id_x 1
		.amdhsa_system_sgpr_workgroup_id_y 0
		.amdhsa_system_sgpr_workgroup_id_z 0
		.amdhsa_system_sgpr_workgroup_info 0
		.amdhsa_system_vgpr_workitem_id 1
		.amdhsa_next_free_vgpr 38
		.amdhsa_next_free_sgpr 26
		.amdhsa_accum_offset 40
		.amdhsa_reserve_vcc 1
		.amdhsa_reserve_flat_scratch 0
		.amdhsa_float_round_mode_32 0
		.amdhsa_float_round_mode_16_64 0
		.amdhsa_float_denorm_mode_32 3
		.amdhsa_float_denorm_mode_16_64 3
		.amdhsa_dx10_clamp 1
		.amdhsa_ieee_mode 1
		.amdhsa_fp16_overflow 0
		.amdhsa_tg_split 0
		.amdhsa_exception_fp_ieee_invalid_op 0
		.amdhsa_exception_fp_denorm_src 0
		.amdhsa_exception_fp_ieee_div_zero 0
		.amdhsa_exception_fp_ieee_overflow 0
		.amdhsa_exception_fp_ieee_underflow 0
		.amdhsa_exception_fp_ieee_inexact 0
		.amdhsa_exception_int_div_zero 0
	.end_amdhsa_kernel
	.section	.text._ZN4vllm3moe10topkGatingILi8ELi512ELi4ELi16ELi64Ej6__halfLNS0_11ScoringFuncE1EEEvPKT5_PKbPfiPT4_PiiiibPKf,"axG",@progbits,_ZN4vllm3moe10topkGatingILi8ELi512ELi4ELi16ELi64Ej6__halfLNS0_11ScoringFuncE1EEEvPKT5_PKbPfiPT4_PiiiibPKf,comdat
.Lfunc_end288:
	.size	_ZN4vllm3moe10topkGatingILi8ELi512ELi4ELi16ELi64Ej6__halfLNS0_11ScoringFuncE1EEEvPKT5_PKbPfiPT4_PiiiibPKf, .Lfunc_end288-_ZN4vllm3moe10topkGatingILi8ELi512ELi4ELi16ELi64Ej6__halfLNS0_11ScoringFuncE1EEEvPKT5_PKbPfiPT4_PiiiibPKf
                                        ; -- End function
	.section	.AMDGPU.csdata,"",@progbits
; Kernel info:
; codeLenInByte = 3332
; NumSgprs: 30
; NumVgprs: 38
; NumAgprs: 0
; TotalNumVgprs: 38
; ScratchSize: 0
; MemoryBound: 0
; FloatMode: 240
; IeeeMode: 1
; LDSByteSize: 0 bytes/workgroup (compile time only)
; SGPRBlocks: 3
; VGPRBlocks: 4
; NumSGPRsForWavesPerEU: 30
; NumVGPRsForWavesPerEU: 38
; AccumOffset: 40
; Occupancy: 8
; WaveLimiterHint : 0
; COMPUTE_PGM_RSRC2:SCRATCH_EN: 0
; COMPUTE_PGM_RSRC2:USER_SGPR: 6
; COMPUTE_PGM_RSRC2:TRAP_HANDLER: 0
; COMPUTE_PGM_RSRC2:TGID_X_EN: 1
; COMPUTE_PGM_RSRC2:TGID_Y_EN: 0
; COMPUTE_PGM_RSRC2:TGID_Z_EN: 0
; COMPUTE_PGM_RSRC2:TIDIG_COMP_CNT: 1
; COMPUTE_PGM_RSRC3_GFX90A:ACCUM_OFFSET: 9
; COMPUTE_PGM_RSRC3_GFX90A:TG_SPLIT: 0
	.section	.text._ZN4vllm3moe10topkGatingILi16ELi512ELi4ELi16ELi32Ej6__halfLNS0_11ScoringFuncE1EEEvPKT5_PKbPfiPT4_PiiiibPKf,"axG",@progbits,_ZN4vllm3moe10topkGatingILi16ELi512ELi4ELi16ELi32Ej6__halfLNS0_11ScoringFuncE1EEEvPKT5_PKbPfiPT4_PiiiibPKf,comdat
	.protected	_ZN4vllm3moe10topkGatingILi16ELi512ELi4ELi16ELi32Ej6__halfLNS0_11ScoringFuncE1EEEvPKT5_PKbPfiPT4_PiiiibPKf ; -- Begin function _ZN4vllm3moe10topkGatingILi16ELi512ELi4ELi16ELi32Ej6__halfLNS0_11ScoringFuncE1EEEvPKT5_PKbPfiPT4_PiiiibPKf
	.globl	_ZN4vllm3moe10topkGatingILi16ELi512ELi4ELi16ELi32Ej6__halfLNS0_11ScoringFuncE1EEEvPKT5_PKbPfiPT4_PiiiibPKf
	.p2align	8
	.type	_ZN4vllm3moe10topkGatingILi16ELi512ELi4ELi16ELi32Ej6__halfLNS0_11ScoringFuncE1EEEvPKT5_PKbPfiPT4_PiiiibPKf,@function
_ZN4vllm3moe10topkGatingILi16ELi512ELi4ELi16ELi32Ej6__halfLNS0_11ScoringFuncE1EEEvPKT5_PKbPfiPT4_PiiiibPKf: ; @_ZN4vllm3moe10topkGatingILi16ELi512ELi4ELi16ELi32Ej6__halfLNS0_11ScoringFuncE1EEEvPKT5_PKbPfiPT4_PiiiibPKf
; %bb.0:
	s_load_dword s24, s[4:5], 0x18
	v_and_b32_e32 v1, 0x3ff, v0
	s_lshl_b32 s0, s6, 2
	v_lshrrev_b32_e32 v2, 5, v1
	v_bfe_u32 v0, v0, 10, 10
	v_add3_u32 v33, s0, v0, v2
	s_waitcnt lgkmcnt(0)
	v_cmp_gt_i32_e32 vcc, s24, v33
	s_and_saveexec_b64 s[0:1], vcc
	s_cbranch_execz .LBB289_42
; %bb.1:
	s_load_dwordx4 s[0:3], s[4:5], 0x0
	s_load_dwordx2 s[16:17], s[4:5], 0x10
	s_mov_b64 s[6:7], -1
	s_mov_b64 s[18:19], -1
	s_waitcnt lgkmcnt(0)
	s_cmp_eq_u64 s[2:3], 0
	s_cbranch_scc1 .LBB289_3
; %bb.2:
	v_ashrrev_i32_e32 v0, 31, v33
	v_mov_b32_e32 v3, s3
	v_add_co_u32_e32 v2, vcc, s2, v33
	v_addc_co_u32_e32 v3, vcc, v3, v0, vcc
	global_load_ubyte v0, v[2:3], off
	s_waitcnt vmcnt(0)
	v_and_b32_e32 v0, 1, v0
	v_cmp_eq_u32_e32 vcc, 1, v0
	s_xor_b64 s[2:3], vcc, -1
	s_orn2_b64 s[18:19], s[2:3], exec
.LBB289_3:
	v_lshlrev_b32_e32 v2, 9, v33
	v_ashrrev_i32_e32 v3, 31, v2
	v_lshlrev_b64 v[2:3], 1, v[2:3]
	v_mov_b32_e32 v0, s1
	v_add_co_u32_e32 v2, vcc, s0, v2
	v_and_b32_e32 v37, 31, v1
	v_addc_co_u32_e32 v0, vcc, v0, v3, vcc
	v_lshlrev_b32_e32 v1, 4, v37
	v_add_co_u32_e32 v8, vcc, v2, v1
	v_addc_co_u32_e32 v9, vcc, 0, v0, vcc
	global_load_dwordx4 v[0:3], v[8:9], off
	global_load_dwordx4 v[4:7], v[8:9], off offset:512
	v_mov_b32_e32 v16, 0x207
	s_load_dwordx2 s[8:9], s[4:5], 0x40
	v_lshlrev_b32_e32 v38, 3, v37
	s_waitcnt lgkmcnt(0)
	s_cmp_eq_u64 s[8:9], 0
	s_waitcnt vmcnt(1)
	v_cvt_f32_f16_e32 v8, v0
	v_cvt_f32_f16_sdwa v0, v0 dst_sel:DWORD dst_unused:UNUSED_PAD src0_sel:WORD_1
	v_cvt_f32_f16_e32 v9, v1
	v_cvt_f32_f16_sdwa v1, v1 dst_sel:DWORD dst_unused:UNUSED_PAD src0_sel:WORD_1
	v_mul_f32_e32 v8, 0xbfb8aa3b, v8
	v_mul_f32_e32 v17, 0xbfb8aa3b, v0
	v_exp_f32_e32 v0, v8
	v_mul_f32_e32 v18, 0xbfb8aa3b, v1
	v_exp_f32_e32 v1, v17
	v_cvt_f32_f16_e32 v10, v2
	v_cvt_f32_f16_sdwa v2, v2 dst_sel:DWORD dst_unused:UNUSED_PAD src0_sel:WORD_1
	v_cvt_f32_f16_e32 v11, v3
	v_cvt_f32_f16_sdwa v3, v3 dst_sel:DWORD dst_unused:UNUSED_PAD src0_sel:WORD_1
	s_waitcnt vmcnt(0)
	v_cvt_f32_f16_e32 v13, v5
	v_cvt_f32_f16_sdwa v5, v5 dst_sel:DWORD dst_unused:UNUSED_PAD src0_sel:WORD_1
	v_cvt_f32_f16_e32 v14, v6
	v_cvt_f32_f16_e32 v15, v7
	v_cvt_f32_f16_e32 v12, v4
	v_cvt_f32_f16_sdwa v4, v4 dst_sel:DWORD dst_unused:UNUSED_PAD src0_sel:WORD_1
	v_mul_f32_e32 v9, 0xbfb8aa3b, v9
	v_pk_add_f32 v[0:1], v[0:1], 1.0 op_sel_hi:[1,0]
	v_cvt_f32_f16_sdwa v7, v7 dst_sel:DWORD dst_unused:UNUSED_PAD src0_sel:WORD_1
	v_mul_f32_e32 v19, 0xbfb8aa3b, v2
	v_mul_f32_e32 v20, 0xbfb8aa3b, v3
	;; [unrolled: 1-line block ×3, first 2 shown]
	v_exp_f32_e32 v2, v9
	v_exp_f32_e32 v3, v18
	v_div_scale_f32 v17, s[0:1], v1, v1, 1.0
	v_cvt_f32_f16_sdwa v6, v6 dst_sel:DWORD dst_unused:UNUSED_PAD src0_sel:WORD_1
	v_mul_f32_e32 v10, 0xbfb8aa3b, v10
	v_mul_f32_e32 v23, 0xbfb8aa3b, v14
	;; [unrolled: 1-line block ×3, first 2 shown]
	v_exp_f32_e32 v5, v19
	v_exp_f32_e32 v15, v22
	v_div_scale_f32 v19, s[0:1], v0, v0, 1.0
	v_rcp_f32_e32 v22, v17
	v_mul_f32_e32 v21, 0xbfb8aa3b, v4
	v_exp_f32_e32 v4, v10
	v_exp_f32_e32 v10, v23
	v_rcp_f32_e32 v23, v19
	v_mul_f32_e32 v13, 0xbfb8aa3b, v13
	v_mul_f32_e32 v26, 0xbfb8aa3b, v7
	v_pk_add_f32 v[2:3], v[2:3], 1.0 op_sel_hi:[1,0]
	v_mul_f32_e32 v11, 0xbfb8aa3b, v11
	v_mul_f32_e32 v24, 0xbfb8aa3b, v6
	v_exp_f32_e32 v9, v21
	v_exp_f32_e32 v14, v13
	;; [unrolled: 1-line block ×3, first 2 shown]
	v_div_scale_f32 v21, s[2:3], v3, v3, 1.0
	v_fma_f32 v26, -v17, v22, 1.0
	v_exp_f32_e32 v6, v11
	v_exp_f32_e32 v11, v24
	v_div_scale_f32 v18, vcc, 1.0, v1, 1.0
	v_rcp_f32_e32 v24, v21
	v_fma_f32 v27, -v19, v23, 1.0
	v_fmac_f32_e32 v22, v26, v22
	v_exp_f32_e32 v7, v20
	v_div_scale_f32 v20, s[0:1], 1.0, v0, 1.0
	v_fmac_f32_e32 v23, v27, v23
	v_mul_f32_e32 v26, v18, v22
	v_mul_f32_e32 v27, v20, v23
	v_fma_f32 v29, -v17, v26, v18
	v_fma_f32 v30, -v19, v27, v20
	v_fmac_f32_e32 v26, v29, v22
	v_mul_f32_e32 v12, 0xbfb8aa3b, v12
	v_fma_f32 v28, -v21, v24, 1.0
	v_fmac_f32_e32 v27, v30, v23
	v_fma_f32 v17, -v17, v26, v18
	v_exp_f32_e32 v8, v12
	v_exp_f32_e32 v12, v25
	v_div_scale_f32 v25, s[2:3], 1.0, v3, 1.0
	v_fmac_f32_e32 v24, v28, v24
	v_fma_f32 v18, -v19, v27, v20
	v_div_fmas_f32 v17, v17, v22, v26
	s_mov_b64 vcc, s[0:1]
	v_mul_f32_e32 v28, v25, v24
	v_div_fixup_f32 v1, v17, v1, 1.0
	v_div_fmas_f32 v17, v18, v23, v27
	v_div_scale_f32 v18, s[0:1], v2, v2, 1.0
	v_fma_f32 v31, -v21, v28, v25
	v_div_fixup_f32 v0, v17, v0, 1.0
	v_cmp_class_f32_e32 vcc, v1, v16
	v_rcp_f32_e32 v19, v18
	v_cndmask_b32_e64 v1, v1, 0, vcc
	v_cmp_class_f32_e32 vcc, v0, v16
	v_fmac_f32_e32 v28, v31, v24
	v_cndmask_b32_e64 v0, v0, 0, vcc
	v_fma_f32 v17, -v21, v28, v25
	s_mov_b64 vcc, s[2:3]
	v_div_fmas_f32 v17, v17, v24, v28
	v_div_fixup_f32 v3, v17, v3, 1.0
	v_fma_f32 v17, -v18, v19, 1.0
	v_fmac_f32_e32 v19, v17, v19
	v_div_scale_f32 v17, vcc, 1.0, v2, 1.0
	v_mul_f32_e32 v20, v17, v19
	v_fma_f32 v21, -v18, v20, v17
	v_fmac_f32_e32 v20, v21, v19
	v_fma_f32 v17, -v18, v20, v17
	v_div_fmas_f32 v17, v17, v19, v20
	v_pk_add_f32 v[4:5], v[4:5], 1.0 op_sel_hi:[1,0]
	v_div_fixup_f32 v2, v17, v2, 1.0
	v_div_scale_f32 v17, s[0:1], v5, v5, 1.0
	v_rcp_f32_e32 v18, v17
	v_cmp_class_f32_e32 vcc, v3, v16
	v_cndmask_b32_e64 v3, v3, 0, vcc
	v_cmp_class_f32_e32 vcc, v2, v16
	v_fma_f32 v19, -v17, v18, 1.0
	v_cndmask_b32_e64 v2, v2, 0, vcc
	v_fmac_f32_e32 v18, v19, v18
	v_div_scale_f32 v19, vcc, 1.0, v5, 1.0
	v_mul_f32_e32 v20, v19, v18
	v_fma_f32 v21, -v17, v20, v19
	v_fmac_f32_e32 v20, v21, v18
	v_fma_f32 v17, -v17, v20, v19
	v_div_scale_f32 v19, s[0:1], v4, v4, 1.0
	v_rcp_f32_e32 v21, v19
	v_div_fmas_f32 v17, v17, v18, v20
	v_div_fixup_f32 v5, v17, v5, 1.0
	v_pk_add_f32 v[6:7], v[6:7], 1.0 op_sel_hi:[1,0]
	v_fma_f32 v17, -v19, v21, 1.0
	v_fmac_f32_e32 v21, v17, v21
	v_div_scale_f32 v17, vcc, 1.0, v4, 1.0
	v_mul_f32_e32 v18, v17, v21
	v_fma_f32 v20, -v19, v18, v17
	v_fmac_f32_e32 v18, v20, v21
	v_fma_f32 v17, -v19, v18, v17
	v_div_fmas_f32 v17, v17, v21, v18
	v_div_fixup_f32 v4, v17, v4, 1.0
	v_div_scale_f32 v17, s[0:1], v7, v7, 1.0
	v_rcp_f32_e32 v18, v17
	v_cmp_class_f32_e32 vcc, v5, v16
	v_cndmask_b32_e64 v5, v5, 0, vcc
	v_cmp_class_f32_e32 vcc, v4, v16
	v_fma_f32 v19, -v17, v18, 1.0
	v_cndmask_b32_e64 v4, v4, 0, vcc
	v_fmac_f32_e32 v18, v19, v18
	v_div_scale_f32 v19, vcc, 1.0, v7, 1.0
	v_mul_f32_e32 v20, v19, v18
	v_fma_f32 v21, -v17, v20, v19
	v_fmac_f32_e32 v20, v21, v18
	v_fma_f32 v17, -v17, v20, v19
	v_div_scale_f32 v19, s[0:1], v6, v6, 1.0
	v_rcp_f32_e32 v21, v19
	v_div_fmas_f32 v17, v17, v18, v20
	v_div_fixup_f32 v7, v17, v7, 1.0
	v_pk_add_f32 v[8:9], v[8:9], 1.0 op_sel_hi:[1,0]
	v_fma_f32 v17, -v19, v21, 1.0
	v_fmac_f32_e32 v21, v17, v21
	v_div_scale_f32 v17, vcc, 1.0, v6, 1.0
	v_mul_f32_e32 v18, v17, v21
	v_fma_f32 v20, -v19, v18, v17
	v_fmac_f32_e32 v18, v20, v21
	v_fma_f32 v17, -v19, v18, v17
	v_div_fmas_f32 v17, v17, v21, v18
	;; [unrolled: 27-line block ×3, first 2 shown]
	v_div_fixup_f32 v8, v17, v8, 1.0
	v_div_scale_f32 v17, s[0:1], v15, v15, 1.0
	v_rcp_f32_e32 v18, v17
	v_cmp_class_f32_e32 vcc, v9, v16
	v_cndmask_b32_e64 v9, v9, 0, vcc
	v_cmp_class_f32_e32 vcc, v8, v16
	v_fma_f32 v19, -v17, v18, 1.0
	v_cndmask_b32_e64 v8, v8, 0, vcc
	v_fmac_f32_e32 v18, v19, v18
	v_div_scale_f32 v19, vcc, 1.0, v15, 1.0
	v_mul_f32_e32 v20, v19, v18
	v_fma_f32 v21, -v17, v20, v19
	v_fmac_f32_e32 v20, v21, v18
	v_fma_f32 v17, -v17, v20, v19
	v_div_scale_f32 v19, s[0:1], v14, v14, 1.0
	v_rcp_f32_e32 v21, v19
	v_div_fmas_f32 v17, v17, v18, v20
	v_div_fixup_f32 v17, v17, v15, 1.0
	v_fma_f32 v15, -v19, v21, 1.0
	v_fmac_f32_e32 v21, v15, v21
	v_div_scale_f32 v15, vcc, 1.0, v14, 1.0
	v_mul_f32_e32 v18, v15, v21
	v_fma_f32 v20, -v19, v18, v15
	v_fmac_f32_e32 v18, v20, v21
	v_fma_f32 v15, -v19, v18, v15
	v_div_fmas_f32 v15, v15, v21, v18
	v_div_fixup_f32 v18, v15, v14, 1.0
	v_pk_add_f32 v[14:15], v[10:11], 1.0 op_sel_hi:[1,0]
	v_div_scale_f32 v19, s[0:1], v15, v15, 1.0
	v_rcp_f32_e32 v20, v19
	v_cmp_class_f32_e32 vcc, v17, v16
	v_cndmask_b32_e64 v11, v17, 0, vcc
	v_cmp_class_f32_e32 vcc, v18, v16
	v_fma_f32 v17, -v19, v20, 1.0
	v_cndmask_b32_e64 v10, v18, 0, vcc
	v_fmac_f32_e32 v20, v17, v20
	v_div_scale_f32 v17, vcc, 1.0, v15, 1.0
	v_mul_f32_e32 v18, v17, v20
	v_fma_f32 v21, -v19, v18, v17
	v_fmac_f32_e32 v18, v21, v20
	v_fma_f32 v17, -v19, v18, v17
	v_div_scale_f32 v19, s[0:1], v14, v14, 1.0
	v_rcp_f32_e32 v21, v19
	v_div_fmas_f32 v17, v17, v20, v18
	v_div_fixup_f32 v17, v17, v15, 1.0
	v_fma_f32 v15, -v19, v21, 1.0
	v_fmac_f32_e32 v21, v15, v21
	v_div_scale_f32 v15, vcc, 1.0, v14, 1.0
	v_mul_f32_e32 v18, v15, v21
	v_fma_f32 v20, -v19, v18, v15
	v_fmac_f32_e32 v18, v20, v21
	v_fma_f32 v15, -v19, v18, v15
	v_div_fmas_f32 v15, v15, v21, v18
	v_div_fixup_f32 v18, v15, v14, 1.0
	v_pk_add_f32 v[14:15], v[12:13], 1.0 op_sel_hi:[1,0]
	v_div_scale_f32 v19, s[0:1], v15, v15, 1.0
	v_rcp_f32_e32 v20, v19
	v_cmp_class_f32_e32 vcc, v17, v16
	v_cndmask_b32_e64 v13, v17, 0, vcc
	v_cmp_class_f32_e32 vcc, v18, v16
	v_fma_f32 v17, -v19, v20, 1.0
	v_cndmask_b32_e64 v12, v18, 0, vcc
	v_fmac_f32_e32 v20, v17, v20
	v_div_scale_f32 v17, vcc, 1.0, v15, 1.0
	v_mul_f32_e32 v18, v17, v20
	v_fma_f32 v21, -v19, v18, v17
	v_fmac_f32_e32 v18, v21, v20
	v_fma_f32 v17, -v19, v18, v17
	v_div_scale_f32 v19, s[0:1], v14, v14, 1.0
	v_rcp_f32_e32 v21, v19
	v_div_fmas_f32 v17, v17, v20, v18
	v_div_fixup_f32 v15, v17, v15, 1.0
	v_fma_f32 v17, -v19, v21, 1.0
	v_fmac_f32_e32 v21, v17, v21
	v_div_scale_f32 v17, vcc, 1.0, v14, 1.0
	v_mul_f32_e32 v18, v17, v21
	v_fma_f32 v20, -v19, v18, v17
	v_fmac_f32_e32 v18, v20, v21
	v_fma_f32 v17, -v19, v18, v17
	v_div_fmas_f32 v17, v17, v21, v18
	v_div_fixup_f32 v14, v17, v14, 1.0
	v_cmp_class_f32_e32 vcc, v15, v16
	v_cndmask_b32_e64 v15, v15, 0, vcc
	v_cmp_class_f32_e32 vcc, v14, v16
	v_cndmask_b32_e64 v14, v14, 0, vcc
	s_cbranch_scc1 .LBB289_31
; %bb.4:
	v_lshlrev_b32_e32 v32, 2, v38
	global_load_dwordx4 v[16:19], v32, s[8:9]
	global_load_dwordx4 v[20:23], v32, s[8:9] offset:16
	global_load_dwordx4 v[24:27], v32, s[8:9] offset:1024
	;; [unrolled: 1-line block ×3, first 2 shown]
	s_waitcnt vmcnt(3)
	v_pk_add_f32 v[16:17], v[16:17], v[0:1]
	v_pk_add_f32 v[18:19], v[18:19], v[2:3]
	s_waitcnt vmcnt(2)
	v_pk_add_f32 v[20:21], v[20:21], v[4:5]
	v_pk_add_f32 v[22:23], v[22:23], v[6:7]
	;; [unrolled: 3-line block ×4, first 2 shown]
	s_cbranch_execnz .LBB289_6
.LBB289_5:
	v_pk_mov_b32 v[30:31], v[14:15], v[14:15] op_sel:[0,1]
	v_pk_mov_b32 v[28:29], v[12:13], v[12:13] op_sel:[0,1]
	;; [unrolled: 1-line block ×8, first 2 shown]
.LBB289_6:
	s_load_dwordx4 s[8:11], s[4:5], 0x30
	s_mov_b32 s25, 0
	v_cmp_eq_u32_e64 s[0:1], 0, v37
	s_waitcnt lgkmcnt(0)
	s_bitcmp1_b32 s11, 0
	s_cselect_b64 vcc, -1, 0
	s_cmp_gt_i32 s8, 0
	s_cselect_b64 s[20:21], -1, 0
	s_cmp_lt_i32 s8, 1
	s_cbranch_scc1 .LBB289_32
; %bb.7:
	v_mbcnt_lo_u32_b32 v32, -1, 0
	v_mbcnt_hi_u32_b32 v32, -1, v32
	v_and_b32_e32 v34, 0x60, v32
	v_add_u32_e32 v34, 32, v34
	v_xor_b32_e32 v35, 16, v32
	v_cmp_lt_i32_e64 s[2:3], v35, v34
	v_cndmask_b32_e64 v35, v32, v35, s[2:3]
	v_lshlrev_b32_e32 v41, 2, v35
	v_xor_b32_e32 v35, 8, v32
	v_cmp_lt_i32_e64 s[2:3], v35, v34
	v_cndmask_b32_e64 v35, v32, v35, s[2:3]
	v_lshlrev_b32_e32 v42, 2, v35
	;; [unrolled: 4-line block ×3, first 2 shown]
	v_xor_b32_e32 v35, 2, v32
	v_cmp_lt_i32_e64 s[2:3], v35, v34
	s_load_dwordx4 s[12:15], s[4:5], 0x20
	v_cndmask_b32_e64 v35, v32, v35, s[2:3]
	v_lshlrev_b32_e32 v44, 2, v35
	v_xor_b32_e32 v35, 1, v32
	v_cmp_lt_i32_e64 s[2:3], v35, v34
	v_cndmask_b32_e64 v32, v32, v35, s[2:3]
	v_mul_lo_u32 v40, v33, s8
	v_lshlrev_b32_e32 v45, 2, v32
	v_mov_b32_e32 v39, 0
	v_mov_b32_e32 v46, 0x100
	v_mov_b32_e32 v47, 0x101
	v_bfrev_b32_e32 v48, 4.0
	v_bfrev_b32_e32 v49, -4.0
	v_mov_b32_e32 v50, 0x104
	v_mov_b32_e32 v51, 0x105
	;; [unrolled: 1-line block ×7, first 2 shown]
	s_branch .LBB289_10
.LBB289_8:                              ;   in Loop: Header=BB289_10 Depth=1
	s_or_b64 exec, exec, s[4:5]
.LBB289_9:                              ;   in Loop: Header=BB289_10 Depth=1
	s_cmp_eq_u32 s8, s25
	v_add_u32_e32 v56, s24, v56
	s_cbranch_scc1 .LBB289_33
.LBB289_10:                             ; =>This Inner Loop Header: Depth=1
	v_cmp_gt_f32_e64 s[2:3], v17, v16
	s_waitcnt lgkmcnt(0)
	v_cndmask_b32_e64 v35, v16, v17, s[2:3]
	v_cndmask_b32_e64 v32, 0, 1, s[2:3]
	v_cndmask_b32_e64 v34, v0, v1, s[2:3]
	v_cmp_gt_f32_e64 s[2:3], v18, v35
	v_cndmask_b32_e64 v35, v35, v18, s[2:3]
	v_cndmask_b32_e64 v32, v32, 2, s[2:3]
	v_cndmask_b32_e64 v34, v34, v2, s[2:3]
	v_cmp_gt_f32_e64 s[2:3], v19, v35
	;; [unrolled: 4-line block ×14, first 2 shown]
	v_cndmask_b32_e64 v32, v32, v53, s[2:3]
	v_cndmask_b32_e64 v57, v35, v31, s[2:3]
	v_or_b32_e32 v58, v38, v32
	v_cndmask_b32_e64 v32, v34, v15, s[2:3]
	ds_bpermute_b32 v60, v41, v57
	ds_bpermute_b32 v36, v41, v32
	;; [unrolled: 1-line block ×3, first 2 shown]
                                        ; implicit-def: $vgpr34_vgpr35
	s_waitcnt lgkmcnt(0)
	v_cmp_lt_f32_e64 s[6:7], v57, v60
	v_cmp_nlt_f32_e64 s[2:3], v57, v60
	s_and_saveexec_b64 s[22:23], s[2:3]
; %bb.11:                               ;   in Loop: Header=BB289_10 Depth=1
	v_cmp_eq_f32_e64 s[2:3], v57, v60
	v_cmp_lt_i32_e64 s[4:5], v59, v58
	s_and_b64 s[2:3], s[2:3], s[4:5]
	s_andn2_b64 s[4:5], s[6:7], exec
	s_and_b64 s[2:3], s[2:3], exec
	s_or_b64 s[6:7], s[4:5], s[2:3]
	v_pk_mov_b32 v[34:35], v[32:33], v[32:33] op_sel:[0,1]
; %bb.12:                               ;   in Loop: Header=BB289_10 Depth=1
	s_or_b64 exec, exec, s[22:23]
	s_and_saveexec_b64 s[2:3], s[6:7]
; %bb.13:                               ;   in Loop: Header=BB289_10 Depth=1
	v_mov_b32_e32 v57, v60
	v_mov_b32_e32 v32, v36
	;; [unrolled: 1-line block ×3, first 2 shown]
	v_pk_mov_b32 v[34:35], v[36:37], v[36:37] op_sel:[0,1]
; %bb.14:                               ;   in Loop: Header=BB289_10 Depth=1
	s_or_b64 exec, exec, s[2:3]
	ds_bpermute_b32 v59, v42, v57
	ds_bpermute_b32 v36, v42, v32
	ds_bpermute_b32 v35, v42, v58
	s_waitcnt lgkmcnt(2)
	v_cmp_lt_f32_e64 s[6:7], v57, v59
	v_cmp_nlt_f32_e64 s[2:3], v57, v59
	s_and_saveexec_b64 s[22:23], s[2:3]
	s_cbranch_execz .LBB289_16
; %bb.15:                               ;   in Loop: Header=BB289_10 Depth=1
	v_cmp_eq_f32_e64 s[2:3], v57, v59
	s_waitcnt lgkmcnt(0)
	v_cmp_lt_i32_e64 s[4:5], v35, v58
	s_and_b64 s[2:3], s[2:3], s[4:5]
	s_andn2_b64 s[4:5], s[6:7], exec
	s_and_b64 s[2:3], s[2:3], exec
	s_or_b64 s[6:7], s[4:5], s[2:3]
.LBB289_16:                             ;   in Loop: Header=BB289_10 Depth=1
	s_or_b64 exec, exec, s[22:23]
	s_and_saveexec_b64 s[2:3], s[6:7]
	s_cbranch_execz .LBB289_18
; %bb.17:                               ;   in Loop: Header=BB289_10 Depth=1
	v_mov_b32_e32 v57, v59
	s_waitcnt lgkmcnt(1)
	v_mov_b32_e32 v32, v36
	s_waitcnt lgkmcnt(0)
	v_mov_b32_e32 v58, v35
	v_pk_mov_b32 v[34:35], v[36:37], v[36:37] op_sel:[0,1]
.LBB289_18:                             ;   in Loop: Header=BB289_10 Depth=1
	s_or_b64 exec, exec, s[2:3]
	ds_bpermute_b32 v59, v43, v57
	s_waitcnt lgkmcnt(2)
	ds_bpermute_b32 v36, v43, v32
	s_waitcnt lgkmcnt(2)
	;; [unrolled: 2-line block ×3, first 2 shown]
	v_cmp_lt_f32_e64 s[6:7], v57, v59
	v_cmp_nlt_f32_e64 s[2:3], v57, v59
	s_and_saveexec_b64 s[22:23], s[2:3]
	s_cbranch_execz .LBB289_20
; %bb.19:                               ;   in Loop: Header=BB289_10 Depth=1
	v_cmp_eq_f32_e64 s[2:3], v57, v59
	s_waitcnt lgkmcnt(0)
	v_cmp_lt_i32_e64 s[4:5], v35, v58
	s_and_b64 s[2:3], s[2:3], s[4:5]
	s_andn2_b64 s[4:5], s[6:7], exec
	s_and_b64 s[2:3], s[2:3], exec
	s_or_b64 s[6:7], s[4:5], s[2:3]
.LBB289_20:                             ;   in Loop: Header=BB289_10 Depth=1
	s_or_b64 exec, exec, s[22:23]
	s_and_saveexec_b64 s[2:3], s[6:7]
	s_cbranch_execz .LBB289_22
; %bb.21:                               ;   in Loop: Header=BB289_10 Depth=1
	v_mov_b32_e32 v57, v59
	s_waitcnt lgkmcnt(1)
	v_mov_b32_e32 v32, v36
	s_waitcnt lgkmcnt(0)
	v_mov_b32_e32 v58, v35
	v_pk_mov_b32 v[34:35], v[36:37], v[36:37] op_sel:[0,1]
.LBB289_22:                             ;   in Loop: Header=BB289_10 Depth=1
	s_or_b64 exec, exec, s[2:3]
	ds_bpermute_b32 v59, v44, v57
	s_waitcnt lgkmcnt(2)
	ds_bpermute_b32 v36, v44, v32
	s_waitcnt lgkmcnt(2)
	;; [unrolled: 2-line block ×3, first 2 shown]
	v_cmp_lt_f32_e64 s[6:7], v57, v59
	v_cmp_nlt_f32_e64 s[2:3], v57, v59
	s_and_saveexec_b64 s[22:23], s[2:3]
	s_cbranch_execz .LBB289_24
; %bb.23:                               ;   in Loop: Header=BB289_10 Depth=1
	v_cmp_eq_f32_e64 s[2:3], v57, v59
	s_waitcnt lgkmcnt(0)
	v_cmp_lt_i32_e64 s[4:5], v35, v58
	s_and_b64 s[2:3], s[2:3], s[4:5]
	s_andn2_b64 s[4:5], s[6:7], exec
	s_and_b64 s[2:3], s[2:3], exec
	s_or_b64 s[6:7], s[4:5], s[2:3]
.LBB289_24:                             ;   in Loop: Header=BB289_10 Depth=1
	s_or_b64 exec, exec, s[22:23]
	s_and_saveexec_b64 s[2:3], s[6:7]
	s_cbranch_execz .LBB289_26
; %bb.25:                               ;   in Loop: Header=BB289_10 Depth=1
	v_mov_b32_e32 v57, v59
	s_waitcnt lgkmcnt(1)
	v_mov_b32_e32 v32, v36
	s_waitcnt lgkmcnt(0)
	v_mov_b32_e32 v58, v35
	v_pk_mov_b32 v[34:35], v[36:37], v[36:37] op_sel:[0,1]
.LBB289_26:                             ;   in Loop: Header=BB289_10 Depth=1
	s_or_b64 exec, exec, s[2:3]
	s_waitcnt lgkmcnt(1)
	ds_bpermute_b32 v36, v45, v57
	ds_bpermute_b32 v59, v45, v58
	s_waitcnt lgkmcnt(2)
	ds_bpermute_b32 v35, v45, v32
	s_waitcnt lgkmcnt(2)
	v_cmp_eq_f32_e64 s[4:5], v57, v36
	s_waitcnt lgkmcnt(1)
	v_cmp_lt_i32_e64 s[6:7], v59, v58
	v_cmp_lt_f32_e64 s[2:3], v57, v36
	s_and_b64 s[4:5], s[4:5], s[6:7]
	s_or_b64 s[2:3], s[2:3], s[4:5]
	v_cndmask_b32_e64 v32, v58, v59, s[2:3]
	s_and_saveexec_b64 s[6:7], s[0:1]
	s_cbranch_execnz .LBB289_28
; %bb.27:                               ;   in Loop: Header=BB289_10 Depth=1
	s_or_b64 exec, exec, s[6:7]
	s_add_i32 s25, s25, 1
	s_cmp_ge_i32 s25, s8
	s_cbranch_scc1 .LBB289_9
	s_branch .LBB289_29
.LBB289_28:                             ;   in Loop: Header=BB289_10 Depth=1
	s_waitcnt lgkmcnt(0)
	v_cndmask_b32_e64 v36, v34, v35, s[2:3]
	v_add_u32_e32 v34, s25, v40
	v_ashrrev_i32_e32 v35, 31, v34
	v_cmp_le_i32_e64 s[2:3], s9, v32
	v_cmp_gt_i32_e64 s[4:5], s10, v32
	v_lshlrev_b64 v[34:35], 2, v[34:35]
	s_and_b64 s[4:5], s[2:3], s[4:5]
	v_mov_b32_e32 v57, s17
	v_add_co_u32_e64 v58, s[2:3], s16, v34
	v_addc_co_u32_e64 v59, s[2:3], v57, v35, s[2:3]
	v_subrev_u32_e32 v57, s9, v32
	s_and_b64 s[2:3], s[18:19], s[4:5]
	global_store_dword v[58:59], v36, off
	v_cndmask_b32_e64 v57, v54, v57, s[2:3]
	v_mov_b32_e32 v59, s13
	v_add_co_u32_e64 v58, s[2:3], s12, v34
	v_addc_co_u32_e64 v59, s[2:3], v59, v35, s[2:3]
	global_store_dword v[58:59], v57, off
	v_mov_b32_e32 v57, s15
	v_add_co_u32_e64 v34, s[2:3], s14, v34
	v_addc_co_u32_e64 v35, s[2:3], v57, v35, s[2:3]
	global_store_dword v[34:35], v56, off
	v_add_f32_e32 v34, v39, v36
	v_cndmask_b32_e32 v39, v39, v34, vcc
	s_or_b64 exec, exec, s[6:7]
	s_add_i32 s25, s25, 1
	s_cmp_ge_i32 s25, s8
	s_cbranch_scc1 .LBB289_9
.LBB289_29:                             ;   in Loop: Header=BB289_10 Depth=1
	v_ashrrev_i32_e32 v34, 31, v32
	s_waitcnt lgkmcnt(0)
	v_lshrrev_b32_e32 v35, 29, v34
	v_add_u32_e32 v36, v32, v35
	v_ashrrev_i32_e32 v35, 3, v36
	v_ashrrev_i32_e32 v36, 31, v36
	v_lshrrev_b32_e32 v36, 27, v36
	v_add_u32_e32 v36, v35, v36
	v_and_b32_e32 v36, 0xffffffe0, v36
	v_sub_u32_e32 v36, v35, v36
	v_cmp_eq_u32_e64 s[2:3], v37, v36
	s_and_saveexec_b64 s[4:5], s[2:3]
	s_cbranch_execz .LBB289_8
; %bb.30:                               ;   in Loop: Header=BB289_10 Depth=1
	v_add_u32_sdwa v34, v32, v34 dst_sel:DWORD dst_unused:UNUSED_PAD src0_sel:DWORD src1_sel:BYTE_3
	v_lshlrev_b32_e32 v35, 3, v35
	v_ashrrev_i32_e32 v34, 8, v34
	v_sub_u32_e32 v32, v32, v35
	v_lshl_add_u32 v32, v34, 3, v32
	v_cmp_ne_u32_e64 s[2:3], 15, v32
	v_cndmask_b32_e64 v31, v55, v31, s[2:3]
	v_cmp_ne_u32_e64 s[2:3], 14, v32
	v_cndmask_b32_e64 v30, v55, v30, s[2:3]
	;; [unrolled: 2-line block ×16, first 2 shown]
	s_branch .LBB289_8
.LBB289_31:
                                        ; implicit-def: $vgpr16_vgpr17_vgpr18_vgpr19_vgpr20_vgpr21_vgpr22_vgpr23_vgpr24_vgpr25_vgpr26_vgpr27_vgpr28_vgpr29_vgpr30_vgpr31
	s_andn2_b64 vcc, exec, s[6:7]
	s_cbranch_vccz .LBB289_5
	s_branch .LBB289_6
.LBB289_32:
	v_mov_b32_e32 v39, 0
.LBB289_33:
	v_cmp_eq_u32_e64 s[0:1], 0, v37
	s_and_b64 s[0:1], s[0:1], vcc
	s_and_b64 exec, exec, s[0:1]
	s_cbranch_execz .LBB289_42
; %bb.34:
	s_andn2_b64 vcc, exec, s[20:21]
	s_cbranch_vccnz .LBB289_42
; %bb.35:
	v_cmp_lt_f32_e32 vcc, 0, v39
	s_mov_b32 s2, 0
	v_cndmask_b32_e32 v0, 1.0, v39, vcc
	v_mul_lo_u32 v4, v33, s8
	s_cmp_eq_u32 s8, 1
	s_mov_b64 s[0:1], -1
	s_cbranch_scc1 .LBB289_39
; %bb.36:
	s_and_b32 s2, s8, 0x7ffffffe
	v_mov_b32_e32 v1, v0
	v_mov_b32_e32 v5, s17
	s_mov_b32 s3, s2
	v_mov_b32_e32 v2, v4
.LBB289_37:                             ; =>This Inner Loop Header: Depth=1
	v_ashrrev_i32_e32 v3, 31, v2
	v_lshlrev_b64 v[6:7], 2, v[2:3]
	v_add_co_u32_e32 v6, vcc, s16, v6
	v_addc_co_u32_e32 v7, vcc, v5, v7, vcc
	global_load_dwordx2 v[8:9], v[6:7], off
	s_add_i32 s3, s3, -2
	s_cmp_lg_u32 s3, 0
	v_add_u32_e32 v2, 2, v2
	s_waitcnt vmcnt(0)
	v_div_scale_f32 v3, s[0:1], v1, v1, v9
	v_div_scale_f32 v11, s[0:1], v0, v0, v8
	v_rcp_f32_e32 v12, v3
	v_rcp_f32_e32 v13, v11
	v_div_scale_f32 v10, vcc, v9, v1, v9
	v_fma_f32 v15, -v3, v12, 1.0
	v_fma_f32 v16, -v11, v13, 1.0
	v_fmac_f32_e32 v12, v15, v12
	v_div_scale_f32 v14, s[0:1], v8, v0, v8
	v_fmac_f32_e32 v13, v16, v13
	v_mul_f32_e32 v15, v10, v12
	v_mul_f32_e32 v16, v14, v13
	v_fma_f32 v17, -v3, v15, v10
	v_fma_f32 v18, -v11, v16, v14
	v_fmac_f32_e32 v15, v17, v12
	v_fmac_f32_e32 v16, v18, v13
	v_fma_f32 v3, -v3, v15, v10
	v_fma_f32 v10, -v11, v16, v14
	v_div_fmas_f32 v3, v3, v12, v15
	s_mov_b64 vcc, s[0:1]
	v_div_fixup_f32 v9, v3, v1, v9
	v_div_fmas_f32 v3, v10, v13, v16
	v_div_fixup_f32 v8, v3, v0, v8
	global_store_dwordx2 v[6:7], v[8:9], off
	s_cbranch_scc1 .LBB289_37
; %bb.38:
	s_cmp_lg_u32 s2, s8
	s_cselect_b64 s[0:1], -1, 0
.LBB289_39:
	s_and_b64 vcc, exec, s[0:1]
	s_cbranch_vccz .LBB289_42
; %bb.40:
	v_ashrrev_i32_e32 v1, 31, v4
	v_add_co_u32_e32 v2, vcc, s2, v4
	v_addc_co_u32_e32 v3, vcc, 0, v1, vcc
	v_lshlrev_b64 v[2:3], 2, v[2:3]
	v_mov_b32_e32 v1, s17
	v_add_co_u32_e32 v2, vcc, s16, v2
	s_sub_i32 s0, s8, s2
	v_addc_co_u32_e32 v3, vcc, v1, v3, vcc
.LBB289_41:                             ; =>This Inner Loop Header: Depth=1
	global_load_dword v1, v[2:3], off
	s_add_i32 s0, s0, -1
	s_cmp_lg_u32 s0, 0
	s_waitcnt vmcnt(0)
	v_div_scale_f32 v4, s[2:3], v0, v0, v1
	v_rcp_f32_e32 v5, v4
	v_div_scale_f32 v6, vcc, v1, v0, v1
	v_fma_f32 v7, -v4, v5, 1.0
	v_fmac_f32_e32 v5, v7, v5
	v_mul_f32_e32 v7, v6, v5
	v_fma_f32 v8, -v4, v7, v6
	v_fmac_f32_e32 v7, v8, v5
	v_fma_f32 v4, -v4, v7, v6
	v_div_fmas_f32 v4, v4, v5, v7
	v_div_fixup_f32 v1, v4, v0, v1
	global_store_dword v[2:3], v1, off
	v_add_co_u32_e32 v2, vcc, 4, v2
	v_addc_co_u32_e32 v3, vcc, 0, v3, vcc
	s_cbranch_scc1 .LBB289_41
.LBB289_42:
	s_endpgm
	.section	.rodata,"a",@progbits
	.p2align	6, 0x0
	.amdhsa_kernel _ZN4vllm3moe10topkGatingILi16ELi512ELi4ELi16ELi32Ej6__halfLNS0_11ScoringFuncE1EEEvPKT5_PKbPfiPT4_PiiiibPKf
		.amdhsa_group_segment_fixed_size 0
		.amdhsa_private_segment_fixed_size 0
		.amdhsa_kernarg_size 72
		.amdhsa_user_sgpr_count 6
		.amdhsa_user_sgpr_private_segment_buffer 1
		.amdhsa_user_sgpr_dispatch_ptr 0
		.amdhsa_user_sgpr_queue_ptr 0
		.amdhsa_user_sgpr_kernarg_segment_ptr 1
		.amdhsa_user_sgpr_dispatch_id 0
		.amdhsa_user_sgpr_flat_scratch_init 0
		.amdhsa_user_sgpr_kernarg_preload_length 0
		.amdhsa_user_sgpr_kernarg_preload_offset 0
		.amdhsa_user_sgpr_private_segment_size 0
		.amdhsa_uses_dynamic_stack 0
		.amdhsa_system_sgpr_private_segment_wavefront_offset 0
		.amdhsa_system_sgpr_workgroup_id_x 1
		.amdhsa_system_sgpr_workgroup_id_y 0
		.amdhsa_system_sgpr_workgroup_id_z 0
		.amdhsa_system_sgpr_workgroup_info 0
		.amdhsa_system_vgpr_workitem_id 1
		.amdhsa_next_free_vgpr 61
		.amdhsa_next_free_sgpr 26
		.amdhsa_accum_offset 64
		.amdhsa_reserve_vcc 1
		.amdhsa_reserve_flat_scratch 0
		.amdhsa_float_round_mode_32 0
		.amdhsa_float_round_mode_16_64 0
		.amdhsa_float_denorm_mode_32 3
		.amdhsa_float_denorm_mode_16_64 3
		.amdhsa_dx10_clamp 1
		.amdhsa_ieee_mode 1
		.amdhsa_fp16_overflow 0
		.amdhsa_tg_split 0
		.amdhsa_exception_fp_ieee_invalid_op 0
		.amdhsa_exception_fp_denorm_src 0
		.amdhsa_exception_fp_ieee_div_zero 0
		.amdhsa_exception_fp_ieee_overflow 0
		.amdhsa_exception_fp_ieee_underflow 0
		.amdhsa_exception_fp_ieee_inexact 0
		.amdhsa_exception_int_div_zero 0
	.end_amdhsa_kernel
	.section	.text._ZN4vllm3moe10topkGatingILi16ELi512ELi4ELi16ELi32Ej6__halfLNS0_11ScoringFuncE1EEEvPKT5_PKbPfiPT4_PiiiibPKf,"axG",@progbits,_ZN4vllm3moe10topkGatingILi16ELi512ELi4ELi16ELi32Ej6__halfLNS0_11ScoringFuncE1EEEvPKT5_PKbPfiPT4_PiiiibPKf,comdat
.Lfunc_end289:
	.size	_ZN4vllm3moe10topkGatingILi16ELi512ELi4ELi16ELi32Ej6__halfLNS0_11ScoringFuncE1EEEvPKT5_PKbPfiPT4_PiiiibPKf, .Lfunc_end289-_ZN4vllm3moe10topkGatingILi16ELi512ELi4ELi16ELi32Ej6__halfLNS0_11ScoringFuncE1EEEvPKT5_PKbPfiPT4_PiiiibPKf
                                        ; -- End function
	.section	.AMDGPU.csdata,"",@progbits
; Kernel info:
; codeLenInByte = 4556
; NumSgprs: 30
; NumVgprs: 61
; NumAgprs: 0
; TotalNumVgprs: 61
; ScratchSize: 0
; MemoryBound: 0
; FloatMode: 240
; IeeeMode: 1
; LDSByteSize: 0 bytes/workgroup (compile time only)
; SGPRBlocks: 3
; VGPRBlocks: 7
; NumSGPRsForWavesPerEU: 30
; NumVGPRsForWavesPerEU: 61
; AccumOffset: 64
; Occupancy: 8
; WaveLimiterHint : 1
; COMPUTE_PGM_RSRC2:SCRATCH_EN: 0
; COMPUTE_PGM_RSRC2:USER_SGPR: 6
; COMPUTE_PGM_RSRC2:TRAP_HANDLER: 0
; COMPUTE_PGM_RSRC2:TGID_X_EN: 1
; COMPUTE_PGM_RSRC2:TGID_Y_EN: 0
; COMPUTE_PGM_RSRC2:TGID_Z_EN: 0
; COMPUTE_PGM_RSRC2:TIDIG_COMP_CNT: 1
; COMPUTE_PGM_RSRC3_GFX90A:ACCUM_OFFSET: 15
; COMPUTE_PGM_RSRC3_GFX90A:TG_SPLIT: 0
	.section	.text._ZN4vllm3moe10topkGatingILi1ELi1ELi4ELi2ELi64El6__halfLNS0_11ScoringFuncE1EEEvPKT5_PKbPfiPT4_PiiiibPKf,"axG",@progbits,_ZN4vllm3moe10topkGatingILi1ELi1ELi4ELi2ELi64El6__halfLNS0_11ScoringFuncE1EEEvPKT5_PKbPfiPT4_PiiiibPKf,comdat
	.protected	_ZN4vllm3moe10topkGatingILi1ELi1ELi4ELi2ELi64El6__halfLNS0_11ScoringFuncE1EEEvPKT5_PKbPfiPT4_PiiiibPKf ; -- Begin function _ZN4vllm3moe10topkGatingILi1ELi1ELi4ELi2ELi64El6__halfLNS0_11ScoringFuncE1EEEvPKT5_PKbPfiPT4_PiiiibPKf
	.globl	_ZN4vllm3moe10topkGatingILi1ELi1ELi4ELi2ELi64El6__halfLNS0_11ScoringFuncE1EEEvPKT5_PKbPfiPT4_PiiiibPKf
	.p2align	8
	.type	_ZN4vllm3moe10topkGatingILi1ELi1ELi4ELi2ELi64El6__halfLNS0_11ScoringFuncE1EEEvPKT5_PKbPfiPT4_PiiiibPKf,@function
_ZN4vllm3moe10topkGatingILi1ELi1ELi4ELi2ELi64El6__halfLNS0_11ScoringFuncE1EEEvPKT5_PKbPfiPT4_PiiiibPKf: ; @_ZN4vllm3moe10topkGatingILi1ELi1ELi4ELi2ELi64El6__halfLNS0_11ScoringFuncE1EEEvPKT5_PKbPfiPT4_PiiiibPKf
; %bb.0:
	s_load_dword s18, s[4:5], 0x18
	v_bfe_u32 v1, v0, 10, 10
	s_lshl_b32 s0, s6, 8
	v_lshlrev_b32_e32 v1, 6, v1
	v_and_b32_e32 v0, 0x3ff, v0
	v_add3_u32 v0, v1, v0, s0
	s_waitcnt lgkmcnt(0)
	v_cmp_gt_i32_e32 vcc, s18, v0
	s_and_saveexec_b64 s[0:1], vcc
	s_cbranch_execz .LBB290_17
; %bb.1:
	s_load_dwordx4 s[12:15], s[4:5], 0x0
	s_load_dwordx2 s[2:3], s[4:5], 0x10
	v_ashrrev_i32_e32 v1, 31, v0
	s_waitcnt lgkmcnt(0)
	s_cmp_eq_u64 s[14:15], 0
	s_cbranch_scc1 .LBB290_3
; %bb.2:
	v_mov_b32_e32 v3, s15
	v_add_co_u32_e32 v2, vcc, s14, v0
	v_addc_co_u32_e32 v3, vcc, v3, v1, vcc
	global_load_ubyte v2, v[2:3], off
	s_waitcnt vmcnt(0)
	v_and_b32_e32 v2, 1, v2
	v_cmp_eq_u32_e32 vcc, 1, v2
	s_xor_b64 s[0:1], vcc, -1
	s_orn2_b64 s[16:17], s[0:1], exec
	s_branch .LBB290_4
.LBB290_3:
	s_mov_b64 s[16:17], -1
.LBB290_4:
	s_load_dwordx4 s[8:11], s[4:5], 0x30
	s_waitcnt lgkmcnt(0)
	s_bitcmp1_b32 s11, 0
	s_cselect_b64 s[0:1], -1, 0
	s_cmp_gt_i32 s8, 0
	s_cselect_b64 s[14:15], -1, 0
	s_cmp_lt_i32 s8, 1
	s_cbranch_scc1 .LBB290_8
; %bb.5:
	v_lshlrev_b64 v[2:3], 1, v[0:1]
	v_mov_b32_e32 v1, s13
	v_add_co_u32_e32 v2, vcc, s12, v2
	v_addc_co_u32_e32 v3, vcc, v1, v3, vcc
	global_load_ushort v4, v[2:3], off
	v_mul_lo_u32 v2, v0, s8
	s_load_dwordx4 s[4:7], s[4:5], 0x20
	s_cmp_lt_i32 s9, 1
	v_ashrrev_i32_e32 v3, 31, v2
	s_cselect_b64 s[12:13], -1, 0
	s_cmp_gt_i32 s10, 0
	v_lshlrev_b64 v[8:9], 2, v[2:3]
	v_mov_b32_e32 v5, s3
	s_cselect_b64 s[10:11], -1, 0
	s_sub_i32 s9, 0, s9
	v_lshlrev_b64 v[6:7], 3, v[2:3]
	v_add_co_u32_e32 v2, vcc, s2, v8
	s_and_b64 s[10:11], s[12:13], s[10:11]
	s_ashr_i32 s12, s9, 31
	v_addc_co_u32_e32 v3, vcc, v5, v9, vcc
	v_mov_b32_e32 v11, s9
	v_mov_b32_e32 v5, s12
	s_and_b64 vcc, s[16:17], s[10:11]
	v_cndmask_b32_e32 v5, 0, v5, vcc
	s_waitcnt lgkmcnt(0)
	v_mov_b32_e32 v13, s7
	s_movk_i32 s19, 0x1f8
	v_mov_b32_e32 v1, 0
	v_mov_b32_e32 v10, v0
	s_waitcnt vmcnt(0)
	v_cvt_f32_f16_e32 v12, v4
	v_cndmask_b32_e32 v4, 1, v11, vcc
	v_mov_b32_e32 v11, s5
	v_add_co_u32_e32 v6, vcc, s4, v6
	v_mul_f32_e32 v12, 0xbfb8aa3b, v12
	v_exp_f32_e32 v12, v12
	v_addc_co_u32_e32 v7, vcc, v11, v7, vcc
	v_add_co_u32_e32 v8, vcc, s6, v8
	v_add_f32_e32 v11, 1.0, v12
	v_div_scale_f32 v12, s[4:5], v11, v11, 1.0
	v_rcp_f32_e32 v14, v12
	v_addc_co_u32_e32 v9, vcc, v13, v9, vcc
	v_div_scale_f32 v13, vcc, 1.0, v11, 1.0
	v_fma_f32 v15, -v12, v14, 1.0
	v_fmac_f32_e32 v14, v15, v14
	v_mul_f32_e32 v15, v13, v14
	v_fma_f32 v16, -v12, v15, v13
	v_fmac_f32_e32 v15, v16, v14
	v_fma_f32 v12, -v12, v15, v13
	v_div_fmas_f32 v12, v12, v14, v15
	v_div_fixup_f32 v11, v12, v11, 1.0
	v_cmp_class_f32_e64 vcc, v11, s19
	v_cndmask_b32_e32 v11, 0, v11, vcc
	s_mov_b32 s4, s8
.LBB290_6:                              ; =>This Inner Loop Header: Depth=1
	global_store_dword v[2:3], v11, off
	global_store_dwordx2 v[6:7], v[4:5], off
	global_store_dword v[8:9], v10, off
	v_add_co_u32_e32 v2, vcc, 4, v2
	v_addc_co_u32_e32 v3, vcc, 0, v3, vcc
	v_add_co_u32_e32 v6, vcc, 8, v6
	v_addc_co_u32_e32 v7, vcc, 0, v7, vcc
	v_add_f32_e32 v12, v1, v11
	s_add_i32 s4, s4, -1
	v_add_co_u32_e32 v8, vcc, 4, v8
	v_cndmask_b32_e64 v1, v1, v12, s[0:1]
	v_add_u32_e32 v10, s18, v10
	s_cmp_lg_u32 s4, 0
	v_addc_co_u32_e32 v9, vcc, 0, v9, vcc
	s_cbranch_scc1 .LBB290_6
; %bb.7:
	s_andn2_b64 vcc, exec, s[0:1]
	s_cbranch_vccz .LBB290_9
	s_branch .LBB290_17
.LBB290_8:
	v_mov_b32_e32 v1, 0
	s_andn2_b64 vcc, exec, s[0:1]
	s_cbranch_vccnz .LBB290_17
.LBB290_9:
	s_andn2_b64 vcc, exec, s[14:15]
	s_cbranch_vccnz .LBB290_17
; %bb.10:
	v_cmp_lt_f32_e32 vcc, 0, v1
	s_mov_b32 s4, 0
	v_cndmask_b32_e32 v2, 1.0, v1, vcc
	v_mul_lo_u32 v0, v0, s8
	s_cmp_eq_u32 s8, 1
	s_mov_b64 s[0:1], -1
	s_cbranch_scc1 .LBB290_14
; %bb.11:
	s_and_b32 s4, s8, 0x7ffffffe
	v_mov_b32_e32 v1, v2
	v_mov_b32_e32 v3, s3
	s_mov_b32 s5, s4
	v_mov_b32_e32 v4, v0
.LBB290_12:                             ; =>This Inner Loop Header: Depth=1
	v_ashrrev_i32_e32 v5, 31, v4
	v_lshlrev_b64 v[6:7], 2, v[4:5]
	v_add_co_u32_e32 v6, vcc, s2, v6
	v_addc_co_u32_e32 v7, vcc, v3, v7, vcc
	global_load_dwordx2 v[8:9], v[6:7], off
	s_add_i32 s5, s5, -2
	s_cmp_lg_u32 s5, 0
	v_add_u32_e32 v4, 2, v4
	s_waitcnt vmcnt(0)
	v_div_scale_f32 v5, s[0:1], v1, v1, v9
	v_div_scale_f32 v11, s[0:1], v2, v2, v8
	v_rcp_f32_e32 v12, v5
	v_rcp_f32_e32 v13, v11
	v_div_scale_f32 v10, vcc, v9, v1, v9
	v_fma_f32 v15, -v5, v12, 1.0
	v_fma_f32 v16, -v11, v13, 1.0
	v_fmac_f32_e32 v12, v15, v12
	v_div_scale_f32 v14, s[0:1], v8, v2, v8
	v_fmac_f32_e32 v13, v16, v13
	v_mul_f32_e32 v15, v10, v12
	v_mul_f32_e32 v16, v14, v13
	v_fma_f32 v17, -v5, v15, v10
	v_fma_f32 v18, -v11, v16, v14
	v_fmac_f32_e32 v15, v17, v12
	v_fmac_f32_e32 v16, v18, v13
	v_fma_f32 v5, -v5, v15, v10
	v_fma_f32 v10, -v11, v16, v14
	v_div_fmas_f32 v5, v5, v12, v15
	s_mov_b64 vcc, s[0:1]
	v_div_fixup_f32 v9, v5, v1, v9
	v_div_fmas_f32 v5, v10, v13, v16
	v_div_fixup_f32 v8, v5, v2, v8
	global_store_dwordx2 v[6:7], v[8:9], off
	s_cbranch_scc1 .LBB290_12
; %bb.13:
	s_cmp_lg_u32 s4, s8
	s_cselect_b64 s[0:1], -1, 0
.LBB290_14:
	s_and_b64 vcc, exec, s[0:1]
	s_cbranch_vccz .LBB290_17
; %bb.15:
	v_ashrrev_i32_e32 v1, 31, v0
	v_add_co_u32_e32 v0, vcc, s4, v0
	v_addc_co_u32_e32 v1, vcc, 0, v1, vcc
	v_lshlrev_b64 v[0:1], 2, v[0:1]
	v_mov_b32_e32 v3, s3
	v_add_co_u32_e32 v0, vcc, s2, v0
	s_sub_i32 s0, s8, s4
	v_addc_co_u32_e32 v1, vcc, v3, v1, vcc
.LBB290_16:                             ; =>This Inner Loop Header: Depth=1
	global_load_dword v3, v[0:1], off
	s_add_i32 s0, s0, -1
	s_cmp_lg_u32 s0, 0
	s_waitcnt vmcnt(0)
	v_div_scale_f32 v4, s[2:3], v2, v2, v3
	v_rcp_f32_e32 v5, v4
	v_div_scale_f32 v6, vcc, v3, v2, v3
	v_fma_f32 v7, -v4, v5, 1.0
	v_fmac_f32_e32 v5, v7, v5
	v_mul_f32_e32 v7, v6, v5
	v_fma_f32 v8, -v4, v7, v6
	v_fmac_f32_e32 v7, v8, v5
	v_fma_f32 v4, -v4, v7, v6
	v_div_fmas_f32 v4, v4, v5, v7
	v_div_fixup_f32 v3, v4, v2, v3
	global_store_dword v[0:1], v3, off
	v_add_co_u32_e32 v0, vcc, 4, v0
	v_addc_co_u32_e32 v1, vcc, 0, v1, vcc
	s_cbranch_scc1 .LBB290_16
.LBB290_17:
	s_endpgm
	.section	.rodata,"a",@progbits
	.p2align	6, 0x0
	.amdhsa_kernel _ZN4vllm3moe10topkGatingILi1ELi1ELi4ELi2ELi64El6__halfLNS0_11ScoringFuncE1EEEvPKT5_PKbPfiPT4_PiiiibPKf
		.amdhsa_group_segment_fixed_size 0
		.amdhsa_private_segment_fixed_size 0
		.amdhsa_kernarg_size 72
		.amdhsa_user_sgpr_count 6
		.amdhsa_user_sgpr_private_segment_buffer 1
		.amdhsa_user_sgpr_dispatch_ptr 0
		.amdhsa_user_sgpr_queue_ptr 0
		.amdhsa_user_sgpr_kernarg_segment_ptr 1
		.amdhsa_user_sgpr_dispatch_id 0
		.amdhsa_user_sgpr_flat_scratch_init 0
		.amdhsa_user_sgpr_kernarg_preload_length 0
		.amdhsa_user_sgpr_kernarg_preload_offset 0
		.amdhsa_user_sgpr_private_segment_size 0
		.amdhsa_uses_dynamic_stack 0
		.amdhsa_system_sgpr_private_segment_wavefront_offset 0
		.amdhsa_system_sgpr_workgroup_id_x 1
		.amdhsa_system_sgpr_workgroup_id_y 0
		.amdhsa_system_sgpr_workgroup_id_z 0
		.amdhsa_system_sgpr_workgroup_info 0
		.amdhsa_system_vgpr_workitem_id 1
		.amdhsa_next_free_vgpr 19
		.amdhsa_next_free_sgpr 20
		.amdhsa_accum_offset 20
		.amdhsa_reserve_vcc 1
		.amdhsa_reserve_flat_scratch 0
		.amdhsa_float_round_mode_32 0
		.amdhsa_float_round_mode_16_64 0
		.amdhsa_float_denorm_mode_32 3
		.amdhsa_float_denorm_mode_16_64 3
		.amdhsa_dx10_clamp 1
		.amdhsa_ieee_mode 1
		.amdhsa_fp16_overflow 0
		.amdhsa_tg_split 0
		.amdhsa_exception_fp_ieee_invalid_op 0
		.amdhsa_exception_fp_denorm_src 0
		.amdhsa_exception_fp_ieee_div_zero 0
		.amdhsa_exception_fp_ieee_overflow 0
		.amdhsa_exception_fp_ieee_underflow 0
		.amdhsa_exception_fp_ieee_inexact 0
		.amdhsa_exception_int_div_zero 0
	.end_amdhsa_kernel
	.section	.text._ZN4vllm3moe10topkGatingILi1ELi1ELi4ELi2ELi64El6__halfLNS0_11ScoringFuncE1EEEvPKT5_PKbPfiPT4_PiiiibPKf,"axG",@progbits,_ZN4vllm3moe10topkGatingILi1ELi1ELi4ELi2ELi64El6__halfLNS0_11ScoringFuncE1EEEvPKT5_PKbPfiPT4_PiiiibPKf,comdat
.Lfunc_end290:
	.size	_ZN4vllm3moe10topkGatingILi1ELi1ELi4ELi2ELi64El6__halfLNS0_11ScoringFuncE1EEEvPKT5_PKbPfiPT4_PiiiibPKf, .Lfunc_end290-_ZN4vllm3moe10topkGatingILi1ELi1ELi4ELi2ELi64El6__halfLNS0_11ScoringFuncE1EEEvPKT5_PKbPfiPT4_PiiiibPKf
                                        ; -- End function
	.section	.AMDGPU.csdata,"",@progbits
; Kernel info:
; codeLenInByte = 984
; NumSgprs: 24
; NumVgprs: 19
; NumAgprs: 0
; TotalNumVgprs: 19
; ScratchSize: 0
; MemoryBound: 0
; FloatMode: 240
; IeeeMode: 1
; LDSByteSize: 0 bytes/workgroup (compile time only)
; SGPRBlocks: 2
; VGPRBlocks: 2
; NumSGPRsForWavesPerEU: 24
; NumVGPRsForWavesPerEU: 19
; AccumOffset: 20
; Occupancy: 8
; WaveLimiterHint : 0
; COMPUTE_PGM_RSRC2:SCRATCH_EN: 0
; COMPUTE_PGM_RSRC2:USER_SGPR: 6
; COMPUTE_PGM_RSRC2:TRAP_HANDLER: 0
; COMPUTE_PGM_RSRC2:TGID_X_EN: 1
; COMPUTE_PGM_RSRC2:TGID_Y_EN: 0
; COMPUTE_PGM_RSRC2:TGID_Z_EN: 0
; COMPUTE_PGM_RSRC2:TIDIG_COMP_CNT: 1
; COMPUTE_PGM_RSRC3_GFX90A:ACCUM_OFFSET: 4
; COMPUTE_PGM_RSRC3_GFX90A:TG_SPLIT: 0
	.section	.text._ZN4vllm3moe10topkGatingILi1ELi1ELi4ELi2ELi32El6__halfLNS0_11ScoringFuncE1EEEvPKT5_PKbPfiPT4_PiiiibPKf,"axG",@progbits,_ZN4vllm3moe10topkGatingILi1ELi1ELi4ELi2ELi32El6__halfLNS0_11ScoringFuncE1EEEvPKT5_PKbPfiPT4_PiiiibPKf,comdat
	.protected	_ZN4vllm3moe10topkGatingILi1ELi1ELi4ELi2ELi32El6__halfLNS0_11ScoringFuncE1EEEvPKT5_PKbPfiPT4_PiiiibPKf ; -- Begin function _ZN4vllm3moe10topkGatingILi1ELi1ELi4ELi2ELi32El6__halfLNS0_11ScoringFuncE1EEEvPKT5_PKbPfiPT4_PiiiibPKf
	.globl	_ZN4vllm3moe10topkGatingILi1ELi1ELi4ELi2ELi32El6__halfLNS0_11ScoringFuncE1EEEvPKT5_PKbPfiPT4_PiiiibPKf
	.p2align	8
	.type	_ZN4vllm3moe10topkGatingILi1ELi1ELi4ELi2ELi32El6__halfLNS0_11ScoringFuncE1EEEvPKT5_PKbPfiPT4_PiiiibPKf,@function
_ZN4vllm3moe10topkGatingILi1ELi1ELi4ELi2ELi32El6__halfLNS0_11ScoringFuncE1EEEvPKT5_PKbPfiPT4_PiiiibPKf: ; @_ZN4vllm3moe10topkGatingILi1ELi1ELi4ELi2ELi32El6__halfLNS0_11ScoringFuncE1EEEvPKT5_PKbPfiPT4_PiiiibPKf
; %bb.0:
	s_load_dword s18, s[4:5], 0x18
	v_bfe_u32 v1, v0, 10, 10
	s_lshl_b32 s0, s6, 7
	v_lshlrev_b32_e32 v1, 5, v1
	v_and_b32_e32 v0, 0x3ff, v0
	v_add3_u32 v0, v1, v0, s0
	s_waitcnt lgkmcnt(0)
	v_cmp_gt_i32_e32 vcc, s18, v0
	s_and_saveexec_b64 s[0:1], vcc
	s_cbranch_execz .LBB291_17
; %bb.1:
	s_load_dwordx4 s[12:15], s[4:5], 0x0
	s_load_dwordx2 s[2:3], s[4:5], 0x10
	v_ashrrev_i32_e32 v1, 31, v0
	s_waitcnt lgkmcnt(0)
	s_cmp_eq_u64 s[14:15], 0
	s_cbranch_scc1 .LBB291_3
; %bb.2:
	v_mov_b32_e32 v3, s15
	v_add_co_u32_e32 v2, vcc, s14, v0
	v_addc_co_u32_e32 v3, vcc, v3, v1, vcc
	global_load_ubyte v2, v[2:3], off
	s_waitcnt vmcnt(0)
	v_and_b32_e32 v2, 1, v2
	v_cmp_eq_u32_e32 vcc, 1, v2
	s_xor_b64 s[0:1], vcc, -1
	s_orn2_b64 s[16:17], s[0:1], exec
	s_branch .LBB291_4
.LBB291_3:
	s_mov_b64 s[16:17], -1
.LBB291_4:
	s_load_dwordx4 s[8:11], s[4:5], 0x30
	s_waitcnt lgkmcnt(0)
	s_bitcmp1_b32 s11, 0
	s_cselect_b64 s[0:1], -1, 0
	s_cmp_gt_i32 s8, 0
	s_cselect_b64 s[14:15], -1, 0
	s_cmp_lt_i32 s8, 1
	s_cbranch_scc1 .LBB291_8
; %bb.5:
	v_lshlrev_b64 v[2:3], 1, v[0:1]
	v_mov_b32_e32 v1, s13
	v_add_co_u32_e32 v2, vcc, s12, v2
	v_addc_co_u32_e32 v3, vcc, v1, v3, vcc
	global_load_ushort v4, v[2:3], off
	v_mul_lo_u32 v2, v0, s8
	s_load_dwordx4 s[4:7], s[4:5], 0x20
	s_cmp_lt_i32 s9, 1
	v_ashrrev_i32_e32 v3, 31, v2
	s_cselect_b64 s[12:13], -1, 0
	s_cmp_gt_i32 s10, 0
	v_lshlrev_b64 v[8:9], 2, v[2:3]
	v_mov_b32_e32 v5, s3
	s_cselect_b64 s[10:11], -1, 0
	s_sub_i32 s9, 0, s9
	v_lshlrev_b64 v[6:7], 3, v[2:3]
	v_add_co_u32_e32 v2, vcc, s2, v8
	s_and_b64 s[10:11], s[12:13], s[10:11]
	s_ashr_i32 s12, s9, 31
	v_addc_co_u32_e32 v3, vcc, v5, v9, vcc
	v_mov_b32_e32 v11, s9
	v_mov_b32_e32 v5, s12
	s_and_b64 vcc, s[16:17], s[10:11]
	v_cndmask_b32_e32 v5, 0, v5, vcc
	s_waitcnt lgkmcnt(0)
	v_mov_b32_e32 v13, s7
	s_movk_i32 s19, 0x1f8
	v_mov_b32_e32 v1, 0
	v_mov_b32_e32 v10, v0
	s_waitcnt vmcnt(0)
	v_cvt_f32_f16_e32 v12, v4
	v_cndmask_b32_e32 v4, 1, v11, vcc
	v_mov_b32_e32 v11, s5
	v_add_co_u32_e32 v6, vcc, s4, v6
	v_mul_f32_e32 v12, 0xbfb8aa3b, v12
	v_exp_f32_e32 v12, v12
	v_addc_co_u32_e32 v7, vcc, v11, v7, vcc
	v_add_co_u32_e32 v8, vcc, s6, v8
	v_add_f32_e32 v11, 1.0, v12
	v_div_scale_f32 v12, s[4:5], v11, v11, 1.0
	v_rcp_f32_e32 v14, v12
	v_addc_co_u32_e32 v9, vcc, v13, v9, vcc
	v_div_scale_f32 v13, vcc, 1.0, v11, 1.0
	v_fma_f32 v15, -v12, v14, 1.0
	v_fmac_f32_e32 v14, v15, v14
	v_mul_f32_e32 v15, v13, v14
	v_fma_f32 v16, -v12, v15, v13
	v_fmac_f32_e32 v15, v16, v14
	v_fma_f32 v12, -v12, v15, v13
	v_div_fmas_f32 v12, v12, v14, v15
	v_div_fixup_f32 v11, v12, v11, 1.0
	v_cmp_class_f32_e64 vcc, v11, s19
	v_cndmask_b32_e32 v11, 0, v11, vcc
	s_mov_b32 s4, s8
.LBB291_6:                              ; =>This Inner Loop Header: Depth=1
	global_store_dword v[2:3], v11, off
	global_store_dwordx2 v[6:7], v[4:5], off
	global_store_dword v[8:9], v10, off
	v_add_co_u32_e32 v2, vcc, 4, v2
	v_addc_co_u32_e32 v3, vcc, 0, v3, vcc
	v_add_co_u32_e32 v6, vcc, 8, v6
	v_addc_co_u32_e32 v7, vcc, 0, v7, vcc
	v_add_f32_e32 v12, v1, v11
	s_add_i32 s4, s4, -1
	v_add_co_u32_e32 v8, vcc, 4, v8
	v_cndmask_b32_e64 v1, v1, v12, s[0:1]
	v_add_u32_e32 v10, s18, v10
	s_cmp_lg_u32 s4, 0
	v_addc_co_u32_e32 v9, vcc, 0, v9, vcc
	s_cbranch_scc1 .LBB291_6
; %bb.7:
	s_andn2_b64 vcc, exec, s[0:1]
	s_cbranch_vccz .LBB291_9
	s_branch .LBB291_17
.LBB291_8:
	v_mov_b32_e32 v1, 0
	s_andn2_b64 vcc, exec, s[0:1]
	s_cbranch_vccnz .LBB291_17
.LBB291_9:
	s_andn2_b64 vcc, exec, s[14:15]
	s_cbranch_vccnz .LBB291_17
; %bb.10:
	v_cmp_lt_f32_e32 vcc, 0, v1
	s_mov_b32 s4, 0
	v_cndmask_b32_e32 v2, 1.0, v1, vcc
	v_mul_lo_u32 v0, v0, s8
	s_cmp_eq_u32 s8, 1
	s_mov_b64 s[0:1], -1
	s_cbranch_scc1 .LBB291_14
; %bb.11:
	s_and_b32 s4, s8, 0x7ffffffe
	v_mov_b32_e32 v1, v2
	v_mov_b32_e32 v3, s3
	s_mov_b32 s5, s4
	v_mov_b32_e32 v4, v0
.LBB291_12:                             ; =>This Inner Loop Header: Depth=1
	v_ashrrev_i32_e32 v5, 31, v4
	v_lshlrev_b64 v[6:7], 2, v[4:5]
	v_add_co_u32_e32 v6, vcc, s2, v6
	v_addc_co_u32_e32 v7, vcc, v3, v7, vcc
	global_load_dwordx2 v[8:9], v[6:7], off
	s_add_i32 s5, s5, -2
	s_cmp_lg_u32 s5, 0
	v_add_u32_e32 v4, 2, v4
	s_waitcnt vmcnt(0)
	v_div_scale_f32 v5, s[0:1], v1, v1, v9
	v_div_scale_f32 v11, s[0:1], v2, v2, v8
	v_rcp_f32_e32 v12, v5
	v_rcp_f32_e32 v13, v11
	v_div_scale_f32 v10, vcc, v9, v1, v9
	v_fma_f32 v15, -v5, v12, 1.0
	v_fma_f32 v16, -v11, v13, 1.0
	v_fmac_f32_e32 v12, v15, v12
	v_div_scale_f32 v14, s[0:1], v8, v2, v8
	v_fmac_f32_e32 v13, v16, v13
	v_mul_f32_e32 v15, v10, v12
	v_mul_f32_e32 v16, v14, v13
	v_fma_f32 v17, -v5, v15, v10
	v_fma_f32 v18, -v11, v16, v14
	v_fmac_f32_e32 v15, v17, v12
	v_fmac_f32_e32 v16, v18, v13
	v_fma_f32 v5, -v5, v15, v10
	v_fma_f32 v10, -v11, v16, v14
	v_div_fmas_f32 v5, v5, v12, v15
	s_mov_b64 vcc, s[0:1]
	v_div_fixup_f32 v9, v5, v1, v9
	v_div_fmas_f32 v5, v10, v13, v16
	v_div_fixup_f32 v8, v5, v2, v8
	global_store_dwordx2 v[6:7], v[8:9], off
	s_cbranch_scc1 .LBB291_12
; %bb.13:
	s_cmp_lg_u32 s4, s8
	s_cselect_b64 s[0:1], -1, 0
.LBB291_14:
	s_and_b64 vcc, exec, s[0:1]
	s_cbranch_vccz .LBB291_17
; %bb.15:
	v_ashrrev_i32_e32 v1, 31, v0
	v_add_co_u32_e32 v0, vcc, s4, v0
	v_addc_co_u32_e32 v1, vcc, 0, v1, vcc
	v_lshlrev_b64 v[0:1], 2, v[0:1]
	v_mov_b32_e32 v3, s3
	v_add_co_u32_e32 v0, vcc, s2, v0
	s_sub_i32 s0, s8, s4
	v_addc_co_u32_e32 v1, vcc, v3, v1, vcc
.LBB291_16:                             ; =>This Inner Loop Header: Depth=1
	global_load_dword v3, v[0:1], off
	s_add_i32 s0, s0, -1
	s_cmp_lg_u32 s0, 0
	s_waitcnt vmcnt(0)
	v_div_scale_f32 v4, s[2:3], v2, v2, v3
	v_rcp_f32_e32 v5, v4
	v_div_scale_f32 v6, vcc, v3, v2, v3
	v_fma_f32 v7, -v4, v5, 1.0
	v_fmac_f32_e32 v5, v7, v5
	v_mul_f32_e32 v7, v6, v5
	v_fma_f32 v8, -v4, v7, v6
	v_fmac_f32_e32 v7, v8, v5
	v_fma_f32 v4, -v4, v7, v6
	v_div_fmas_f32 v4, v4, v5, v7
	v_div_fixup_f32 v3, v4, v2, v3
	global_store_dword v[0:1], v3, off
	v_add_co_u32_e32 v0, vcc, 4, v0
	v_addc_co_u32_e32 v1, vcc, 0, v1, vcc
	s_cbranch_scc1 .LBB291_16
.LBB291_17:
	s_endpgm
	.section	.rodata,"a",@progbits
	.p2align	6, 0x0
	.amdhsa_kernel _ZN4vllm3moe10topkGatingILi1ELi1ELi4ELi2ELi32El6__halfLNS0_11ScoringFuncE1EEEvPKT5_PKbPfiPT4_PiiiibPKf
		.amdhsa_group_segment_fixed_size 0
		.amdhsa_private_segment_fixed_size 0
		.amdhsa_kernarg_size 72
		.amdhsa_user_sgpr_count 6
		.amdhsa_user_sgpr_private_segment_buffer 1
		.amdhsa_user_sgpr_dispatch_ptr 0
		.amdhsa_user_sgpr_queue_ptr 0
		.amdhsa_user_sgpr_kernarg_segment_ptr 1
		.amdhsa_user_sgpr_dispatch_id 0
		.amdhsa_user_sgpr_flat_scratch_init 0
		.amdhsa_user_sgpr_kernarg_preload_length 0
		.amdhsa_user_sgpr_kernarg_preload_offset 0
		.amdhsa_user_sgpr_private_segment_size 0
		.amdhsa_uses_dynamic_stack 0
		.amdhsa_system_sgpr_private_segment_wavefront_offset 0
		.amdhsa_system_sgpr_workgroup_id_x 1
		.amdhsa_system_sgpr_workgroup_id_y 0
		.amdhsa_system_sgpr_workgroup_id_z 0
		.amdhsa_system_sgpr_workgroup_info 0
		.amdhsa_system_vgpr_workitem_id 1
		.amdhsa_next_free_vgpr 19
		.amdhsa_next_free_sgpr 20
		.amdhsa_accum_offset 20
		.amdhsa_reserve_vcc 1
		.amdhsa_reserve_flat_scratch 0
		.amdhsa_float_round_mode_32 0
		.amdhsa_float_round_mode_16_64 0
		.amdhsa_float_denorm_mode_32 3
		.amdhsa_float_denorm_mode_16_64 3
		.amdhsa_dx10_clamp 1
		.amdhsa_ieee_mode 1
		.amdhsa_fp16_overflow 0
		.amdhsa_tg_split 0
		.amdhsa_exception_fp_ieee_invalid_op 0
		.amdhsa_exception_fp_denorm_src 0
		.amdhsa_exception_fp_ieee_div_zero 0
		.amdhsa_exception_fp_ieee_overflow 0
		.amdhsa_exception_fp_ieee_underflow 0
		.amdhsa_exception_fp_ieee_inexact 0
		.amdhsa_exception_int_div_zero 0
	.end_amdhsa_kernel
	.section	.text._ZN4vllm3moe10topkGatingILi1ELi1ELi4ELi2ELi32El6__halfLNS0_11ScoringFuncE1EEEvPKT5_PKbPfiPT4_PiiiibPKf,"axG",@progbits,_ZN4vllm3moe10topkGatingILi1ELi1ELi4ELi2ELi32El6__halfLNS0_11ScoringFuncE1EEEvPKT5_PKbPfiPT4_PiiiibPKf,comdat
.Lfunc_end291:
	.size	_ZN4vllm3moe10topkGatingILi1ELi1ELi4ELi2ELi32El6__halfLNS0_11ScoringFuncE1EEEvPKT5_PKbPfiPT4_PiiiibPKf, .Lfunc_end291-_ZN4vllm3moe10topkGatingILi1ELi1ELi4ELi2ELi32El6__halfLNS0_11ScoringFuncE1EEEvPKT5_PKbPfiPT4_PiiiibPKf
                                        ; -- End function
	.section	.AMDGPU.csdata,"",@progbits
; Kernel info:
; codeLenInByte = 984
; NumSgprs: 24
; NumVgprs: 19
; NumAgprs: 0
; TotalNumVgprs: 19
; ScratchSize: 0
; MemoryBound: 0
; FloatMode: 240
; IeeeMode: 1
; LDSByteSize: 0 bytes/workgroup (compile time only)
; SGPRBlocks: 2
; VGPRBlocks: 2
; NumSGPRsForWavesPerEU: 24
; NumVGPRsForWavesPerEU: 19
; AccumOffset: 20
; Occupancy: 8
; WaveLimiterHint : 0
; COMPUTE_PGM_RSRC2:SCRATCH_EN: 0
; COMPUTE_PGM_RSRC2:USER_SGPR: 6
; COMPUTE_PGM_RSRC2:TRAP_HANDLER: 0
; COMPUTE_PGM_RSRC2:TGID_X_EN: 1
; COMPUTE_PGM_RSRC2:TGID_Y_EN: 0
; COMPUTE_PGM_RSRC2:TGID_Z_EN: 0
; COMPUTE_PGM_RSRC2:TIDIG_COMP_CNT: 1
; COMPUTE_PGM_RSRC3_GFX90A:ACCUM_OFFSET: 4
; COMPUTE_PGM_RSRC3_GFX90A:TG_SPLIT: 0
	.section	.text._ZN4vllm3moe10topkGatingILi2ELi2ELi4ELi4ELi64El6__halfLNS0_11ScoringFuncE1EEEvPKT5_PKbPfiPT4_PiiiibPKf,"axG",@progbits,_ZN4vllm3moe10topkGatingILi2ELi2ELi4ELi4ELi64El6__halfLNS0_11ScoringFuncE1EEEvPKT5_PKbPfiPT4_PiiiibPKf,comdat
	.protected	_ZN4vllm3moe10topkGatingILi2ELi2ELi4ELi4ELi64El6__halfLNS0_11ScoringFuncE1EEEvPKT5_PKbPfiPT4_PiiiibPKf ; -- Begin function _ZN4vllm3moe10topkGatingILi2ELi2ELi4ELi4ELi64El6__halfLNS0_11ScoringFuncE1EEEvPKT5_PKbPfiPT4_PiiiibPKf
	.globl	_ZN4vllm3moe10topkGatingILi2ELi2ELi4ELi4ELi64El6__halfLNS0_11ScoringFuncE1EEEvPKT5_PKbPfiPT4_PiiiibPKf
	.p2align	8
	.type	_ZN4vllm3moe10topkGatingILi2ELi2ELi4ELi4ELi64El6__halfLNS0_11ScoringFuncE1EEEvPKT5_PKbPfiPT4_PiiiibPKf,@function
_ZN4vllm3moe10topkGatingILi2ELi2ELi4ELi4ELi64El6__halfLNS0_11ScoringFuncE1EEEvPKT5_PKbPfiPT4_PiiiibPKf: ; @_ZN4vllm3moe10topkGatingILi2ELi2ELi4ELi4ELi64El6__halfLNS0_11ScoringFuncE1EEEvPKT5_PKbPfiPT4_PiiiibPKf
; %bb.0:
	s_load_dword s16, s[4:5], 0x18
	v_bfe_u32 v1, v0, 10, 10
	s_lshl_b32 s0, s6, 8
	v_lshlrev_b32_e32 v1, 6, v1
	v_and_b32_e32 v0, 0x3ff, v0
	v_add3_u32 v10, v1, v0, s0
	s_waitcnt lgkmcnt(0)
	v_cmp_gt_i32_e32 vcc, s16, v10
	s_and_saveexec_b64 s[0:1], vcc
	s_cbranch_execz .LBB292_19
; %bb.1:
	s_load_dwordx4 s[0:3], s[4:5], 0x0
	s_load_dwordx2 s[6:7], s[4:5], 0x10
	s_waitcnt lgkmcnt(0)
	s_cmp_eq_u64 s[2:3], 0
	s_cbranch_scc1 .LBB292_3
; %bb.2:
	v_ashrrev_i32_e32 v1, 31, v10
	v_mov_b32_e32 v2, s3
	v_add_co_u32_e32 v0, vcc, s2, v10
	v_addc_co_u32_e32 v1, vcc, v2, v1, vcc
	global_load_ubyte v0, v[0:1], off
	s_waitcnt vmcnt(0)
	v_and_b32_e32 v0, 1, v0
	v_cmp_eq_u32_e32 vcc, 1, v0
	s_xor_b64 s[2:3], vcc, -1
	s_orn2_b64 s[12:13], s[2:3], exec
	s_branch .LBB292_4
.LBB292_3:
	s_mov_b64 s[12:13], -1
.LBB292_4:
	v_lshlrev_b32_e32 v0, 1, v10
	v_ashrrev_i32_e32 v1, 31, v0
	v_lshlrev_b64 v[0:1], 1, v[0:1]
	v_mov_b32_e32 v2, s1
	v_add_co_u32_e32 v0, vcc, s0, v0
	v_addc_co_u32_e32 v1, vcc, v2, v1, vcc
	global_load_dword v0, v[0:1], off
	s_load_dwordx2 s[2:3], s[4:5], 0x40
	s_movk_i32 s8, 0x1f8
	s_waitcnt lgkmcnt(0)
	s_cmp_eq_u64 s[2:3], 0
	s_waitcnt vmcnt(0)
	v_cvt_f32_f16_e32 v1, v0
	v_cvt_f32_f16_sdwa v0, v0 dst_sel:DWORD dst_unused:UNUSED_PAD src0_sel:WORD_1
	v_mul_f32_e32 v1, 0xbfb8aa3b, v1
	v_mul_f32_e32 v2, 0xbfb8aa3b, v0
	v_exp_f32_e32 v0, v1
	v_exp_f32_e32 v1, v2
	v_pk_add_f32 v[0:1], v[0:1], 1.0 op_sel_hi:[1,0]
	v_div_scale_f32 v2, s[0:1], v1, v1, 1.0
	v_div_scale_f32 v4, s[0:1], v0, v0, 1.0
	v_rcp_f32_e32 v5, v2
	v_rcp_f32_e32 v6, v4
	v_div_scale_f32 v3, vcc, 1.0, v1, 1.0
	v_fma_f32 v8, -v2, v5, 1.0
	v_fma_f32 v9, -v4, v6, 1.0
	v_fmac_f32_e32 v5, v8, v5
	v_div_scale_f32 v7, s[0:1], 1.0, v0, 1.0
	v_fmac_f32_e32 v6, v9, v6
	v_mul_f32_e32 v8, v3, v5
	v_mul_f32_e32 v9, v7, v6
	v_fma_f32 v11, -v2, v8, v3
	v_fma_f32 v12, -v4, v9, v7
	v_fmac_f32_e32 v8, v11, v5
	v_fmac_f32_e32 v9, v12, v6
	v_fma_f32 v2, -v2, v8, v3
	v_fma_f32 v3, -v4, v9, v7
	v_div_fmas_f32 v2, v2, v5, v8
	s_mov_b64 vcc, s[0:1]
	v_div_fixup_f32 v1, v2, v1, 1.0
	v_div_fmas_f32 v2, v3, v6, v9
	v_div_fixup_f32 v0, v2, v0, 1.0
	v_cmp_class_f32_e64 vcc, v1, s8
	v_cndmask_b32_e32 v1, 0, v1, vcc
	v_cmp_class_f32_e64 vcc, v0, s8
	v_cndmask_b32_e32 v0, 0, v0, vcc
	v_pk_mov_b32 v[2:3], v[0:1], v[0:1] op_sel:[0,1]
	s_cbranch_scc1 .LBB292_6
; %bb.5:
	s_load_dwordx2 s[0:1], s[2:3], 0x0
	s_waitcnt lgkmcnt(0)
	v_pk_add_f32 v[2:3], v[0:1], s[0:1]
.LBB292_6:
	s_load_dwordx4 s[8:11], s[4:5], 0x30
	s_waitcnt lgkmcnt(0)
	s_bitcmp1_b32 s11, 0
	s_cselect_b64 vcc, -1, 0
	s_cmp_gt_i32 s8, 0
	s_cselect_b64 s[14:15], -1, 0
	s_cmp_lt_i32 s8, 1
	s_cbranch_scc1 .LBB292_10
; %bb.7:
	s_load_dwordx4 s[20:23], s[4:5], 0x20
	v_mul_lo_u32 v6, v10, s8
	v_ashrrev_i32_e32 v7, 31, v6
	v_lshlrev_b64 v[8:9], 2, v[6:7]
	v_mov_b32_e32 v5, s7
	v_add_co_u32_e64 v4, s[0:1], s6, v8
	v_addc_co_u32_e64 v5, s[0:1], v5, v9, s[0:1]
	v_lshlrev_b64 v[6:7], 3, v[6:7]
	s_waitcnt lgkmcnt(0)
	v_mov_b32_e32 v11, s21
	v_add_co_u32_e64 v6, s[0:1], s20, v6
	v_addc_co_u32_e64 v7, s[0:1], v11, v7, s[0:1]
	v_mov_b32_e32 v11, s23
	v_add_co_u32_e64 v8, s[0:1], s22, v8
	v_addc_co_u32_e64 v9, s[0:1], v11, v9, s[0:1]
	s_mov_b32 s11, 0
	v_mov_b32_e32 v11, 0
	v_mov_b32_e32 v12, 0xc61c4000
	;; [unrolled: 1-line block ×3, first 2 shown]
.LBB292_8:                              ; =>This Inner Loop Header: Depth=1
	v_cmp_gt_f32_e64 s[0:1], v3, v2
	v_cndmask_b32_e64 v14, 0, 1, s[0:1]
	v_cmp_le_i32_e64 s[2:3], s9, v14
	v_cmp_gt_i32_e64 s[4:5], s10, v14
	s_and_b64 s[2:3], s[2:3], s[4:5]
	v_subrev_u32_e32 v14, s9, v14
	v_ashrrev_i32_e32 v15, 31, v14
	s_and_b64 s[2:3], s[12:13], s[2:3]
	v_cndmask_b32_e64 v16, v0, v1, s[0:1]
	v_cndmask_b32_e64 v15, 0, v15, s[2:3]
	;; [unrolled: 1-line block ×3, first 2 shown]
	s_add_i32 s11, s11, 1
	global_store_dword v[4:5], v16, off
	global_store_dwordx2 v[6:7], v[14:15], off
	global_store_dword v[8:9], v13, off
	v_add_f32_e32 v14, v11, v16
	s_cmp_lt_i32 s11, s8
	v_cndmask_b32_e32 v11, v11, v14, vcc
	v_cndmask_b32_e64 v14, v12, v2, s[0:1]
	v_cndmask_b32_e64 v15, v3, v12, s[0:1]
	s_cselect_b64 s[0:1], -1, 0
	v_cndmask_b32_e64 v3, v3, v15, s[0:1]
	v_cndmask_b32_e64 v2, v2, v14, s[0:1]
	v_add_co_u32_e64 v4, s[0:1], 4, v4
	v_addc_co_u32_e64 v5, s[0:1], 0, v5, s[0:1]
	v_add_co_u32_e64 v6, s[0:1], 8, v6
	v_addc_co_u32_e64 v7, s[0:1], 0, v7, s[0:1]
	v_add_co_u32_e64 v8, s[0:1], 4, v8
	v_add_u32_e32 v13, s16, v13
	s_cmp_eq_u32 s8, s11
	v_addc_co_u32_e64 v9, s[0:1], 0, v9, s[0:1]
	s_cbranch_scc0 .LBB292_8
; %bb.9:
	s_and_b64 vcc, exec, vcc
	s_cbranch_vccnz .LBB292_11
	s_branch .LBB292_19
.LBB292_10:
	v_mov_b32_e32 v11, 0
	s_and_b64 vcc, exec, vcc
	s_cbranch_vccz .LBB292_19
.LBB292_11:
	s_andn2_b64 vcc, exec, s[14:15]
	s_cbranch_vccnz .LBB292_19
; %bb.12:
	v_cmp_lt_f32_e32 vcc, 0, v11
	s_mov_b32 s2, 0
	v_cndmask_b32_e32 v0, 1.0, v11, vcc
	v_mul_lo_u32 v4, v10, s8
	s_cmp_eq_u32 s8, 1
	s_mov_b64 s[0:1], -1
	s_cbranch_scc1 .LBB292_16
; %bb.13:
	s_and_b32 s2, s8, 0x7ffffffe
	v_mov_b32_e32 v1, v0
	v_mov_b32_e32 v5, s7
	s_mov_b32 s3, s2
	v_mov_b32_e32 v2, v4
.LBB292_14:                             ; =>This Inner Loop Header: Depth=1
	v_ashrrev_i32_e32 v3, 31, v2
	v_lshlrev_b64 v[6:7], 2, v[2:3]
	v_add_co_u32_e32 v6, vcc, s6, v6
	v_addc_co_u32_e32 v7, vcc, v5, v7, vcc
	global_load_dwordx2 v[8:9], v[6:7], off
	s_add_i32 s3, s3, -2
	s_cmp_lg_u32 s3, 0
	v_add_u32_e32 v2, 2, v2
	s_waitcnt vmcnt(0)
	v_div_scale_f32 v3, s[0:1], v1, v1, v9
	v_div_scale_f32 v11, s[0:1], v0, v0, v8
	v_rcp_f32_e32 v12, v3
	v_rcp_f32_e32 v13, v11
	v_div_scale_f32 v10, vcc, v9, v1, v9
	v_fma_f32 v15, -v3, v12, 1.0
	v_fma_f32 v16, -v11, v13, 1.0
	v_fmac_f32_e32 v12, v15, v12
	v_div_scale_f32 v14, s[0:1], v8, v0, v8
	v_fmac_f32_e32 v13, v16, v13
	v_mul_f32_e32 v15, v10, v12
	v_mul_f32_e32 v16, v14, v13
	v_fma_f32 v17, -v3, v15, v10
	v_fma_f32 v18, -v11, v16, v14
	v_fmac_f32_e32 v15, v17, v12
	v_fmac_f32_e32 v16, v18, v13
	v_fma_f32 v3, -v3, v15, v10
	v_fma_f32 v10, -v11, v16, v14
	v_div_fmas_f32 v3, v3, v12, v15
	s_mov_b64 vcc, s[0:1]
	v_div_fixup_f32 v9, v3, v1, v9
	v_div_fmas_f32 v3, v10, v13, v16
	v_div_fixup_f32 v8, v3, v0, v8
	global_store_dwordx2 v[6:7], v[8:9], off
	s_cbranch_scc1 .LBB292_14
; %bb.15:
	s_cmp_lg_u32 s2, s8
	s_cselect_b64 s[0:1], -1, 0
.LBB292_16:
	s_and_b64 vcc, exec, s[0:1]
	s_cbranch_vccz .LBB292_19
; %bb.17:
	v_ashrrev_i32_e32 v1, 31, v4
	v_add_co_u32_e32 v2, vcc, s2, v4
	v_addc_co_u32_e32 v3, vcc, 0, v1, vcc
	v_lshlrev_b64 v[2:3], 2, v[2:3]
	v_mov_b32_e32 v1, s7
	v_add_co_u32_e32 v2, vcc, s6, v2
	s_sub_i32 s0, s8, s2
	v_addc_co_u32_e32 v3, vcc, v1, v3, vcc
.LBB292_18:                             ; =>This Inner Loop Header: Depth=1
	global_load_dword v1, v[2:3], off
	s_add_i32 s0, s0, -1
	s_cmp_lg_u32 s0, 0
	s_waitcnt vmcnt(0)
	v_div_scale_f32 v4, s[2:3], v0, v0, v1
	v_rcp_f32_e32 v5, v4
	v_div_scale_f32 v6, vcc, v1, v0, v1
	v_fma_f32 v7, -v4, v5, 1.0
	v_fmac_f32_e32 v5, v7, v5
	v_mul_f32_e32 v7, v6, v5
	v_fma_f32 v8, -v4, v7, v6
	v_fmac_f32_e32 v7, v8, v5
	v_fma_f32 v4, -v4, v7, v6
	v_div_fmas_f32 v4, v4, v5, v7
	v_div_fixup_f32 v1, v4, v0, v1
	global_store_dword v[2:3], v1, off
	v_add_co_u32_e32 v2, vcc, 4, v2
	v_addc_co_u32_e32 v3, vcc, 0, v3, vcc
	s_cbranch_scc1 .LBB292_18
.LBB292_19:
	s_endpgm
	.section	.rodata,"a",@progbits
	.p2align	6, 0x0
	.amdhsa_kernel _ZN4vllm3moe10topkGatingILi2ELi2ELi4ELi4ELi64El6__halfLNS0_11ScoringFuncE1EEEvPKT5_PKbPfiPT4_PiiiibPKf
		.amdhsa_group_segment_fixed_size 0
		.amdhsa_private_segment_fixed_size 0
		.amdhsa_kernarg_size 72
		.amdhsa_user_sgpr_count 6
		.amdhsa_user_sgpr_private_segment_buffer 1
		.amdhsa_user_sgpr_dispatch_ptr 0
		.amdhsa_user_sgpr_queue_ptr 0
		.amdhsa_user_sgpr_kernarg_segment_ptr 1
		.amdhsa_user_sgpr_dispatch_id 0
		.amdhsa_user_sgpr_flat_scratch_init 0
		.amdhsa_user_sgpr_kernarg_preload_length 0
		.amdhsa_user_sgpr_kernarg_preload_offset 0
		.amdhsa_user_sgpr_private_segment_size 0
		.amdhsa_uses_dynamic_stack 0
		.amdhsa_system_sgpr_private_segment_wavefront_offset 0
		.amdhsa_system_sgpr_workgroup_id_x 1
		.amdhsa_system_sgpr_workgroup_id_y 0
		.amdhsa_system_sgpr_workgroup_id_z 0
		.amdhsa_system_sgpr_workgroup_info 0
		.amdhsa_system_vgpr_workitem_id 1
		.amdhsa_next_free_vgpr 19
		.amdhsa_next_free_sgpr 24
		.amdhsa_accum_offset 20
		.amdhsa_reserve_vcc 1
		.amdhsa_reserve_flat_scratch 0
		.amdhsa_float_round_mode_32 0
		.amdhsa_float_round_mode_16_64 0
		.amdhsa_float_denorm_mode_32 3
		.amdhsa_float_denorm_mode_16_64 3
		.amdhsa_dx10_clamp 1
		.amdhsa_ieee_mode 1
		.amdhsa_fp16_overflow 0
		.amdhsa_tg_split 0
		.amdhsa_exception_fp_ieee_invalid_op 0
		.amdhsa_exception_fp_denorm_src 0
		.amdhsa_exception_fp_ieee_div_zero 0
		.amdhsa_exception_fp_ieee_overflow 0
		.amdhsa_exception_fp_ieee_underflow 0
		.amdhsa_exception_fp_ieee_inexact 0
		.amdhsa_exception_int_div_zero 0
	.end_amdhsa_kernel
	.section	.text._ZN4vllm3moe10topkGatingILi2ELi2ELi4ELi4ELi64El6__halfLNS0_11ScoringFuncE1EEEvPKT5_PKbPfiPT4_PiiiibPKf,"axG",@progbits,_ZN4vllm3moe10topkGatingILi2ELi2ELi4ELi4ELi64El6__halfLNS0_11ScoringFuncE1EEEvPKT5_PKbPfiPT4_PiiiibPKf,comdat
.Lfunc_end292:
	.size	_ZN4vllm3moe10topkGatingILi2ELi2ELi4ELi4ELi64El6__halfLNS0_11ScoringFuncE1EEEvPKT5_PKbPfiPT4_PiiiibPKf, .Lfunc_end292-_ZN4vllm3moe10topkGatingILi2ELi2ELi4ELi4ELi64El6__halfLNS0_11ScoringFuncE1EEEvPKT5_PKbPfiPT4_PiiiibPKf
                                        ; -- End function
	.section	.AMDGPU.csdata,"",@progbits
; Kernel info:
; codeLenInByte = 1268
; NumSgprs: 28
; NumVgprs: 19
; NumAgprs: 0
; TotalNumVgprs: 19
; ScratchSize: 0
; MemoryBound: 1
; FloatMode: 240
; IeeeMode: 1
; LDSByteSize: 0 bytes/workgroup (compile time only)
; SGPRBlocks: 3
; VGPRBlocks: 2
; NumSGPRsForWavesPerEU: 28
; NumVGPRsForWavesPerEU: 19
; AccumOffset: 20
; Occupancy: 8
; WaveLimiterHint : 0
; COMPUTE_PGM_RSRC2:SCRATCH_EN: 0
; COMPUTE_PGM_RSRC2:USER_SGPR: 6
; COMPUTE_PGM_RSRC2:TRAP_HANDLER: 0
; COMPUTE_PGM_RSRC2:TGID_X_EN: 1
; COMPUTE_PGM_RSRC2:TGID_Y_EN: 0
; COMPUTE_PGM_RSRC2:TGID_Z_EN: 0
; COMPUTE_PGM_RSRC2:TIDIG_COMP_CNT: 1
; COMPUTE_PGM_RSRC3_GFX90A:ACCUM_OFFSET: 4
; COMPUTE_PGM_RSRC3_GFX90A:TG_SPLIT: 0
	.section	.text._ZN4vllm3moe10topkGatingILi2ELi2ELi4ELi4ELi32El6__halfLNS0_11ScoringFuncE1EEEvPKT5_PKbPfiPT4_PiiiibPKf,"axG",@progbits,_ZN4vllm3moe10topkGatingILi2ELi2ELi4ELi4ELi32El6__halfLNS0_11ScoringFuncE1EEEvPKT5_PKbPfiPT4_PiiiibPKf,comdat
	.protected	_ZN4vllm3moe10topkGatingILi2ELi2ELi4ELi4ELi32El6__halfLNS0_11ScoringFuncE1EEEvPKT5_PKbPfiPT4_PiiiibPKf ; -- Begin function _ZN4vllm3moe10topkGatingILi2ELi2ELi4ELi4ELi32El6__halfLNS0_11ScoringFuncE1EEEvPKT5_PKbPfiPT4_PiiiibPKf
	.globl	_ZN4vllm3moe10topkGatingILi2ELi2ELi4ELi4ELi32El6__halfLNS0_11ScoringFuncE1EEEvPKT5_PKbPfiPT4_PiiiibPKf
	.p2align	8
	.type	_ZN4vllm3moe10topkGatingILi2ELi2ELi4ELi4ELi32El6__halfLNS0_11ScoringFuncE1EEEvPKT5_PKbPfiPT4_PiiiibPKf,@function
_ZN4vllm3moe10topkGatingILi2ELi2ELi4ELi4ELi32El6__halfLNS0_11ScoringFuncE1EEEvPKT5_PKbPfiPT4_PiiiibPKf: ; @_ZN4vllm3moe10topkGatingILi2ELi2ELi4ELi4ELi32El6__halfLNS0_11ScoringFuncE1EEEvPKT5_PKbPfiPT4_PiiiibPKf
; %bb.0:
	s_load_dword s16, s[4:5], 0x18
	v_bfe_u32 v1, v0, 10, 10
	s_lshl_b32 s0, s6, 7
	v_lshlrev_b32_e32 v1, 5, v1
	v_and_b32_e32 v0, 0x3ff, v0
	v_add3_u32 v10, v1, v0, s0
	s_waitcnt lgkmcnt(0)
	v_cmp_gt_i32_e32 vcc, s16, v10
	s_and_saveexec_b64 s[0:1], vcc
	s_cbranch_execz .LBB293_19
; %bb.1:
	s_load_dwordx4 s[0:3], s[4:5], 0x0
	s_load_dwordx2 s[6:7], s[4:5], 0x10
	s_waitcnt lgkmcnt(0)
	s_cmp_eq_u64 s[2:3], 0
	s_cbranch_scc1 .LBB293_3
; %bb.2:
	v_ashrrev_i32_e32 v1, 31, v10
	v_mov_b32_e32 v2, s3
	v_add_co_u32_e32 v0, vcc, s2, v10
	v_addc_co_u32_e32 v1, vcc, v2, v1, vcc
	global_load_ubyte v0, v[0:1], off
	s_waitcnt vmcnt(0)
	v_and_b32_e32 v0, 1, v0
	v_cmp_eq_u32_e32 vcc, 1, v0
	s_xor_b64 s[2:3], vcc, -1
	s_orn2_b64 s[12:13], s[2:3], exec
	s_branch .LBB293_4
.LBB293_3:
	s_mov_b64 s[12:13], -1
.LBB293_4:
	v_lshlrev_b32_e32 v0, 1, v10
	v_ashrrev_i32_e32 v1, 31, v0
	v_lshlrev_b64 v[0:1], 1, v[0:1]
	v_mov_b32_e32 v2, s1
	v_add_co_u32_e32 v0, vcc, s0, v0
	v_addc_co_u32_e32 v1, vcc, v2, v1, vcc
	global_load_dword v0, v[0:1], off
	s_load_dwordx2 s[2:3], s[4:5], 0x40
	s_movk_i32 s8, 0x1f8
	s_waitcnt lgkmcnt(0)
	s_cmp_eq_u64 s[2:3], 0
	s_waitcnt vmcnt(0)
	v_cvt_f32_f16_e32 v1, v0
	v_cvt_f32_f16_sdwa v0, v0 dst_sel:DWORD dst_unused:UNUSED_PAD src0_sel:WORD_1
	v_mul_f32_e32 v1, 0xbfb8aa3b, v1
	v_mul_f32_e32 v2, 0xbfb8aa3b, v0
	v_exp_f32_e32 v0, v1
	v_exp_f32_e32 v1, v2
	v_pk_add_f32 v[0:1], v[0:1], 1.0 op_sel_hi:[1,0]
	v_div_scale_f32 v2, s[0:1], v1, v1, 1.0
	v_div_scale_f32 v4, s[0:1], v0, v0, 1.0
	v_rcp_f32_e32 v5, v2
	v_rcp_f32_e32 v6, v4
	v_div_scale_f32 v3, vcc, 1.0, v1, 1.0
	v_fma_f32 v8, -v2, v5, 1.0
	v_fma_f32 v9, -v4, v6, 1.0
	v_fmac_f32_e32 v5, v8, v5
	v_div_scale_f32 v7, s[0:1], 1.0, v0, 1.0
	v_fmac_f32_e32 v6, v9, v6
	v_mul_f32_e32 v8, v3, v5
	v_mul_f32_e32 v9, v7, v6
	v_fma_f32 v11, -v2, v8, v3
	v_fma_f32 v12, -v4, v9, v7
	v_fmac_f32_e32 v8, v11, v5
	v_fmac_f32_e32 v9, v12, v6
	v_fma_f32 v2, -v2, v8, v3
	v_fma_f32 v3, -v4, v9, v7
	v_div_fmas_f32 v2, v2, v5, v8
	s_mov_b64 vcc, s[0:1]
	v_div_fixup_f32 v1, v2, v1, 1.0
	v_div_fmas_f32 v2, v3, v6, v9
	v_div_fixup_f32 v0, v2, v0, 1.0
	v_cmp_class_f32_e64 vcc, v1, s8
	v_cndmask_b32_e32 v1, 0, v1, vcc
	v_cmp_class_f32_e64 vcc, v0, s8
	v_cndmask_b32_e32 v0, 0, v0, vcc
	v_pk_mov_b32 v[2:3], v[0:1], v[0:1] op_sel:[0,1]
	s_cbranch_scc1 .LBB293_6
; %bb.5:
	s_load_dwordx2 s[0:1], s[2:3], 0x0
	s_waitcnt lgkmcnt(0)
	v_pk_add_f32 v[2:3], v[0:1], s[0:1]
.LBB293_6:
	s_load_dwordx4 s[8:11], s[4:5], 0x30
	s_waitcnt lgkmcnt(0)
	s_bitcmp1_b32 s11, 0
	s_cselect_b64 vcc, -1, 0
	s_cmp_gt_i32 s8, 0
	s_cselect_b64 s[14:15], -1, 0
	s_cmp_lt_i32 s8, 1
	s_cbranch_scc1 .LBB293_10
; %bb.7:
	s_load_dwordx4 s[20:23], s[4:5], 0x20
	v_mul_lo_u32 v6, v10, s8
	v_ashrrev_i32_e32 v7, 31, v6
	v_lshlrev_b64 v[8:9], 2, v[6:7]
	v_mov_b32_e32 v5, s7
	v_add_co_u32_e64 v4, s[0:1], s6, v8
	v_addc_co_u32_e64 v5, s[0:1], v5, v9, s[0:1]
	v_lshlrev_b64 v[6:7], 3, v[6:7]
	s_waitcnt lgkmcnt(0)
	v_mov_b32_e32 v11, s21
	v_add_co_u32_e64 v6, s[0:1], s20, v6
	v_addc_co_u32_e64 v7, s[0:1], v11, v7, s[0:1]
	v_mov_b32_e32 v11, s23
	v_add_co_u32_e64 v8, s[0:1], s22, v8
	v_addc_co_u32_e64 v9, s[0:1], v11, v9, s[0:1]
	s_mov_b32 s11, 0
	v_mov_b32_e32 v11, 0
	v_mov_b32_e32 v12, 0xc61c4000
	;; [unrolled: 1-line block ×3, first 2 shown]
.LBB293_8:                              ; =>This Inner Loop Header: Depth=1
	v_cmp_gt_f32_e64 s[0:1], v3, v2
	v_cndmask_b32_e64 v14, 0, 1, s[0:1]
	v_cmp_le_i32_e64 s[2:3], s9, v14
	v_cmp_gt_i32_e64 s[4:5], s10, v14
	s_and_b64 s[2:3], s[2:3], s[4:5]
	v_subrev_u32_e32 v14, s9, v14
	v_ashrrev_i32_e32 v15, 31, v14
	s_and_b64 s[2:3], s[12:13], s[2:3]
	v_cndmask_b32_e64 v16, v0, v1, s[0:1]
	v_cndmask_b32_e64 v15, 0, v15, s[2:3]
	;; [unrolled: 1-line block ×3, first 2 shown]
	s_add_i32 s11, s11, 1
	global_store_dword v[4:5], v16, off
	global_store_dwordx2 v[6:7], v[14:15], off
	global_store_dword v[8:9], v13, off
	v_add_f32_e32 v14, v11, v16
	s_cmp_lt_i32 s11, s8
	v_cndmask_b32_e32 v11, v11, v14, vcc
	v_cndmask_b32_e64 v14, v12, v2, s[0:1]
	v_cndmask_b32_e64 v15, v3, v12, s[0:1]
	s_cselect_b64 s[0:1], -1, 0
	v_cndmask_b32_e64 v3, v3, v15, s[0:1]
	v_cndmask_b32_e64 v2, v2, v14, s[0:1]
	v_add_co_u32_e64 v4, s[0:1], 4, v4
	v_addc_co_u32_e64 v5, s[0:1], 0, v5, s[0:1]
	v_add_co_u32_e64 v6, s[0:1], 8, v6
	v_addc_co_u32_e64 v7, s[0:1], 0, v7, s[0:1]
	v_add_co_u32_e64 v8, s[0:1], 4, v8
	v_add_u32_e32 v13, s16, v13
	s_cmp_eq_u32 s8, s11
	v_addc_co_u32_e64 v9, s[0:1], 0, v9, s[0:1]
	s_cbranch_scc0 .LBB293_8
; %bb.9:
	s_and_b64 vcc, exec, vcc
	s_cbranch_vccnz .LBB293_11
	s_branch .LBB293_19
.LBB293_10:
	v_mov_b32_e32 v11, 0
	s_and_b64 vcc, exec, vcc
	s_cbranch_vccz .LBB293_19
.LBB293_11:
	s_andn2_b64 vcc, exec, s[14:15]
	s_cbranch_vccnz .LBB293_19
; %bb.12:
	v_cmp_lt_f32_e32 vcc, 0, v11
	s_mov_b32 s2, 0
	v_cndmask_b32_e32 v0, 1.0, v11, vcc
	v_mul_lo_u32 v4, v10, s8
	s_cmp_eq_u32 s8, 1
	s_mov_b64 s[0:1], -1
	s_cbranch_scc1 .LBB293_16
; %bb.13:
	s_and_b32 s2, s8, 0x7ffffffe
	v_mov_b32_e32 v1, v0
	v_mov_b32_e32 v5, s7
	s_mov_b32 s3, s2
	v_mov_b32_e32 v2, v4
.LBB293_14:                             ; =>This Inner Loop Header: Depth=1
	v_ashrrev_i32_e32 v3, 31, v2
	v_lshlrev_b64 v[6:7], 2, v[2:3]
	v_add_co_u32_e32 v6, vcc, s6, v6
	v_addc_co_u32_e32 v7, vcc, v5, v7, vcc
	global_load_dwordx2 v[8:9], v[6:7], off
	s_add_i32 s3, s3, -2
	s_cmp_lg_u32 s3, 0
	v_add_u32_e32 v2, 2, v2
	s_waitcnt vmcnt(0)
	v_div_scale_f32 v3, s[0:1], v1, v1, v9
	v_div_scale_f32 v11, s[0:1], v0, v0, v8
	v_rcp_f32_e32 v12, v3
	v_rcp_f32_e32 v13, v11
	v_div_scale_f32 v10, vcc, v9, v1, v9
	v_fma_f32 v15, -v3, v12, 1.0
	v_fma_f32 v16, -v11, v13, 1.0
	v_fmac_f32_e32 v12, v15, v12
	v_div_scale_f32 v14, s[0:1], v8, v0, v8
	v_fmac_f32_e32 v13, v16, v13
	v_mul_f32_e32 v15, v10, v12
	v_mul_f32_e32 v16, v14, v13
	v_fma_f32 v17, -v3, v15, v10
	v_fma_f32 v18, -v11, v16, v14
	v_fmac_f32_e32 v15, v17, v12
	v_fmac_f32_e32 v16, v18, v13
	v_fma_f32 v3, -v3, v15, v10
	v_fma_f32 v10, -v11, v16, v14
	v_div_fmas_f32 v3, v3, v12, v15
	s_mov_b64 vcc, s[0:1]
	v_div_fixup_f32 v9, v3, v1, v9
	v_div_fmas_f32 v3, v10, v13, v16
	v_div_fixup_f32 v8, v3, v0, v8
	global_store_dwordx2 v[6:7], v[8:9], off
	s_cbranch_scc1 .LBB293_14
; %bb.15:
	s_cmp_lg_u32 s2, s8
	s_cselect_b64 s[0:1], -1, 0
.LBB293_16:
	s_and_b64 vcc, exec, s[0:1]
	s_cbranch_vccz .LBB293_19
; %bb.17:
	v_ashrrev_i32_e32 v1, 31, v4
	v_add_co_u32_e32 v2, vcc, s2, v4
	v_addc_co_u32_e32 v3, vcc, 0, v1, vcc
	v_lshlrev_b64 v[2:3], 2, v[2:3]
	v_mov_b32_e32 v1, s7
	v_add_co_u32_e32 v2, vcc, s6, v2
	s_sub_i32 s0, s8, s2
	v_addc_co_u32_e32 v3, vcc, v1, v3, vcc
.LBB293_18:                             ; =>This Inner Loop Header: Depth=1
	global_load_dword v1, v[2:3], off
	s_add_i32 s0, s0, -1
	s_cmp_lg_u32 s0, 0
	s_waitcnt vmcnt(0)
	v_div_scale_f32 v4, s[2:3], v0, v0, v1
	v_rcp_f32_e32 v5, v4
	v_div_scale_f32 v6, vcc, v1, v0, v1
	v_fma_f32 v7, -v4, v5, 1.0
	v_fmac_f32_e32 v5, v7, v5
	v_mul_f32_e32 v7, v6, v5
	v_fma_f32 v8, -v4, v7, v6
	v_fmac_f32_e32 v7, v8, v5
	v_fma_f32 v4, -v4, v7, v6
	v_div_fmas_f32 v4, v4, v5, v7
	v_div_fixup_f32 v1, v4, v0, v1
	global_store_dword v[2:3], v1, off
	v_add_co_u32_e32 v2, vcc, 4, v2
	v_addc_co_u32_e32 v3, vcc, 0, v3, vcc
	s_cbranch_scc1 .LBB293_18
.LBB293_19:
	s_endpgm
	.section	.rodata,"a",@progbits
	.p2align	6, 0x0
	.amdhsa_kernel _ZN4vllm3moe10topkGatingILi2ELi2ELi4ELi4ELi32El6__halfLNS0_11ScoringFuncE1EEEvPKT5_PKbPfiPT4_PiiiibPKf
		.amdhsa_group_segment_fixed_size 0
		.amdhsa_private_segment_fixed_size 0
		.amdhsa_kernarg_size 72
		.amdhsa_user_sgpr_count 6
		.amdhsa_user_sgpr_private_segment_buffer 1
		.amdhsa_user_sgpr_dispatch_ptr 0
		.amdhsa_user_sgpr_queue_ptr 0
		.amdhsa_user_sgpr_kernarg_segment_ptr 1
		.amdhsa_user_sgpr_dispatch_id 0
		.amdhsa_user_sgpr_flat_scratch_init 0
		.amdhsa_user_sgpr_kernarg_preload_length 0
		.amdhsa_user_sgpr_kernarg_preload_offset 0
		.amdhsa_user_sgpr_private_segment_size 0
		.amdhsa_uses_dynamic_stack 0
		.amdhsa_system_sgpr_private_segment_wavefront_offset 0
		.amdhsa_system_sgpr_workgroup_id_x 1
		.amdhsa_system_sgpr_workgroup_id_y 0
		.amdhsa_system_sgpr_workgroup_id_z 0
		.amdhsa_system_sgpr_workgroup_info 0
		.amdhsa_system_vgpr_workitem_id 1
		.amdhsa_next_free_vgpr 19
		.amdhsa_next_free_sgpr 24
		.amdhsa_accum_offset 20
		.amdhsa_reserve_vcc 1
		.amdhsa_reserve_flat_scratch 0
		.amdhsa_float_round_mode_32 0
		.amdhsa_float_round_mode_16_64 0
		.amdhsa_float_denorm_mode_32 3
		.amdhsa_float_denorm_mode_16_64 3
		.amdhsa_dx10_clamp 1
		.amdhsa_ieee_mode 1
		.amdhsa_fp16_overflow 0
		.amdhsa_tg_split 0
		.amdhsa_exception_fp_ieee_invalid_op 0
		.amdhsa_exception_fp_denorm_src 0
		.amdhsa_exception_fp_ieee_div_zero 0
		.amdhsa_exception_fp_ieee_overflow 0
		.amdhsa_exception_fp_ieee_underflow 0
		.amdhsa_exception_fp_ieee_inexact 0
		.amdhsa_exception_int_div_zero 0
	.end_amdhsa_kernel
	.section	.text._ZN4vllm3moe10topkGatingILi2ELi2ELi4ELi4ELi32El6__halfLNS0_11ScoringFuncE1EEEvPKT5_PKbPfiPT4_PiiiibPKf,"axG",@progbits,_ZN4vllm3moe10topkGatingILi2ELi2ELi4ELi4ELi32El6__halfLNS0_11ScoringFuncE1EEEvPKT5_PKbPfiPT4_PiiiibPKf,comdat
.Lfunc_end293:
	.size	_ZN4vllm3moe10topkGatingILi2ELi2ELi4ELi4ELi32El6__halfLNS0_11ScoringFuncE1EEEvPKT5_PKbPfiPT4_PiiiibPKf, .Lfunc_end293-_ZN4vllm3moe10topkGatingILi2ELi2ELi4ELi4ELi32El6__halfLNS0_11ScoringFuncE1EEEvPKT5_PKbPfiPT4_PiiiibPKf
                                        ; -- End function
	.section	.AMDGPU.csdata,"",@progbits
; Kernel info:
; codeLenInByte = 1268
; NumSgprs: 28
; NumVgprs: 19
; NumAgprs: 0
; TotalNumVgprs: 19
; ScratchSize: 0
; MemoryBound: 1
; FloatMode: 240
; IeeeMode: 1
; LDSByteSize: 0 bytes/workgroup (compile time only)
; SGPRBlocks: 3
; VGPRBlocks: 2
; NumSGPRsForWavesPerEU: 28
; NumVGPRsForWavesPerEU: 19
; AccumOffset: 20
; Occupancy: 8
; WaveLimiterHint : 0
; COMPUTE_PGM_RSRC2:SCRATCH_EN: 0
; COMPUTE_PGM_RSRC2:USER_SGPR: 6
; COMPUTE_PGM_RSRC2:TRAP_HANDLER: 0
; COMPUTE_PGM_RSRC2:TGID_X_EN: 1
; COMPUTE_PGM_RSRC2:TGID_Y_EN: 0
; COMPUTE_PGM_RSRC2:TGID_Z_EN: 0
; COMPUTE_PGM_RSRC2:TIDIG_COMP_CNT: 1
; COMPUTE_PGM_RSRC3_GFX90A:ACCUM_OFFSET: 4
; COMPUTE_PGM_RSRC3_GFX90A:TG_SPLIT: 0
	.section	.text._ZN4vllm3moe10topkGatingILi4ELi4ELi4ELi8ELi64El6__halfLNS0_11ScoringFuncE1EEEvPKT5_PKbPfiPT4_PiiiibPKf,"axG",@progbits,_ZN4vllm3moe10topkGatingILi4ELi4ELi4ELi8ELi64El6__halfLNS0_11ScoringFuncE1EEEvPKT5_PKbPfiPT4_PiiiibPKf,comdat
	.protected	_ZN4vllm3moe10topkGatingILi4ELi4ELi4ELi8ELi64El6__halfLNS0_11ScoringFuncE1EEEvPKT5_PKbPfiPT4_PiiiibPKf ; -- Begin function _ZN4vllm3moe10topkGatingILi4ELi4ELi4ELi8ELi64El6__halfLNS0_11ScoringFuncE1EEEvPKT5_PKbPfiPT4_PiiiibPKf
	.globl	_ZN4vllm3moe10topkGatingILi4ELi4ELi4ELi8ELi64El6__halfLNS0_11ScoringFuncE1EEEvPKT5_PKbPfiPT4_PiiiibPKf
	.p2align	8
	.type	_ZN4vllm3moe10topkGatingILi4ELi4ELi4ELi8ELi64El6__halfLNS0_11ScoringFuncE1EEEvPKT5_PKbPfiPT4_PiiiibPKf,@function
_ZN4vllm3moe10topkGatingILi4ELi4ELi4ELi8ELi64El6__halfLNS0_11ScoringFuncE1EEEvPKT5_PKbPfiPT4_PiiiibPKf: ; @_ZN4vllm3moe10topkGatingILi4ELi4ELi4ELi8ELi64El6__halfLNS0_11ScoringFuncE1EEEvPKT5_PKbPfiPT4_PiiiibPKf
; %bb.0:
	s_load_dword s16, s[4:5], 0x18
	v_bfe_u32 v1, v0, 10, 10
	s_lshl_b32 s0, s6, 8
	v_lshlrev_b32_e32 v1, 6, v1
	v_and_b32_e32 v0, 0x3ff, v0
	v_add3_u32 v14, v1, v0, s0
	s_waitcnt lgkmcnt(0)
	v_cmp_gt_i32_e32 vcc, s16, v14
	s_and_saveexec_b64 s[0:1], vcc
	s_cbranch_execz .LBB294_20
; %bb.1:
	s_load_dwordx4 s[0:3], s[4:5], 0x0
	s_load_dwordx2 s[12:13], s[4:5], 0x10
	s_mov_b64 s[8:9], -1
	s_mov_b64 s[14:15], -1
	s_waitcnt lgkmcnt(0)
	s_cmp_eq_u64 s[2:3], 0
	s_cbranch_scc1 .LBB294_3
; %bb.2:
	v_ashrrev_i32_e32 v1, 31, v14
	v_mov_b32_e32 v2, s3
	v_add_co_u32_e32 v0, vcc, s2, v14
	v_addc_co_u32_e32 v1, vcc, v2, v1, vcc
	global_load_ubyte v0, v[0:1], off
	s_waitcnt vmcnt(0)
	v_and_b32_e32 v0, 1, v0
	v_cmp_eq_u32_e32 vcc, 1, v0
	s_xor_b64 s[2:3], vcc, -1
	s_orn2_b64 s[14:15], s[2:3], exec
.LBB294_3:
	v_lshlrev_b32_e32 v0, 2, v14
	v_ashrrev_i32_e32 v1, 31, v0
	v_lshlrev_b64 v[0:1], 1, v[0:1]
	v_mov_b32_e32 v2, s1
	v_add_co_u32_e32 v0, vcc, s0, v0
	v_addc_co_u32_e32 v1, vcc, v2, v1, vcc
	global_load_dwordx2 v[0:1], v[0:1], off
	s_load_dwordx2 s[10:11], s[4:5], 0x40
	s_waitcnt lgkmcnt(0)
	s_cmp_eq_u64 s[10:11], 0
	s_waitcnt vmcnt(0)
	v_cvt_f32_f16_e32 v2, v0
	v_cvt_f32_f16_sdwa v0, v0 dst_sel:DWORD dst_unused:UNUSED_PAD src0_sel:WORD_1
	v_cvt_f32_f16_e32 v3, v1
	v_cvt_f32_f16_sdwa v1, v1 dst_sel:DWORD dst_unused:UNUSED_PAD src0_sel:WORD_1
	v_mul_f32_e32 v2, 0xbfb8aa3b, v2
	v_mul_f32_e32 v4, 0xbfb8aa3b, v0
	v_exp_f32_e32 v0, v2
	v_mul_f32_e32 v5, 0xbfb8aa3b, v1
	v_exp_f32_e32 v1, v4
	v_mul_f32_e32 v3, 0xbfb8aa3b, v3
	v_exp_f32_e32 v2, v3
	v_exp_f32_e32 v3, v5
	v_pk_add_f32 v[0:1], v[0:1], 1.0 op_sel_hi:[1,0]
	v_div_scale_f32 v5, s[0:1], v1, v1, 1.0
	v_rcp_f32_e32 v13, v5
	v_div_scale_f32 v7, s[0:1], v0, v0, 1.0
	v_pk_add_f32 v[2:3], v[2:3], 1.0 op_sel_hi:[1,0]
	v_rcp_f32_e32 v15, v7
	v_div_scale_f32 v9, s[2:3], v3, v3, 1.0
	v_rcp_f32_e32 v16, v9
	v_fma_f32 v18, -v5, v13, 1.0
	v_div_scale_f32 v6, vcc, 1.0, v1, 1.0
	v_div_scale_f32 v11, s[6:7], v2, v2, 1.0
	v_fmac_f32_e32 v13, v18, v13
	v_rcp_f32_e32 v17, v11
	v_fma_f32 v19, -v7, v15, 1.0
	v_mul_f32_e32 v18, v6, v13
	v_div_scale_f32 v8, s[0:1], 1.0, v0, 1.0
	v_fmac_f32_e32 v15, v19, v15
	v_fma_f32 v22, -v5, v18, v6
	v_fma_f32 v20, -v9, v16, 1.0
	v_mul_f32_e32 v19, v8, v15
	v_fmac_f32_e32 v18, v22, v13
	v_div_scale_f32 v10, s[2:3], 1.0, v3, 1.0
	v_fmac_f32_e32 v16, v20, v16
	v_fma_f32 v23, -v7, v19, v8
	v_fma_f32 v5, -v5, v18, v6
	v_fma_f32 v21, -v11, v17, 1.0
	v_mul_f32_e32 v20, v10, v16
	v_fmac_f32_e32 v19, v23, v15
	v_div_fmas_f32 v5, v5, v13, v18
	v_mov_b32_e32 v4, 0x207
	v_div_scale_f32 v12, s[6:7], 1.0, v2, 1.0
	v_fmac_f32_e32 v17, v21, v17
	v_fma_f32 v24, -v9, v20, v10
	v_fma_f32 v6, -v7, v19, v8
	v_div_fixup_f32 v1, v5, v1, 1.0
	s_mov_b64 vcc, s[0:1]
	v_mul_f32_e32 v21, v12, v17
	v_fmac_f32_e32 v20, v24, v16
	v_div_fmas_f32 v5, v6, v15, v19
	v_cmp_class_f32_e32 vcc, v1, v4
	v_fma_f32 v25, -v11, v21, v12
	v_fma_f32 v7, -v9, v20, v10
	v_div_fixup_f32 v0, v5, v0, 1.0
	v_cndmask_b32_e64 v1, v1, 0, vcc
	s_mov_b64 vcc, s[2:3]
	v_fmac_f32_e32 v21, v25, v17
	v_div_fmas_f32 v5, v7, v16, v20
	v_cmp_class_f32_e32 vcc, v0, v4
	v_fma_f32 v8, -v11, v21, v12
	v_cndmask_b32_e64 v0, v0, 0, vcc
	s_mov_b64 vcc, s[6:7]
	v_div_fixup_f32 v3, v5, v3, 1.0
	v_div_fmas_f32 v5, v8, v17, v21
	v_div_fixup_f32 v2, v5, v2, 1.0
	v_cmp_class_f32_e32 vcc, v3, v4
	v_cndmask_b32_e64 v3, v3, 0, vcc
	v_cmp_class_f32_e32 vcc, v2, v4
	v_cndmask_b32_e64 v2, v2, 0, vcc
	s_cbranch_scc1 .LBB294_10
; %bb.4:
	s_load_dwordx4 s[0:3], s[10:11], 0x0
	s_waitcnt lgkmcnt(0)
	v_pk_add_f32 v[4:5], s[0:1], v[0:1]
	v_pk_add_f32 v[6:7], s[2:3], v[2:3]
	s_cbranch_execnz .LBB294_6
.LBB294_5:
	v_pk_mov_b32 v[6:7], v[2:3], v[2:3] op_sel:[0,1]
	v_pk_mov_b32 v[4:5], v[0:1], v[0:1] op_sel:[0,1]
.LBB294_6:
	s_load_dwordx4 s[8:11], s[4:5], 0x30
	s_waitcnt lgkmcnt(0)
	s_bitcmp1_b32 s11, 0
	s_cselect_b64 vcc, -1, 0
	s_cmp_gt_i32 s8, 0
	s_cselect_b64 s[6:7], -1, 0
	s_cmp_lt_i32 s8, 1
	s_mov_b32 s11, 0
	s_cbranch_scc1 .LBB294_11
; %bb.7:
	s_load_dwordx4 s[20:23], s[4:5], 0x20
	v_mul_lo_u32 v10, v14, s8
	v_ashrrev_i32_e32 v11, 31, v10
	v_lshlrev_b64 v[12:13], 2, v[10:11]
	v_mov_b32_e32 v9, s13
	v_add_co_u32_e64 v8, s[0:1], s12, v12
	v_addc_co_u32_e64 v9, s[0:1], v9, v13, s[0:1]
	v_lshlrev_b64 v[10:11], 3, v[10:11]
	s_waitcnt lgkmcnt(0)
	v_mov_b32_e32 v15, s21
	v_add_co_u32_e64 v10, s[0:1], s20, v10
	v_addc_co_u32_e64 v11, s[0:1], v15, v11, s[0:1]
	v_mov_b32_e32 v15, s23
	v_add_co_u32_e64 v12, s[0:1], s22, v12
	v_addc_co_u32_e64 v13, s[0:1], v15, v13, s[0:1]
	v_mov_b32_e32 v15, 0
	v_mov_b32_e32 v16, 0xc61c4000
	;; [unrolled: 1-line block ×3, first 2 shown]
.LBB294_8:                              ; =>This Inner Loop Header: Depth=1
	v_cmp_gt_f32_e64 s[0:1], v5, v4
	v_cndmask_b32_e64 v20, v4, v5, s[0:1]
	v_cndmask_b32_e64 v18, 0, 1, s[0:1]
	;; [unrolled: 1-line block ×3, first 2 shown]
	v_cmp_gt_f32_e64 s[0:1], v6, v20
	v_cndmask_b32_e64 v20, v20, v6, s[0:1]
	v_cndmask_b32_e64 v18, v18, 2, s[0:1]
	;; [unrolled: 1-line block ×3, first 2 shown]
	v_cmp_gt_f32_e64 s[0:1], v7, v20
	v_cndmask_b32_e64 v20, v18, 3, s[0:1]
	v_cndmask_b32_e64 v21, v19, v3, s[0:1]
	v_cmp_le_i32_e64 s[0:1], s9, v20
	v_cmp_gt_i32_e64 s[2:3], s10, v20
	s_and_b64 s[0:1], s[0:1], s[2:3]
	v_subrev_u32_e32 v18, s9, v20
	v_ashrrev_i32_e32 v19, 31, v18
	s_and_b64 s[0:1], s[14:15], s[0:1]
	v_cndmask_b32_e64 v19, 0, v19, s[0:1]
	v_cndmask_b32_e64 v18, 4, v18, s[0:1]
	global_store_dword v[8:9], v21, off
	global_store_dwordx2 v[10:11], v[18:19], off
	global_store_dword v[12:13], v17, off
	v_add_f32_e32 v18, v15, v21
	v_cmp_ne_u32_e64 s[0:1], 0, v20
	v_cndmask_b32_e32 v15, v15, v18, vcc
	v_cndmask_b32_e64 v18, v16, v4, s[0:1]
	v_cmp_ne_u32_e64 s[0:1], 1, v20
	s_add_i32 s11, s11, 1
	v_cndmask_b32_e64 v19, v16, v5, s[0:1]
	v_cmp_ne_u32_e64 s[0:1], 2, v20
	s_cmp_lt_i32 s11, s8
	v_cndmask_b32_e64 v21, v16, v6, s[0:1]
	v_cmp_ne_u32_e64 s[0:1], 3, v20
	v_cndmask_b32_e64 v20, v16, v7, s[0:1]
	s_cselect_b64 s[0:1], -1, 0
	v_cndmask_b32_e64 v7, v7, v20, s[0:1]
	v_cndmask_b32_e64 v6, v6, v21, s[0:1]
	;; [unrolled: 1-line block ×4, first 2 shown]
	v_add_co_u32_e64 v8, s[0:1], 4, v8
	v_addc_co_u32_e64 v9, s[0:1], 0, v9, s[0:1]
	v_add_co_u32_e64 v10, s[0:1], 8, v10
	v_addc_co_u32_e64 v11, s[0:1], 0, v11, s[0:1]
	v_add_co_u32_e64 v12, s[0:1], 4, v12
	v_add_u32_e32 v17, s16, v17
	s_cmp_eq_u32 s8, s11
	v_addc_co_u32_e64 v13, s[0:1], 0, v13, s[0:1]
	s_cbranch_scc0 .LBB294_8
; %bb.9:
	s_and_b64 vcc, exec, vcc
	s_cbranch_vccnz .LBB294_12
	s_branch .LBB294_20
.LBB294_10:
                                        ; implicit-def: $vgpr4_vgpr5_vgpr6_vgpr7
	s_andn2_b64 vcc, exec, s[8:9]
	s_cbranch_vccz .LBB294_5
	s_branch .LBB294_6
.LBB294_11:
	v_mov_b32_e32 v15, 0
	s_and_b64 vcc, exec, vcc
	s_cbranch_vccz .LBB294_20
.LBB294_12:
	s_andn2_b64 vcc, exec, s[6:7]
	s_cbranch_vccnz .LBB294_20
; %bb.13:
	v_cmp_lt_f32_e32 vcc, 0, v15
	s_mov_b32 s2, 0
	v_cndmask_b32_e32 v0, 1.0, v15, vcc
	v_mul_lo_u32 v4, v14, s8
	s_cmp_eq_u32 s8, 1
	s_mov_b64 s[0:1], -1
	s_cbranch_scc1 .LBB294_17
; %bb.14:
	s_and_b32 s2, s8, 0x7ffffffe
	v_mov_b32_e32 v1, v0
	v_mov_b32_e32 v5, s13
	s_mov_b32 s3, s2
	v_mov_b32_e32 v2, v4
.LBB294_15:                             ; =>This Inner Loop Header: Depth=1
	v_ashrrev_i32_e32 v3, 31, v2
	v_lshlrev_b64 v[6:7], 2, v[2:3]
	v_add_co_u32_e32 v6, vcc, s12, v6
	v_addc_co_u32_e32 v7, vcc, v5, v7, vcc
	global_load_dwordx2 v[8:9], v[6:7], off
	s_add_i32 s3, s3, -2
	s_cmp_lg_u32 s3, 0
	v_add_u32_e32 v2, 2, v2
	s_waitcnt vmcnt(0)
	v_div_scale_f32 v3, s[0:1], v1, v1, v9
	v_div_scale_f32 v11, s[0:1], v0, v0, v8
	v_rcp_f32_e32 v12, v3
	v_rcp_f32_e32 v13, v11
	v_div_scale_f32 v10, vcc, v9, v1, v9
	v_fma_f32 v15, -v3, v12, 1.0
	v_fma_f32 v16, -v11, v13, 1.0
	v_fmac_f32_e32 v12, v15, v12
	v_div_scale_f32 v14, s[0:1], v8, v0, v8
	v_fmac_f32_e32 v13, v16, v13
	v_mul_f32_e32 v15, v10, v12
	v_mul_f32_e32 v16, v14, v13
	v_fma_f32 v17, -v3, v15, v10
	v_fma_f32 v18, -v11, v16, v14
	v_fmac_f32_e32 v15, v17, v12
	v_fmac_f32_e32 v16, v18, v13
	v_fma_f32 v3, -v3, v15, v10
	v_fma_f32 v10, -v11, v16, v14
	v_div_fmas_f32 v3, v3, v12, v15
	s_mov_b64 vcc, s[0:1]
	v_div_fixup_f32 v9, v3, v1, v9
	v_div_fmas_f32 v3, v10, v13, v16
	v_div_fixup_f32 v8, v3, v0, v8
	global_store_dwordx2 v[6:7], v[8:9], off
	s_cbranch_scc1 .LBB294_15
; %bb.16:
	s_cmp_lg_u32 s2, s8
	s_cselect_b64 s[0:1], -1, 0
.LBB294_17:
	s_and_b64 vcc, exec, s[0:1]
	s_cbranch_vccz .LBB294_20
; %bb.18:
	v_ashrrev_i32_e32 v1, 31, v4
	v_add_co_u32_e32 v2, vcc, s2, v4
	v_addc_co_u32_e32 v3, vcc, 0, v1, vcc
	v_lshlrev_b64 v[2:3], 2, v[2:3]
	v_mov_b32_e32 v1, s13
	v_add_co_u32_e32 v2, vcc, s12, v2
	s_sub_i32 s0, s8, s2
	v_addc_co_u32_e32 v3, vcc, v1, v3, vcc
.LBB294_19:                             ; =>This Inner Loop Header: Depth=1
	global_load_dword v1, v[2:3], off
	s_add_i32 s0, s0, -1
	s_cmp_lg_u32 s0, 0
	s_waitcnt vmcnt(0)
	v_div_scale_f32 v4, s[2:3], v0, v0, v1
	v_rcp_f32_e32 v5, v4
	v_div_scale_f32 v6, vcc, v1, v0, v1
	v_fma_f32 v7, -v4, v5, 1.0
	v_fmac_f32_e32 v5, v7, v5
	v_mul_f32_e32 v7, v6, v5
	v_fma_f32 v8, -v4, v7, v6
	v_fmac_f32_e32 v7, v8, v5
	v_fma_f32 v4, -v4, v7, v6
	v_div_fmas_f32 v4, v4, v5, v7
	v_div_fixup_f32 v1, v4, v0, v1
	global_store_dword v[2:3], v1, off
	v_add_co_u32_e32 v2, vcc, 4, v2
	v_addc_co_u32_e32 v3, vcc, 0, v3, vcc
	s_cbranch_scc1 .LBB294_19
.LBB294_20:
	s_endpgm
	.section	.rodata,"a",@progbits
	.p2align	6, 0x0
	.amdhsa_kernel _ZN4vllm3moe10topkGatingILi4ELi4ELi4ELi8ELi64El6__halfLNS0_11ScoringFuncE1EEEvPKT5_PKbPfiPT4_PiiiibPKf
		.amdhsa_group_segment_fixed_size 0
		.amdhsa_private_segment_fixed_size 0
		.amdhsa_kernarg_size 72
		.amdhsa_user_sgpr_count 6
		.amdhsa_user_sgpr_private_segment_buffer 1
		.amdhsa_user_sgpr_dispatch_ptr 0
		.amdhsa_user_sgpr_queue_ptr 0
		.amdhsa_user_sgpr_kernarg_segment_ptr 1
		.amdhsa_user_sgpr_dispatch_id 0
		.amdhsa_user_sgpr_flat_scratch_init 0
		.amdhsa_user_sgpr_kernarg_preload_length 0
		.amdhsa_user_sgpr_kernarg_preload_offset 0
		.amdhsa_user_sgpr_private_segment_size 0
		.amdhsa_uses_dynamic_stack 0
		.amdhsa_system_sgpr_private_segment_wavefront_offset 0
		.amdhsa_system_sgpr_workgroup_id_x 1
		.amdhsa_system_sgpr_workgroup_id_y 0
		.amdhsa_system_sgpr_workgroup_id_z 0
		.amdhsa_system_sgpr_workgroup_info 0
		.amdhsa_system_vgpr_workitem_id 1
		.amdhsa_next_free_vgpr 26
		.amdhsa_next_free_sgpr 24
		.amdhsa_accum_offset 28
		.amdhsa_reserve_vcc 1
		.amdhsa_reserve_flat_scratch 0
		.amdhsa_float_round_mode_32 0
		.amdhsa_float_round_mode_16_64 0
		.amdhsa_float_denorm_mode_32 3
		.amdhsa_float_denorm_mode_16_64 3
		.amdhsa_dx10_clamp 1
		.amdhsa_ieee_mode 1
		.amdhsa_fp16_overflow 0
		.amdhsa_tg_split 0
		.amdhsa_exception_fp_ieee_invalid_op 0
		.amdhsa_exception_fp_denorm_src 0
		.amdhsa_exception_fp_ieee_div_zero 0
		.amdhsa_exception_fp_ieee_overflow 0
		.amdhsa_exception_fp_ieee_underflow 0
		.amdhsa_exception_fp_ieee_inexact 0
		.amdhsa_exception_int_div_zero 0
	.end_amdhsa_kernel
	.section	.text._ZN4vllm3moe10topkGatingILi4ELi4ELi4ELi8ELi64El6__halfLNS0_11ScoringFuncE1EEEvPKT5_PKbPfiPT4_PiiiibPKf,"axG",@progbits,_ZN4vllm3moe10topkGatingILi4ELi4ELi4ELi8ELi64El6__halfLNS0_11ScoringFuncE1EEEvPKT5_PKbPfiPT4_PiiiibPKf,comdat
.Lfunc_end294:
	.size	_ZN4vllm3moe10topkGatingILi4ELi4ELi4ELi8ELi64El6__halfLNS0_11ScoringFuncE1EEEvPKT5_PKbPfiPT4_PiiiibPKf, .Lfunc_end294-_ZN4vllm3moe10topkGatingILi4ELi4ELi4ELi8ELi64El6__halfLNS0_11ScoringFuncE1EEEvPKT5_PKbPfiPT4_PiiiibPKf
                                        ; -- End function
	.section	.AMDGPU.csdata,"",@progbits
; Kernel info:
; codeLenInByte = 1652
; NumSgprs: 28
; NumVgprs: 26
; NumAgprs: 0
; TotalNumVgprs: 26
; ScratchSize: 0
; MemoryBound: 1
; FloatMode: 240
; IeeeMode: 1
; LDSByteSize: 0 bytes/workgroup (compile time only)
; SGPRBlocks: 3
; VGPRBlocks: 3
; NumSGPRsForWavesPerEU: 28
; NumVGPRsForWavesPerEU: 26
; AccumOffset: 28
; Occupancy: 8
; WaveLimiterHint : 0
; COMPUTE_PGM_RSRC2:SCRATCH_EN: 0
; COMPUTE_PGM_RSRC2:USER_SGPR: 6
; COMPUTE_PGM_RSRC2:TRAP_HANDLER: 0
; COMPUTE_PGM_RSRC2:TGID_X_EN: 1
; COMPUTE_PGM_RSRC2:TGID_Y_EN: 0
; COMPUTE_PGM_RSRC2:TGID_Z_EN: 0
; COMPUTE_PGM_RSRC2:TIDIG_COMP_CNT: 1
; COMPUTE_PGM_RSRC3_GFX90A:ACCUM_OFFSET: 6
; COMPUTE_PGM_RSRC3_GFX90A:TG_SPLIT: 0
	.section	.text._ZN4vllm3moe10topkGatingILi4ELi4ELi4ELi8ELi32El6__halfLNS0_11ScoringFuncE1EEEvPKT5_PKbPfiPT4_PiiiibPKf,"axG",@progbits,_ZN4vllm3moe10topkGatingILi4ELi4ELi4ELi8ELi32El6__halfLNS0_11ScoringFuncE1EEEvPKT5_PKbPfiPT4_PiiiibPKf,comdat
	.protected	_ZN4vllm3moe10topkGatingILi4ELi4ELi4ELi8ELi32El6__halfLNS0_11ScoringFuncE1EEEvPKT5_PKbPfiPT4_PiiiibPKf ; -- Begin function _ZN4vllm3moe10topkGatingILi4ELi4ELi4ELi8ELi32El6__halfLNS0_11ScoringFuncE1EEEvPKT5_PKbPfiPT4_PiiiibPKf
	.globl	_ZN4vllm3moe10topkGatingILi4ELi4ELi4ELi8ELi32El6__halfLNS0_11ScoringFuncE1EEEvPKT5_PKbPfiPT4_PiiiibPKf
	.p2align	8
	.type	_ZN4vllm3moe10topkGatingILi4ELi4ELi4ELi8ELi32El6__halfLNS0_11ScoringFuncE1EEEvPKT5_PKbPfiPT4_PiiiibPKf,@function
_ZN4vllm3moe10topkGatingILi4ELi4ELi4ELi8ELi32El6__halfLNS0_11ScoringFuncE1EEEvPKT5_PKbPfiPT4_PiiiibPKf: ; @_ZN4vllm3moe10topkGatingILi4ELi4ELi4ELi8ELi32El6__halfLNS0_11ScoringFuncE1EEEvPKT5_PKbPfiPT4_PiiiibPKf
; %bb.0:
	s_load_dword s16, s[4:5], 0x18
	v_bfe_u32 v1, v0, 10, 10
	s_lshl_b32 s0, s6, 7
	v_lshlrev_b32_e32 v1, 5, v1
	v_and_b32_e32 v0, 0x3ff, v0
	v_add3_u32 v14, v1, v0, s0
	s_waitcnt lgkmcnt(0)
	v_cmp_gt_i32_e32 vcc, s16, v14
	s_and_saveexec_b64 s[0:1], vcc
	s_cbranch_execz .LBB295_20
; %bb.1:
	s_load_dwordx4 s[0:3], s[4:5], 0x0
	s_load_dwordx2 s[12:13], s[4:5], 0x10
	s_mov_b64 s[8:9], -1
	s_mov_b64 s[14:15], -1
	s_waitcnt lgkmcnt(0)
	s_cmp_eq_u64 s[2:3], 0
	s_cbranch_scc1 .LBB295_3
; %bb.2:
	v_ashrrev_i32_e32 v1, 31, v14
	v_mov_b32_e32 v2, s3
	v_add_co_u32_e32 v0, vcc, s2, v14
	v_addc_co_u32_e32 v1, vcc, v2, v1, vcc
	global_load_ubyte v0, v[0:1], off
	s_waitcnt vmcnt(0)
	v_and_b32_e32 v0, 1, v0
	v_cmp_eq_u32_e32 vcc, 1, v0
	s_xor_b64 s[2:3], vcc, -1
	s_orn2_b64 s[14:15], s[2:3], exec
.LBB295_3:
	v_lshlrev_b32_e32 v0, 2, v14
	v_ashrrev_i32_e32 v1, 31, v0
	v_lshlrev_b64 v[0:1], 1, v[0:1]
	v_mov_b32_e32 v2, s1
	v_add_co_u32_e32 v0, vcc, s0, v0
	v_addc_co_u32_e32 v1, vcc, v2, v1, vcc
	global_load_dwordx2 v[0:1], v[0:1], off
	s_load_dwordx2 s[10:11], s[4:5], 0x40
	s_waitcnt lgkmcnt(0)
	s_cmp_eq_u64 s[10:11], 0
	s_waitcnt vmcnt(0)
	v_cvt_f32_f16_e32 v2, v0
	v_cvt_f32_f16_sdwa v0, v0 dst_sel:DWORD dst_unused:UNUSED_PAD src0_sel:WORD_1
	v_cvt_f32_f16_e32 v3, v1
	v_cvt_f32_f16_sdwa v1, v1 dst_sel:DWORD dst_unused:UNUSED_PAD src0_sel:WORD_1
	v_mul_f32_e32 v2, 0xbfb8aa3b, v2
	v_mul_f32_e32 v4, 0xbfb8aa3b, v0
	v_exp_f32_e32 v0, v2
	v_mul_f32_e32 v5, 0xbfb8aa3b, v1
	v_exp_f32_e32 v1, v4
	;; [unrolled: 2-line block ×3, first 2 shown]
	v_exp_f32_e32 v3, v5
	v_pk_add_f32 v[0:1], v[0:1], 1.0 op_sel_hi:[1,0]
	v_div_scale_f32 v5, s[0:1], v1, v1, 1.0
	v_rcp_f32_e32 v13, v5
	v_div_scale_f32 v7, s[0:1], v0, v0, 1.0
	v_pk_add_f32 v[2:3], v[2:3], 1.0 op_sel_hi:[1,0]
	v_rcp_f32_e32 v15, v7
	v_div_scale_f32 v9, s[2:3], v3, v3, 1.0
	v_rcp_f32_e32 v16, v9
	v_fma_f32 v18, -v5, v13, 1.0
	v_div_scale_f32 v6, vcc, 1.0, v1, 1.0
	v_div_scale_f32 v11, s[6:7], v2, v2, 1.0
	v_fmac_f32_e32 v13, v18, v13
	v_rcp_f32_e32 v17, v11
	v_fma_f32 v19, -v7, v15, 1.0
	v_mul_f32_e32 v18, v6, v13
	v_div_scale_f32 v8, s[0:1], 1.0, v0, 1.0
	v_fmac_f32_e32 v15, v19, v15
	v_fma_f32 v22, -v5, v18, v6
	v_fma_f32 v20, -v9, v16, 1.0
	v_mul_f32_e32 v19, v8, v15
	v_fmac_f32_e32 v18, v22, v13
	v_div_scale_f32 v10, s[2:3], 1.0, v3, 1.0
	v_fmac_f32_e32 v16, v20, v16
	v_fma_f32 v23, -v7, v19, v8
	v_fma_f32 v5, -v5, v18, v6
	v_fma_f32 v21, -v11, v17, 1.0
	v_mul_f32_e32 v20, v10, v16
	v_fmac_f32_e32 v19, v23, v15
	v_div_fmas_f32 v5, v5, v13, v18
	v_mov_b32_e32 v4, 0x207
	v_div_scale_f32 v12, s[6:7], 1.0, v2, 1.0
	v_fmac_f32_e32 v17, v21, v17
	v_fma_f32 v24, -v9, v20, v10
	v_fma_f32 v6, -v7, v19, v8
	v_div_fixup_f32 v1, v5, v1, 1.0
	s_mov_b64 vcc, s[0:1]
	v_mul_f32_e32 v21, v12, v17
	v_fmac_f32_e32 v20, v24, v16
	v_div_fmas_f32 v5, v6, v15, v19
	v_cmp_class_f32_e32 vcc, v1, v4
	v_fma_f32 v25, -v11, v21, v12
	v_fma_f32 v7, -v9, v20, v10
	v_div_fixup_f32 v0, v5, v0, 1.0
	v_cndmask_b32_e64 v1, v1, 0, vcc
	s_mov_b64 vcc, s[2:3]
	v_fmac_f32_e32 v21, v25, v17
	v_div_fmas_f32 v5, v7, v16, v20
	v_cmp_class_f32_e32 vcc, v0, v4
	v_fma_f32 v8, -v11, v21, v12
	v_cndmask_b32_e64 v0, v0, 0, vcc
	s_mov_b64 vcc, s[6:7]
	v_div_fixup_f32 v3, v5, v3, 1.0
	v_div_fmas_f32 v5, v8, v17, v21
	v_div_fixup_f32 v2, v5, v2, 1.0
	v_cmp_class_f32_e32 vcc, v3, v4
	v_cndmask_b32_e64 v3, v3, 0, vcc
	v_cmp_class_f32_e32 vcc, v2, v4
	v_cndmask_b32_e64 v2, v2, 0, vcc
	s_cbranch_scc1 .LBB295_10
; %bb.4:
	s_load_dwordx4 s[0:3], s[10:11], 0x0
	s_waitcnt lgkmcnt(0)
	v_pk_add_f32 v[4:5], s[0:1], v[0:1]
	v_pk_add_f32 v[6:7], s[2:3], v[2:3]
	s_cbranch_execnz .LBB295_6
.LBB295_5:
	v_pk_mov_b32 v[6:7], v[2:3], v[2:3] op_sel:[0,1]
	v_pk_mov_b32 v[4:5], v[0:1], v[0:1] op_sel:[0,1]
.LBB295_6:
	s_load_dwordx4 s[8:11], s[4:5], 0x30
	s_waitcnt lgkmcnt(0)
	s_bitcmp1_b32 s11, 0
	s_cselect_b64 vcc, -1, 0
	s_cmp_gt_i32 s8, 0
	s_cselect_b64 s[6:7], -1, 0
	s_cmp_lt_i32 s8, 1
	s_mov_b32 s11, 0
	s_cbranch_scc1 .LBB295_11
; %bb.7:
	s_load_dwordx4 s[20:23], s[4:5], 0x20
	v_mul_lo_u32 v10, v14, s8
	v_ashrrev_i32_e32 v11, 31, v10
	v_lshlrev_b64 v[12:13], 2, v[10:11]
	v_mov_b32_e32 v9, s13
	v_add_co_u32_e64 v8, s[0:1], s12, v12
	v_addc_co_u32_e64 v9, s[0:1], v9, v13, s[0:1]
	v_lshlrev_b64 v[10:11], 3, v[10:11]
	s_waitcnt lgkmcnt(0)
	v_mov_b32_e32 v15, s21
	v_add_co_u32_e64 v10, s[0:1], s20, v10
	v_addc_co_u32_e64 v11, s[0:1], v15, v11, s[0:1]
	v_mov_b32_e32 v15, s23
	v_add_co_u32_e64 v12, s[0:1], s22, v12
	v_addc_co_u32_e64 v13, s[0:1], v15, v13, s[0:1]
	v_mov_b32_e32 v15, 0
	v_mov_b32_e32 v16, 0xc61c4000
	;; [unrolled: 1-line block ×3, first 2 shown]
.LBB295_8:                              ; =>This Inner Loop Header: Depth=1
	v_cmp_gt_f32_e64 s[0:1], v5, v4
	v_cndmask_b32_e64 v20, v4, v5, s[0:1]
	v_cndmask_b32_e64 v18, 0, 1, s[0:1]
	;; [unrolled: 1-line block ×3, first 2 shown]
	v_cmp_gt_f32_e64 s[0:1], v6, v20
	v_cndmask_b32_e64 v20, v20, v6, s[0:1]
	v_cndmask_b32_e64 v18, v18, 2, s[0:1]
	;; [unrolled: 1-line block ×3, first 2 shown]
	v_cmp_gt_f32_e64 s[0:1], v7, v20
	v_cndmask_b32_e64 v20, v18, 3, s[0:1]
	v_cndmask_b32_e64 v21, v19, v3, s[0:1]
	v_cmp_le_i32_e64 s[0:1], s9, v20
	v_cmp_gt_i32_e64 s[2:3], s10, v20
	s_and_b64 s[0:1], s[0:1], s[2:3]
	v_subrev_u32_e32 v18, s9, v20
	v_ashrrev_i32_e32 v19, 31, v18
	s_and_b64 s[0:1], s[14:15], s[0:1]
	v_cndmask_b32_e64 v19, 0, v19, s[0:1]
	v_cndmask_b32_e64 v18, 4, v18, s[0:1]
	global_store_dword v[8:9], v21, off
	global_store_dwordx2 v[10:11], v[18:19], off
	global_store_dword v[12:13], v17, off
	v_add_f32_e32 v18, v15, v21
	v_cmp_ne_u32_e64 s[0:1], 0, v20
	v_cndmask_b32_e32 v15, v15, v18, vcc
	v_cndmask_b32_e64 v18, v16, v4, s[0:1]
	v_cmp_ne_u32_e64 s[0:1], 1, v20
	s_add_i32 s11, s11, 1
	v_cndmask_b32_e64 v19, v16, v5, s[0:1]
	v_cmp_ne_u32_e64 s[0:1], 2, v20
	s_cmp_lt_i32 s11, s8
	v_cndmask_b32_e64 v21, v16, v6, s[0:1]
	v_cmp_ne_u32_e64 s[0:1], 3, v20
	v_cndmask_b32_e64 v20, v16, v7, s[0:1]
	s_cselect_b64 s[0:1], -1, 0
	v_cndmask_b32_e64 v7, v7, v20, s[0:1]
	v_cndmask_b32_e64 v6, v6, v21, s[0:1]
	;; [unrolled: 1-line block ×4, first 2 shown]
	v_add_co_u32_e64 v8, s[0:1], 4, v8
	v_addc_co_u32_e64 v9, s[0:1], 0, v9, s[0:1]
	v_add_co_u32_e64 v10, s[0:1], 8, v10
	v_addc_co_u32_e64 v11, s[0:1], 0, v11, s[0:1]
	v_add_co_u32_e64 v12, s[0:1], 4, v12
	v_add_u32_e32 v17, s16, v17
	s_cmp_eq_u32 s8, s11
	v_addc_co_u32_e64 v13, s[0:1], 0, v13, s[0:1]
	s_cbranch_scc0 .LBB295_8
; %bb.9:
	s_and_b64 vcc, exec, vcc
	s_cbranch_vccnz .LBB295_12
	s_branch .LBB295_20
.LBB295_10:
                                        ; implicit-def: $vgpr4_vgpr5_vgpr6_vgpr7
	s_andn2_b64 vcc, exec, s[8:9]
	s_cbranch_vccz .LBB295_5
	s_branch .LBB295_6
.LBB295_11:
	v_mov_b32_e32 v15, 0
	s_and_b64 vcc, exec, vcc
	s_cbranch_vccz .LBB295_20
.LBB295_12:
	s_andn2_b64 vcc, exec, s[6:7]
	s_cbranch_vccnz .LBB295_20
; %bb.13:
	v_cmp_lt_f32_e32 vcc, 0, v15
	s_mov_b32 s2, 0
	v_cndmask_b32_e32 v0, 1.0, v15, vcc
	v_mul_lo_u32 v4, v14, s8
	s_cmp_eq_u32 s8, 1
	s_mov_b64 s[0:1], -1
	s_cbranch_scc1 .LBB295_17
; %bb.14:
	s_and_b32 s2, s8, 0x7ffffffe
	v_mov_b32_e32 v1, v0
	v_mov_b32_e32 v5, s13
	s_mov_b32 s3, s2
	v_mov_b32_e32 v2, v4
.LBB295_15:                             ; =>This Inner Loop Header: Depth=1
	v_ashrrev_i32_e32 v3, 31, v2
	v_lshlrev_b64 v[6:7], 2, v[2:3]
	v_add_co_u32_e32 v6, vcc, s12, v6
	v_addc_co_u32_e32 v7, vcc, v5, v7, vcc
	global_load_dwordx2 v[8:9], v[6:7], off
	s_add_i32 s3, s3, -2
	s_cmp_lg_u32 s3, 0
	v_add_u32_e32 v2, 2, v2
	s_waitcnt vmcnt(0)
	v_div_scale_f32 v3, s[0:1], v1, v1, v9
	v_div_scale_f32 v11, s[0:1], v0, v0, v8
	v_rcp_f32_e32 v12, v3
	v_rcp_f32_e32 v13, v11
	v_div_scale_f32 v10, vcc, v9, v1, v9
	v_fma_f32 v15, -v3, v12, 1.0
	v_fma_f32 v16, -v11, v13, 1.0
	v_fmac_f32_e32 v12, v15, v12
	v_div_scale_f32 v14, s[0:1], v8, v0, v8
	v_fmac_f32_e32 v13, v16, v13
	v_mul_f32_e32 v15, v10, v12
	v_mul_f32_e32 v16, v14, v13
	v_fma_f32 v17, -v3, v15, v10
	v_fma_f32 v18, -v11, v16, v14
	v_fmac_f32_e32 v15, v17, v12
	v_fmac_f32_e32 v16, v18, v13
	v_fma_f32 v3, -v3, v15, v10
	v_fma_f32 v10, -v11, v16, v14
	v_div_fmas_f32 v3, v3, v12, v15
	s_mov_b64 vcc, s[0:1]
	v_div_fixup_f32 v9, v3, v1, v9
	v_div_fmas_f32 v3, v10, v13, v16
	v_div_fixup_f32 v8, v3, v0, v8
	global_store_dwordx2 v[6:7], v[8:9], off
	s_cbranch_scc1 .LBB295_15
; %bb.16:
	s_cmp_lg_u32 s2, s8
	s_cselect_b64 s[0:1], -1, 0
.LBB295_17:
	s_and_b64 vcc, exec, s[0:1]
	s_cbranch_vccz .LBB295_20
; %bb.18:
	v_ashrrev_i32_e32 v1, 31, v4
	v_add_co_u32_e32 v2, vcc, s2, v4
	v_addc_co_u32_e32 v3, vcc, 0, v1, vcc
	v_lshlrev_b64 v[2:3], 2, v[2:3]
	v_mov_b32_e32 v1, s13
	v_add_co_u32_e32 v2, vcc, s12, v2
	s_sub_i32 s0, s8, s2
	v_addc_co_u32_e32 v3, vcc, v1, v3, vcc
.LBB295_19:                             ; =>This Inner Loop Header: Depth=1
	global_load_dword v1, v[2:3], off
	s_add_i32 s0, s0, -1
	s_cmp_lg_u32 s0, 0
	s_waitcnt vmcnt(0)
	v_div_scale_f32 v4, s[2:3], v0, v0, v1
	v_rcp_f32_e32 v5, v4
	v_div_scale_f32 v6, vcc, v1, v0, v1
	v_fma_f32 v7, -v4, v5, 1.0
	v_fmac_f32_e32 v5, v7, v5
	v_mul_f32_e32 v7, v6, v5
	v_fma_f32 v8, -v4, v7, v6
	v_fmac_f32_e32 v7, v8, v5
	v_fma_f32 v4, -v4, v7, v6
	v_div_fmas_f32 v4, v4, v5, v7
	v_div_fixup_f32 v1, v4, v0, v1
	global_store_dword v[2:3], v1, off
	v_add_co_u32_e32 v2, vcc, 4, v2
	v_addc_co_u32_e32 v3, vcc, 0, v3, vcc
	s_cbranch_scc1 .LBB295_19
.LBB295_20:
	s_endpgm
	.section	.rodata,"a",@progbits
	.p2align	6, 0x0
	.amdhsa_kernel _ZN4vllm3moe10topkGatingILi4ELi4ELi4ELi8ELi32El6__halfLNS0_11ScoringFuncE1EEEvPKT5_PKbPfiPT4_PiiiibPKf
		.amdhsa_group_segment_fixed_size 0
		.amdhsa_private_segment_fixed_size 0
		.amdhsa_kernarg_size 72
		.amdhsa_user_sgpr_count 6
		.amdhsa_user_sgpr_private_segment_buffer 1
		.amdhsa_user_sgpr_dispatch_ptr 0
		.amdhsa_user_sgpr_queue_ptr 0
		.amdhsa_user_sgpr_kernarg_segment_ptr 1
		.amdhsa_user_sgpr_dispatch_id 0
		.amdhsa_user_sgpr_flat_scratch_init 0
		.amdhsa_user_sgpr_kernarg_preload_length 0
		.amdhsa_user_sgpr_kernarg_preload_offset 0
		.amdhsa_user_sgpr_private_segment_size 0
		.amdhsa_uses_dynamic_stack 0
		.amdhsa_system_sgpr_private_segment_wavefront_offset 0
		.amdhsa_system_sgpr_workgroup_id_x 1
		.amdhsa_system_sgpr_workgroup_id_y 0
		.amdhsa_system_sgpr_workgroup_id_z 0
		.amdhsa_system_sgpr_workgroup_info 0
		.amdhsa_system_vgpr_workitem_id 1
		.amdhsa_next_free_vgpr 26
		.amdhsa_next_free_sgpr 24
		.amdhsa_accum_offset 28
		.amdhsa_reserve_vcc 1
		.amdhsa_reserve_flat_scratch 0
		.amdhsa_float_round_mode_32 0
		.amdhsa_float_round_mode_16_64 0
		.amdhsa_float_denorm_mode_32 3
		.amdhsa_float_denorm_mode_16_64 3
		.amdhsa_dx10_clamp 1
		.amdhsa_ieee_mode 1
		.amdhsa_fp16_overflow 0
		.amdhsa_tg_split 0
		.amdhsa_exception_fp_ieee_invalid_op 0
		.amdhsa_exception_fp_denorm_src 0
		.amdhsa_exception_fp_ieee_div_zero 0
		.amdhsa_exception_fp_ieee_overflow 0
		.amdhsa_exception_fp_ieee_underflow 0
		.amdhsa_exception_fp_ieee_inexact 0
		.amdhsa_exception_int_div_zero 0
	.end_amdhsa_kernel
	.section	.text._ZN4vllm3moe10topkGatingILi4ELi4ELi4ELi8ELi32El6__halfLNS0_11ScoringFuncE1EEEvPKT5_PKbPfiPT4_PiiiibPKf,"axG",@progbits,_ZN4vllm3moe10topkGatingILi4ELi4ELi4ELi8ELi32El6__halfLNS0_11ScoringFuncE1EEEvPKT5_PKbPfiPT4_PiiiibPKf,comdat
.Lfunc_end295:
	.size	_ZN4vllm3moe10topkGatingILi4ELi4ELi4ELi8ELi32El6__halfLNS0_11ScoringFuncE1EEEvPKT5_PKbPfiPT4_PiiiibPKf, .Lfunc_end295-_ZN4vllm3moe10topkGatingILi4ELi4ELi4ELi8ELi32El6__halfLNS0_11ScoringFuncE1EEEvPKT5_PKbPfiPT4_PiiiibPKf
                                        ; -- End function
	.section	.AMDGPU.csdata,"",@progbits
; Kernel info:
; codeLenInByte = 1652
; NumSgprs: 28
; NumVgprs: 26
; NumAgprs: 0
; TotalNumVgprs: 26
; ScratchSize: 0
; MemoryBound: 1
; FloatMode: 240
; IeeeMode: 1
; LDSByteSize: 0 bytes/workgroup (compile time only)
; SGPRBlocks: 3
; VGPRBlocks: 3
; NumSGPRsForWavesPerEU: 28
; NumVGPRsForWavesPerEU: 26
; AccumOffset: 28
; Occupancy: 8
; WaveLimiterHint : 0
; COMPUTE_PGM_RSRC2:SCRATCH_EN: 0
; COMPUTE_PGM_RSRC2:USER_SGPR: 6
; COMPUTE_PGM_RSRC2:TRAP_HANDLER: 0
; COMPUTE_PGM_RSRC2:TGID_X_EN: 1
; COMPUTE_PGM_RSRC2:TGID_Y_EN: 0
; COMPUTE_PGM_RSRC2:TGID_Z_EN: 0
; COMPUTE_PGM_RSRC2:TIDIG_COMP_CNT: 1
; COMPUTE_PGM_RSRC3_GFX90A:ACCUM_OFFSET: 6
; COMPUTE_PGM_RSRC3_GFX90A:TG_SPLIT: 0
	.section	.text._ZN4vllm3moe10topkGatingILi8ELi8ELi4ELi16ELi64El6__halfLNS0_11ScoringFuncE1EEEvPKT5_PKbPfiPT4_PiiiibPKf,"axG",@progbits,_ZN4vllm3moe10topkGatingILi8ELi8ELi4ELi16ELi64El6__halfLNS0_11ScoringFuncE1EEEvPKT5_PKbPfiPT4_PiiiibPKf,comdat
	.protected	_ZN4vllm3moe10topkGatingILi8ELi8ELi4ELi16ELi64El6__halfLNS0_11ScoringFuncE1EEEvPKT5_PKbPfiPT4_PiiiibPKf ; -- Begin function _ZN4vllm3moe10topkGatingILi8ELi8ELi4ELi16ELi64El6__halfLNS0_11ScoringFuncE1EEEvPKT5_PKbPfiPT4_PiiiibPKf
	.globl	_ZN4vllm3moe10topkGatingILi8ELi8ELi4ELi16ELi64El6__halfLNS0_11ScoringFuncE1EEEvPKT5_PKbPfiPT4_PiiiibPKf
	.p2align	8
	.type	_ZN4vllm3moe10topkGatingILi8ELi8ELi4ELi16ELi64El6__halfLNS0_11ScoringFuncE1EEEvPKT5_PKbPfiPT4_PiiiibPKf,@function
_ZN4vllm3moe10topkGatingILi8ELi8ELi4ELi16ELi64El6__halfLNS0_11ScoringFuncE1EEEvPKT5_PKbPfiPT4_PiiiibPKf: ; @_ZN4vllm3moe10topkGatingILi8ELi8ELi4ELi16ELi64El6__halfLNS0_11ScoringFuncE1EEEvPKT5_PKbPfiPT4_PiiiibPKf
; %bb.0:
	s_load_dword s18, s[4:5], 0x18
	v_bfe_u32 v1, v0, 10, 10
	s_lshl_b32 s0, s6, 8
	v_lshlrev_b32_e32 v1, 6, v1
	v_and_b32_e32 v0, 0x3ff, v0
	v_add3_u32 v16, v1, v0, s0
	s_waitcnt lgkmcnt(0)
	v_cmp_gt_i32_e32 vcc, s18, v16
	s_and_saveexec_b64 s[0:1], vcc
	s_cbranch_execz .LBB296_20
; %bb.1:
	s_load_dwordx4 s[0:3], s[4:5], 0x0
	s_load_dwordx2 s[12:13], s[4:5], 0x10
	s_mov_b64 s[10:11], -1
	s_mov_b64 s[14:15], -1
	s_waitcnt lgkmcnt(0)
	s_cmp_eq_u64 s[2:3], 0
	s_cbranch_scc1 .LBB296_3
; %bb.2:
	v_ashrrev_i32_e32 v1, 31, v16
	v_mov_b32_e32 v2, s3
	v_add_co_u32_e32 v0, vcc, s2, v16
	v_addc_co_u32_e32 v1, vcc, v2, v1, vcc
	global_load_ubyte v0, v[0:1], off
	s_waitcnt vmcnt(0)
	v_and_b32_e32 v0, 1, v0
	v_cmp_eq_u32_e32 vcc, 1, v0
	s_xor_b64 s[2:3], vcc, -1
	s_orn2_b64 s[14:15], s[2:3], exec
.LBB296_3:
	v_lshlrev_b32_e32 v0, 3, v16
	v_ashrrev_i32_e32 v1, 31, v0
	v_lshlrev_b64 v[0:1], 1, v[0:1]
	v_mov_b32_e32 v2, s1
	v_add_co_u32_e32 v0, vcc, s0, v0
	v_addc_co_u32_e32 v1, vcc, v2, v1, vcc
	global_load_dwordx4 v[0:3], v[0:1], off
	v_mov_b32_e32 v8, 0x207
	s_load_dwordx2 s[16:17], s[4:5], 0x40
	s_waitcnt lgkmcnt(0)
	s_cmp_eq_u64 s[16:17], 0
	s_waitcnt vmcnt(0)
	v_cvt_f32_f16_e32 v4, v0
	v_cvt_f32_f16_sdwa v0, v0 dst_sel:DWORD dst_unused:UNUSED_PAD src0_sel:WORD_1
	v_cvt_f32_f16_e32 v5, v1
	v_cvt_f32_f16_sdwa v1, v1 dst_sel:DWORD dst_unused:UNUSED_PAD src0_sel:WORD_1
	v_mul_f32_e32 v4, 0xbfb8aa3b, v4
	v_mul_f32_e32 v9, 0xbfb8aa3b, v0
	v_cvt_f32_f16_e32 v6, v2
	v_cvt_f32_f16_sdwa v2, v2 dst_sel:DWORD dst_unused:UNUSED_PAD src0_sel:WORD_1
	v_cvt_f32_f16_e32 v7, v3
	v_cvt_f32_f16_sdwa v3, v3 dst_sel:DWORD dst_unused:UNUSED_PAD src0_sel:WORD_1
	v_mul_f32_e32 v10, 0xbfb8aa3b, v1
	v_exp_f32_e32 v0, v4
	v_exp_f32_e32 v1, v9
	v_mul_f32_e32 v5, 0xbfb8aa3b, v5
	v_mul_f32_e32 v11, 0xbfb8aa3b, v2
	;; [unrolled: 1-line block ×3, first 2 shown]
	v_exp_f32_e32 v2, v5
	v_exp_f32_e32 v3, v10
	v_pk_add_f32 v[0:1], v[0:1], 1.0 op_sel_hi:[1,0]
	v_div_scale_f32 v9, s[0:1], v1, v1, 1.0
	v_rcp_f32_e32 v20, v9
	v_exp_f32_e32 v5, v11
	v_div_scale_f32 v11, s[0:1], v0, v0, 1.0
	v_pk_add_f32 v[2:3], v[2:3], 1.0 op_sel_hi:[1,0]
	v_rcp_f32_e32 v21, v11
	v_mul_f32_e32 v6, 0xbfb8aa3b, v6
	v_div_scale_f32 v13, s[2:3], v3, v3, 1.0
	v_exp_f32_e32 v4, v6
	v_rcp_f32_e32 v22, v13
	v_fma_f32 v25, -v9, v20, 1.0
	v_div_scale_f32 v10, vcc, 1.0, v1, 1.0
	v_div_scale_f32 v15, s[6:7], v2, v2, 1.0
	v_fmac_f32_e32 v20, v25, v20
	v_mul_f32_e32 v7, 0xbfb8aa3b, v7
	v_rcp_f32_e32 v23, v15
	v_fma_f32 v26, -v11, v21, 1.0
	v_mul_f32_e32 v25, v10, v20
	v_exp_f32_e32 v6, v7
	v_exp_f32_e32 v7, v12
	v_div_scale_f32 v12, s[0:1], 1.0, v0, 1.0
	v_fmac_f32_e32 v21, v26, v21
	v_fma_f32 v30, -v9, v25, v10
	v_pk_add_f32 v[4:5], v[4:5], 1.0 op_sel_hi:[1,0]
	v_fma_f32 v27, -v13, v22, 1.0
	v_mul_f32_e32 v26, v12, v21
	v_fmac_f32_e32 v25, v30, v20
	v_div_scale_f32 v14, s[2:3], 1.0, v3, 1.0
	v_div_scale_f32 v18, s[8:9], v5, v5, 1.0
	v_fmac_f32_e32 v22, v27, v22
	v_fma_f32 v31, -v11, v26, v12
	v_fma_f32 v9, -v9, v25, v10
	v_rcp_f32_e32 v24, v18
	v_fma_f32 v28, -v15, v23, 1.0
	v_mul_f32_e32 v27, v14, v22
	v_fmac_f32_e32 v26, v31, v21
	v_div_fmas_f32 v9, v9, v20, v25
	v_div_scale_f32 v17, s[6:7], 1.0, v2, 1.0
	v_fmac_f32_e32 v23, v28, v23
	v_fma_f32 v32, -v13, v27, v14
	v_fma_f32 v10, -v11, v26, v12
	v_div_fixup_f32 v1, v9, v1, 1.0
	s_mov_b64 vcc, s[0:1]
	v_mul_f32_e32 v28, v17, v23
	v_fmac_f32_e32 v27, v32, v22
	v_div_fmas_f32 v9, v10, v21, v26
	v_cmp_class_f32_e32 vcc, v1, v8
	v_fma_f32 v33, -v15, v28, v17
	v_fma_f32 v11, -v13, v27, v14
	v_div_fixup_f32 v0, v9, v0, 1.0
	v_cndmask_b32_e64 v1, v1, 0, vcc
	s_mov_b64 vcc, s[2:3]
	v_fma_f32 v29, -v18, v24, 1.0
	v_fmac_f32_e32 v28, v33, v23
	v_div_fmas_f32 v9, v11, v22, v27
	v_cmp_class_f32_e32 vcc, v0, v8
	v_div_scale_f32 v19, s[8:9], 1.0, v5, 1.0
	v_fmac_f32_e32 v24, v29, v24
	v_fma_f32 v12, -v15, v28, v17
	v_cndmask_b32_e64 v0, v0, 0, vcc
	s_mov_b64 vcc, s[6:7]
	v_mul_f32_e32 v29, v19, v24
	v_div_fixup_f32 v3, v9, v3, 1.0
	v_div_fmas_f32 v9, v12, v23, v28
	v_div_scale_f32 v10, s[0:1], v4, v4, 1.0
	v_fma_f32 v34, -v18, v29, v19
	v_div_fixup_f32 v2, v9, v2, 1.0
	v_cmp_class_f32_e32 vcc, v3, v8
	v_rcp_f32_e32 v11, v10
	v_cndmask_b32_e64 v3, v3, 0, vcc
	v_cmp_class_f32_e32 vcc, v2, v8
	v_fmac_f32_e32 v29, v34, v24
	v_cndmask_b32_e64 v2, v2, 0, vcc
	v_fma_f32 v9, -v18, v29, v19
	s_mov_b64 vcc, s[8:9]
	v_div_fmas_f32 v9, v9, v24, v29
	v_div_fixup_f32 v5, v9, v5, 1.0
	v_fma_f32 v9, -v10, v11, 1.0
	v_fmac_f32_e32 v11, v9, v11
	v_div_scale_f32 v9, vcc, 1.0, v4, 1.0
	v_mul_f32_e32 v12, v9, v11
	v_fma_f32 v13, -v10, v12, v9
	v_fmac_f32_e32 v12, v13, v11
	v_fma_f32 v9, -v10, v12, v9
	v_div_fmas_f32 v9, v9, v11, v12
	v_pk_add_f32 v[6:7], v[6:7], 1.0 op_sel_hi:[1,0]
	v_div_fixup_f32 v4, v9, v4, 1.0
	v_div_scale_f32 v9, s[0:1], v7, v7, 1.0
	v_rcp_f32_e32 v10, v9
	v_cmp_class_f32_e32 vcc, v5, v8
	v_cndmask_b32_e64 v5, v5, 0, vcc
	v_cmp_class_f32_e32 vcc, v4, v8
	v_fma_f32 v11, -v9, v10, 1.0
	v_cndmask_b32_e64 v4, v4, 0, vcc
	v_fmac_f32_e32 v10, v11, v10
	v_div_scale_f32 v11, vcc, 1.0, v7, 1.0
	v_mul_f32_e32 v12, v11, v10
	v_fma_f32 v13, -v9, v12, v11
	v_fmac_f32_e32 v12, v13, v10
	v_fma_f32 v9, -v9, v12, v11
	v_div_scale_f32 v11, s[0:1], v6, v6, 1.0
	v_rcp_f32_e32 v13, v11
	v_div_fmas_f32 v9, v9, v10, v12
	v_div_fixup_f32 v7, v9, v7, 1.0
	v_fma_f32 v9, -v11, v13, 1.0
	v_fmac_f32_e32 v13, v9, v13
	v_div_scale_f32 v9, vcc, 1.0, v6, 1.0
	v_mul_f32_e32 v10, v9, v13
	v_fma_f32 v12, -v11, v10, v9
	v_fmac_f32_e32 v10, v12, v13
	v_fma_f32 v9, -v11, v10, v9
	v_div_fmas_f32 v9, v9, v13, v10
	v_div_fixup_f32 v6, v9, v6, 1.0
	v_cmp_class_f32_e32 vcc, v7, v8
	v_cndmask_b32_e64 v7, v7, 0, vcc
	v_cmp_class_f32_e32 vcc, v6, v8
	v_cndmask_b32_e64 v6, v6, 0, vcc
	s_cbranch_scc1 .LBB296_10
; %bb.4:
	s_load_dwordx8 s[20:27], s[16:17], 0x0
	s_waitcnt lgkmcnt(0)
	v_pk_add_f32 v[8:9], s[20:21], v[0:1]
	v_pk_add_f32 v[10:11], s[22:23], v[2:3]
	;; [unrolled: 1-line block ×4, first 2 shown]
	s_cbranch_execnz .LBB296_6
.LBB296_5:
	v_pk_mov_b32 v[14:15], v[6:7], v[6:7] op_sel:[0,1]
	v_pk_mov_b32 v[12:13], v[4:5], v[4:5] op_sel:[0,1]
	;; [unrolled: 1-line block ×4, first 2 shown]
.LBB296_6:
	s_load_dwordx4 s[8:11], s[4:5], 0x30
	s_waitcnt lgkmcnt(0)
	s_bitcmp1_b32 s11, 0
	s_cselect_b64 vcc, -1, 0
	s_cmp_gt_i32 s8, 0
	s_cselect_b64 s[16:17], -1, 0
	s_cmp_lt_i32 s8, 1
	s_mov_b32 s11, 0
	s_cbranch_scc1 .LBB296_11
; %bb.7:
	s_load_dwordx4 s[4:7], s[4:5], 0x20
	v_mul_lo_u32 v18, v16, s8
	v_mov_b32_e32 v17, 0
	v_mov_b32_e32 v19, s13
	;; [unrolled: 1-line block ×3, first 2 shown]
	s_waitcnt lgkmcnt(0)
	v_mov_b32_e32 v20, s5
	v_mov_b32_e32 v21, s7
	;; [unrolled: 1-line block ×3, first 2 shown]
.LBB296_8:                              ; =>This Inner Loop Header: Depth=1
	v_cmp_gt_f32_e64 s[0:1], v9, v8
	v_cndmask_b32_e64 v26, v8, v9, s[0:1]
	v_cndmask_b32_e64 v24, 0, 1, s[0:1]
	v_cndmask_b32_e64 v25, v0, v1, s[0:1]
	v_cmp_gt_f32_e64 s[0:1], v10, v26
	v_cndmask_b32_e64 v26, v26, v10, s[0:1]
	v_cndmask_b32_e64 v24, v24, 2, s[0:1]
	v_cndmask_b32_e64 v25, v25, v2, s[0:1]
	;; [unrolled: 4-line block ×6, first 2 shown]
	v_cmp_gt_f32_e64 s[0:1], v15, v26
	v_cndmask_b32_e64 v30, v24, 7, s[0:1]
	v_add_u32_e32 v24, s11, v18
	v_cndmask_b32_e64 v31, v25, v7, s[0:1]
	v_ashrrev_i32_e32 v25, 31, v24
	v_cmp_le_i32_e64 s[0:1], s9, v30
	v_cmp_gt_i32_e64 s[2:3], s10, v30
	v_lshlrev_b64 v[26:27], 2, v[24:25]
	s_and_b64 s[2:3], s[0:1], s[2:3]
	v_add_co_u32_e64 v28, s[0:1], s12, v26
	v_addc_co_u32_e64 v29, s[0:1], v19, v27, s[0:1]
	global_store_dword v[28:29], v31, off
	v_subrev_u32_e32 v28, s9, v30
	v_ashrrev_i32_e32 v29, 31, v28
	s_and_b64 s[0:1], s[14:15], s[2:3]
	v_lshlrev_b64 v[24:25], 3, v[24:25]
	v_cndmask_b32_e64 v29, 0, v29, s[0:1]
	v_cndmask_b32_e64 v28, 8, v28, s[0:1]
	v_add_co_u32_e64 v24, s[0:1], s4, v24
	v_addc_co_u32_e64 v25, s[0:1], v20, v25, s[0:1]
	global_store_dwordx2 v[24:25], v[28:29], off
	v_add_co_u32_e64 v24, s[0:1], s6, v26
	v_addc_co_u32_e64 v25, s[0:1], v21, v27, s[0:1]
	global_store_dword v[24:25], v23, off
	v_add_f32_e32 v24, v17, v31
	v_cmp_ne_u32_e64 s[0:1], 0, v30
	v_cndmask_b32_e32 v17, v17, v24, vcc
	v_cndmask_b32_e64 v24, v22, v8, s[0:1]
	v_cmp_ne_u32_e64 s[0:1], 1, v30
	v_cndmask_b32_e64 v25, v22, v9, s[0:1]
	v_cmp_ne_u32_e64 s[0:1], 2, v30
	;; [unrolled: 2-line block ×5, first 2 shown]
	s_add_i32 s11, s11, 1
	v_cndmask_b32_e64 v29, v22, v13, s[0:1]
	v_cmp_ne_u32_e64 s[0:1], 6, v30
	s_cmp_lt_i32 s11, s8
	v_cndmask_b32_e64 v31, v22, v14, s[0:1]
	v_cmp_ne_u32_e64 s[0:1], 7, v30
	v_cndmask_b32_e64 v30, v22, v15, s[0:1]
	s_cselect_b64 s[0:1], -1, 0
	v_cndmask_b32_e64 v15, v15, v30, s[0:1]
	v_cndmask_b32_e64 v14, v14, v31, s[0:1]
	;; [unrolled: 1-line block ×8, first 2 shown]
	s_cmp_eq_u32 s8, s11
	v_add_u32_e32 v23, s18, v23
	s_cbranch_scc0 .LBB296_8
; %bb.9:
	s_and_b64 vcc, exec, vcc
	s_cbranch_vccnz .LBB296_12
	s_branch .LBB296_20
.LBB296_10:
                                        ; implicit-def: $vgpr8_vgpr9_vgpr10_vgpr11_vgpr12_vgpr13_vgpr14_vgpr15
	s_andn2_b64 vcc, exec, s[10:11]
	s_cbranch_vccz .LBB296_5
	s_branch .LBB296_6
.LBB296_11:
	v_mov_b32_e32 v17, 0
	s_and_b64 vcc, exec, vcc
	s_cbranch_vccz .LBB296_20
.LBB296_12:
	s_andn2_b64 vcc, exec, s[16:17]
	s_cbranch_vccnz .LBB296_20
; %bb.13:
	v_cmp_lt_f32_e32 vcc, 0, v17
	s_mov_b32 s2, 0
	v_cndmask_b32_e32 v0, 1.0, v17, vcc
	v_mul_lo_u32 v4, v16, s8
	s_cmp_eq_u32 s8, 1
	s_mov_b64 s[0:1], -1
	s_cbranch_scc1 .LBB296_17
; %bb.14:
	s_and_b32 s2, s8, 0x7ffffffe
	v_mov_b32_e32 v1, v0
	v_mov_b32_e32 v5, s13
	s_mov_b32 s3, s2
	v_mov_b32_e32 v2, v4
.LBB296_15:                             ; =>This Inner Loop Header: Depth=1
	v_ashrrev_i32_e32 v3, 31, v2
	v_lshlrev_b64 v[6:7], 2, v[2:3]
	v_add_co_u32_e32 v6, vcc, s12, v6
	v_addc_co_u32_e32 v7, vcc, v5, v7, vcc
	global_load_dwordx2 v[8:9], v[6:7], off
	s_add_i32 s3, s3, -2
	s_cmp_lg_u32 s3, 0
	v_add_u32_e32 v2, 2, v2
	s_waitcnt vmcnt(0)
	v_div_scale_f32 v3, s[0:1], v1, v1, v9
	v_div_scale_f32 v11, s[0:1], v0, v0, v8
	v_rcp_f32_e32 v12, v3
	v_rcp_f32_e32 v13, v11
	v_div_scale_f32 v10, vcc, v9, v1, v9
	v_fma_f32 v15, -v3, v12, 1.0
	v_fma_f32 v16, -v11, v13, 1.0
	v_fmac_f32_e32 v12, v15, v12
	v_div_scale_f32 v14, s[0:1], v8, v0, v8
	v_fmac_f32_e32 v13, v16, v13
	v_mul_f32_e32 v15, v10, v12
	v_mul_f32_e32 v16, v14, v13
	v_fma_f32 v17, -v3, v15, v10
	v_fma_f32 v18, -v11, v16, v14
	v_fmac_f32_e32 v15, v17, v12
	v_fmac_f32_e32 v16, v18, v13
	v_fma_f32 v3, -v3, v15, v10
	v_fma_f32 v10, -v11, v16, v14
	v_div_fmas_f32 v3, v3, v12, v15
	s_mov_b64 vcc, s[0:1]
	v_div_fixup_f32 v9, v3, v1, v9
	v_div_fmas_f32 v3, v10, v13, v16
	v_div_fixup_f32 v8, v3, v0, v8
	global_store_dwordx2 v[6:7], v[8:9], off
	s_cbranch_scc1 .LBB296_15
; %bb.16:
	s_cmp_lg_u32 s2, s8
	s_cselect_b64 s[0:1], -1, 0
.LBB296_17:
	s_and_b64 vcc, exec, s[0:1]
	s_cbranch_vccz .LBB296_20
; %bb.18:
	v_ashrrev_i32_e32 v1, 31, v4
	v_add_co_u32_e32 v2, vcc, s2, v4
	v_addc_co_u32_e32 v3, vcc, 0, v1, vcc
	v_lshlrev_b64 v[2:3], 2, v[2:3]
	v_mov_b32_e32 v1, s13
	v_add_co_u32_e32 v2, vcc, s12, v2
	s_sub_i32 s0, s8, s2
	v_addc_co_u32_e32 v3, vcc, v1, v3, vcc
.LBB296_19:                             ; =>This Inner Loop Header: Depth=1
	global_load_dword v1, v[2:3], off
	s_add_i32 s0, s0, -1
	s_cmp_lg_u32 s0, 0
	s_waitcnt vmcnt(0)
	v_div_scale_f32 v4, s[2:3], v0, v0, v1
	v_rcp_f32_e32 v5, v4
	v_div_scale_f32 v6, vcc, v1, v0, v1
	v_fma_f32 v7, -v4, v5, 1.0
	v_fmac_f32_e32 v5, v7, v5
	v_mul_f32_e32 v7, v6, v5
	v_fma_f32 v8, -v4, v7, v6
	v_fmac_f32_e32 v7, v8, v5
	v_fma_f32 v4, -v4, v7, v6
	v_div_fmas_f32 v4, v4, v5, v7
	v_div_fixup_f32 v1, v4, v0, v1
	global_store_dword v[2:3], v1, off
	v_add_co_u32_e32 v2, vcc, 4, v2
	v_addc_co_u32_e32 v3, vcc, 0, v3, vcc
	s_cbranch_scc1 .LBB296_19
.LBB296_20:
	s_endpgm
	.section	.rodata,"a",@progbits
	.p2align	6, 0x0
	.amdhsa_kernel _ZN4vllm3moe10topkGatingILi8ELi8ELi4ELi16ELi64El6__halfLNS0_11ScoringFuncE1EEEvPKT5_PKbPfiPT4_PiiiibPKf
		.amdhsa_group_segment_fixed_size 0
		.amdhsa_private_segment_fixed_size 0
		.amdhsa_kernarg_size 72
		.amdhsa_user_sgpr_count 6
		.amdhsa_user_sgpr_private_segment_buffer 1
		.amdhsa_user_sgpr_dispatch_ptr 0
		.amdhsa_user_sgpr_queue_ptr 0
		.amdhsa_user_sgpr_kernarg_segment_ptr 1
		.amdhsa_user_sgpr_dispatch_id 0
		.amdhsa_user_sgpr_flat_scratch_init 0
		.amdhsa_user_sgpr_kernarg_preload_length 0
		.amdhsa_user_sgpr_kernarg_preload_offset 0
		.amdhsa_user_sgpr_private_segment_size 0
		.amdhsa_uses_dynamic_stack 0
		.amdhsa_system_sgpr_private_segment_wavefront_offset 0
		.amdhsa_system_sgpr_workgroup_id_x 1
		.amdhsa_system_sgpr_workgroup_id_y 0
		.amdhsa_system_sgpr_workgroup_id_z 0
		.amdhsa_system_sgpr_workgroup_info 0
		.amdhsa_system_vgpr_workitem_id 1
		.amdhsa_next_free_vgpr 35
		.amdhsa_next_free_sgpr 28
		.amdhsa_accum_offset 36
		.amdhsa_reserve_vcc 1
		.amdhsa_reserve_flat_scratch 0
		.amdhsa_float_round_mode_32 0
		.amdhsa_float_round_mode_16_64 0
		.amdhsa_float_denorm_mode_32 3
		.amdhsa_float_denorm_mode_16_64 3
		.amdhsa_dx10_clamp 1
		.amdhsa_ieee_mode 1
		.amdhsa_fp16_overflow 0
		.amdhsa_tg_split 0
		.amdhsa_exception_fp_ieee_invalid_op 0
		.amdhsa_exception_fp_denorm_src 0
		.amdhsa_exception_fp_ieee_div_zero 0
		.amdhsa_exception_fp_ieee_overflow 0
		.amdhsa_exception_fp_ieee_underflow 0
		.amdhsa_exception_fp_ieee_inexact 0
		.amdhsa_exception_int_div_zero 0
	.end_amdhsa_kernel
	.section	.text._ZN4vllm3moe10topkGatingILi8ELi8ELi4ELi16ELi64El6__halfLNS0_11ScoringFuncE1EEEvPKT5_PKbPfiPT4_PiiiibPKf,"axG",@progbits,_ZN4vllm3moe10topkGatingILi8ELi8ELi4ELi16ELi64El6__halfLNS0_11ScoringFuncE1EEEvPKT5_PKbPfiPT4_PiiiibPKf,comdat
.Lfunc_end296:
	.size	_ZN4vllm3moe10topkGatingILi8ELi8ELi4ELi16ELi64El6__halfLNS0_11ScoringFuncE1EEEvPKT5_PKbPfiPT4_PiiiibPKf, .Lfunc_end296-_ZN4vllm3moe10topkGatingILi8ELi8ELi4ELi16ELi64El6__halfLNS0_11ScoringFuncE1EEEvPKT5_PKbPfiPT4_PiiiibPKf
                                        ; -- End function
	.section	.AMDGPU.csdata,"",@progbits
; Kernel info:
; codeLenInByte = 2292
; NumSgprs: 32
; NumVgprs: 35
; NumAgprs: 0
; TotalNumVgprs: 35
; ScratchSize: 0
; MemoryBound: 1
; FloatMode: 240
; IeeeMode: 1
; LDSByteSize: 0 bytes/workgroup (compile time only)
; SGPRBlocks: 3
; VGPRBlocks: 4
; NumSGPRsForWavesPerEU: 32
; NumVGPRsForWavesPerEU: 35
; AccumOffset: 36
; Occupancy: 8
; WaveLimiterHint : 0
; COMPUTE_PGM_RSRC2:SCRATCH_EN: 0
; COMPUTE_PGM_RSRC2:USER_SGPR: 6
; COMPUTE_PGM_RSRC2:TRAP_HANDLER: 0
; COMPUTE_PGM_RSRC2:TGID_X_EN: 1
; COMPUTE_PGM_RSRC2:TGID_Y_EN: 0
; COMPUTE_PGM_RSRC2:TGID_Z_EN: 0
; COMPUTE_PGM_RSRC2:TIDIG_COMP_CNT: 1
; COMPUTE_PGM_RSRC3_GFX90A:ACCUM_OFFSET: 8
; COMPUTE_PGM_RSRC3_GFX90A:TG_SPLIT: 0
	.section	.text._ZN4vllm3moe10topkGatingILi8ELi8ELi4ELi16ELi32El6__halfLNS0_11ScoringFuncE1EEEvPKT5_PKbPfiPT4_PiiiibPKf,"axG",@progbits,_ZN4vllm3moe10topkGatingILi8ELi8ELi4ELi16ELi32El6__halfLNS0_11ScoringFuncE1EEEvPKT5_PKbPfiPT4_PiiiibPKf,comdat
	.protected	_ZN4vllm3moe10topkGatingILi8ELi8ELi4ELi16ELi32El6__halfLNS0_11ScoringFuncE1EEEvPKT5_PKbPfiPT4_PiiiibPKf ; -- Begin function _ZN4vllm3moe10topkGatingILi8ELi8ELi4ELi16ELi32El6__halfLNS0_11ScoringFuncE1EEEvPKT5_PKbPfiPT4_PiiiibPKf
	.globl	_ZN4vllm3moe10topkGatingILi8ELi8ELi4ELi16ELi32El6__halfLNS0_11ScoringFuncE1EEEvPKT5_PKbPfiPT4_PiiiibPKf
	.p2align	8
	.type	_ZN4vllm3moe10topkGatingILi8ELi8ELi4ELi16ELi32El6__halfLNS0_11ScoringFuncE1EEEvPKT5_PKbPfiPT4_PiiiibPKf,@function
_ZN4vllm3moe10topkGatingILi8ELi8ELi4ELi16ELi32El6__halfLNS0_11ScoringFuncE1EEEvPKT5_PKbPfiPT4_PiiiibPKf: ; @_ZN4vllm3moe10topkGatingILi8ELi8ELi4ELi16ELi32El6__halfLNS0_11ScoringFuncE1EEEvPKT5_PKbPfiPT4_PiiiibPKf
; %bb.0:
	s_load_dword s18, s[4:5], 0x18
	v_bfe_u32 v1, v0, 10, 10
	s_lshl_b32 s0, s6, 7
	v_lshlrev_b32_e32 v1, 5, v1
	v_and_b32_e32 v0, 0x3ff, v0
	v_add3_u32 v16, v1, v0, s0
	s_waitcnt lgkmcnt(0)
	v_cmp_gt_i32_e32 vcc, s18, v16
	s_and_saveexec_b64 s[0:1], vcc
	s_cbranch_execz .LBB297_20
; %bb.1:
	s_load_dwordx4 s[0:3], s[4:5], 0x0
	s_load_dwordx2 s[12:13], s[4:5], 0x10
	s_mov_b64 s[10:11], -1
	s_mov_b64 s[14:15], -1
	s_waitcnt lgkmcnt(0)
	s_cmp_eq_u64 s[2:3], 0
	s_cbranch_scc1 .LBB297_3
; %bb.2:
	v_ashrrev_i32_e32 v1, 31, v16
	v_mov_b32_e32 v2, s3
	v_add_co_u32_e32 v0, vcc, s2, v16
	v_addc_co_u32_e32 v1, vcc, v2, v1, vcc
	global_load_ubyte v0, v[0:1], off
	s_waitcnt vmcnt(0)
	v_and_b32_e32 v0, 1, v0
	v_cmp_eq_u32_e32 vcc, 1, v0
	s_xor_b64 s[2:3], vcc, -1
	s_orn2_b64 s[14:15], s[2:3], exec
.LBB297_3:
	v_lshlrev_b32_e32 v0, 3, v16
	v_ashrrev_i32_e32 v1, 31, v0
	v_lshlrev_b64 v[0:1], 1, v[0:1]
	v_mov_b32_e32 v2, s1
	v_add_co_u32_e32 v0, vcc, s0, v0
	v_addc_co_u32_e32 v1, vcc, v2, v1, vcc
	global_load_dwordx4 v[0:3], v[0:1], off
	v_mov_b32_e32 v8, 0x207
	s_load_dwordx2 s[16:17], s[4:5], 0x40
	s_waitcnt lgkmcnt(0)
	s_cmp_eq_u64 s[16:17], 0
	s_waitcnt vmcnt(0)
	v_cvt_f32_f16_e32 v4, v0
	v_cvt_f32_f16_sdwa v0, v0 dst_sel:DWORD dst_unused:UNUSED_PAD src0_sel:WORD_1
	v_cvt_f32_f16_e32 v5, v1
	v_cvt_f32_f16_sdwa v1, v1 dst_sel:DWORD dst_unused:UNUSED_PAD src0_sel:WORD_1
	v_mul_f32_e32 v4, 0xbfb8aa3b, v4
	v_mul_f32_e32 v9, 0xbfb8aa3b, v0
	v_cvt_f32_f16_e32 v6, v2
	v_cvt_f32_f16_sdwa v2, v2 dst_sel:DWORD dst_unused:UNUSED_PAD src0_sel:WORD_1
	v_cvt_f32_f16_e32 v7, v3
	v_cvt_f32_f16_sdwa v3, v3 dst_sel:DWORD dst_unused:UNUSED_PAD src0_sel:WORD_1
	v_mul_f32_e32 v10, 0xbfb8aa3b, v1
	v_exp_f32_e32 v0, v4
	v_exp_f32_e32 v1, v9
	v_mul_f32_e32 v5, 0xbfb8aa3b, v5
	v_mul_f32_e32 v11, 0xbfb8aa3b, v2
	;; [unrolled: 1-line block ×3, first 2 shown]
	v_exp_f32_e32 v2, v5
	v_exp_f32_e32 v3, v10
	v_pk_add_f32 v[0:1], v[0:1], 1.0 op_sel_hi:[1,0]
	v_div_scale_f32 v9, s[0:1], v1, v1, 1.0
	v_rcp_f32_e32 v20, v9
	v_exp_f32_e32 v5, v11
	v_div_scale_f32 v11, s[0:1], v0, v0, 1.0
	v_pk_add_f32 v[2:3], v[2:3], 1.0 op_sel_hi:[1,0]
	v_rcp_f32_e32 v21, v11
	v_mul_f32_e32 v6, 0xbfb8aa3b, v6
	v_div_scale_f32 v13, s[2:3], v3, v3, 1.0
	v_exp_f32_e32 v4, v6
	v_rcp_f32_e32 v22, v13
	v_fma_f32 v25, -v9, v20, 1.0
	v_div_scale_f32 v10, vcc, 1.0, v1, 1.0
	v_div_scale_f32 v15, s[6:7], v2, v2, 1.0
	v_fmac_f32_e32 v20, v25, v20
	v_mul_f32_e32 v7, 0xbfb8aa3b, v7
	v_rcp_f32_e32 v23, v15
	v_fma_f32 v26, -v11, v21, 1.0
	v_mul_f32_e32 v25, v10, v20
	v_exp_f32_e32 v6, v7
	v_exp_f32_e32 v7, v12
	v_div_scale_f32 v12, s[0:1], 1.0, v0, 1.0
	v_fmac_f32_e32 v21, v26, v21
	v_fma_f32 v30, -v9, v25, v10
	v_pk_add_f32 v[4:5], v[4:5], 1.0 op_sel_hi:[1,0]
	v_fma_f32 v27, -v13, v22, 1.0
	v_mul_f32_e32 v26, v12, v21
	v_fmac_f32_e32 v25, v30, v20
	v_div_scale_f32 v14, s[2:3], 1.0, v3, 1.0
	v_div_scale_f32 v18, s[8:9], v5, v5, 1.0
	v_fmac_f32_e32 v22, v27, v22
	v_fma_f32 v31, -v11, v26, v12
	v_fma_f32 v9, -v9, v25, v10
	v_rcp_f32_e32 v24, v18
	v_fma_f32 v28, -v15, v23, 1.0
	v_mul_f32_e32 v27, v14, v22
	v_fmac_f32_e32 v26, v31, v21
	v_div_fmas_f32 v9, v9, v20, v25
	v_div_scale_f32 v17, s[6:7], 1.0, v2, 1.0
	v_fmac_f32_e32 v23, v28, v23
	v_fma_f32 v32, -v13, v27, v14
	v_fma_f32 v10, -v11, v26, v12
	v_div_fixup_f32 v1, v9, v1, 1.0
	s_mov_b64 vcc, s[0:1]
	v_mul_f32_e32 v28, v17, v23
	v_fmac_f32_e32 v27, v32, v22
	v_div_fmas_f32 v9, v10, v21, v26
	v_cmp_class_f32_e32 vcc, v1, v8
	v_fma_f32 v33, -v15, v28, v17
	v_fma_f32 v11, -v13, v27, v14
	v_div_fixup_f32 v0, v9, v0, 1.0
	v_cndmask_b32_e64 v1, v1, 0, vcc
	s_mov_b64 vcc, s[2:3]
	v_fma_f32 v29, -v18, v24, 1.0
	v_fmac_f32_e32 v28, v33, v23
	v_div_fmas_f32 v9, v11, v22, v27
	v_cmp_class_f32_e32 vcc, v0, v8
	v_div_scale_f32 v19, s[8:9], 1.0, v5, 1.0
	v_fmac_f32_e32 v24, v29, v24
	v_fma_f32 v12, -v15, v28, v17
	v_cndmask_b32_e64 v0, v0, 0, vcc
	s_mov_b64 vcc, s[6:7]
	v_mul_f32_e32 v29, v19, v24
	v_div_fixup_f32 v3, v9, v3, 1.0
	v_div_fmas_f32 v9, v12, v23, v28
	v_div_scale_f32 v10, s[0:1], v4, v4, 1.0
	v_fma_f32 v34, -v18, v29, v19
	v_div_fixup_f32 v2, v9, v2, 1.0
	v_cmp_class_f32_e32 vcc, v3, v8
	v_rcp_f32_e32 v11, v10
	v_cndmask_b32_e64 v3, v3, 0, vcc
	v_cmp_class_f32_e32 vcc, v2, v8
	v_fmac_f32_e32 v29, v34, v24
	v_cndmask_b32_e64 v2, v2, 0, vcc
	v_fma_f32 v9, -v18, v29, v19
	s_mov_b64 vcc, s[8:9]
	v_div_fmas_f32 v9, v9, v24, v29
	v_div_fixup_f32 v5, v9, v5, 1.0
	v_fma_f32 v9, -v10, v11, 1.0
	v_fmac_f32_e32 v11, v9, v11
	v_div_scale_f32 v9, vcc, 1.0, v4, 1.0
	v_mul_f32_e32 v12, v9, v11
	v_fma_f32 v13, -v10, v12, v9
	v_fmac_f32_e32 v12, v13, v11
	v_fma_f32 v9, -v10, v12, v9
	v_div_fmas_f32 v9, v9, v11, v12
	v_pk_add_f32 v[6:7], v[6:7], 1.0 op_sel_hi:[1,0]
	v_div_fixup_f32 v4, v9, v4, 1.0
	v_div_scale_f32 v9, s[0:1], v7, v7, 1.0
	v_rcp_f32_e32 v10, v9
	v_cmp_class_f32_e32 vcc, v5, v8
	v_cndmask_b32_e64 v5, v5, 0, vcc
	v_cmp_class_f32_e32 vcc, v4, v8
	v_fma_f32 v11, -v9, v10, 1.0
	v_cndmask_b32_e64 v4, v4, 0, vcc
	v_fmac_f32_e32 v10, v11, v10
	v_div_scale_f32 v11, vcc, 1.0, v7, 1.0
	v_mul_f32_e32 v12, v11, v10
	v_fma_f32 v13, -v9, v12, v11
	v_fmac_f32_e32 v12, v13, v10
	v_fma_f32 v9, -v9, v12, v11
	v_div_scale_f32 v11, s[0:1], v6, v6, 1.0
	v_rcp_f32_e32 v13, v11
	v_div_fmas_f32 v9, v9, v10, v12
	v_div_fixup_f32 v7, v9, v7, 1.0
	v_fma_f32 v9, -v11, v13, 1.0
	v_fmac_f32_e32 v13, v9, v13
	v_div_scale_f32 v9, vcc, 1.0, v6, 1.0
	v_mul_f32_e32 v10, v9, v13
	v_fma_f32 v12, -v11, v10, v9
	v_fmac_f32_e32 v10, v12, v13
	v_fma_f32 v9, -v11, v10, v9
	v_div_fmas_f32 v9, v9, v13, v10
	v_div_fixup_f32 v6, v9, v6, 1.0
	v_cmp_class_f32_e32 vcc, v7, v8
	v_cndmask_b32_e64 v7, v7, 0, vcc
	v_cmp_class_f32_e32 vcc, v6, v8
	v_cndmask_b32_e64 v6, v6, 0, vcc
	s_cbranch_scc1 .LBB297_10
; %bb.4:
	s_load_dwordx8 s[20:27], s[16:17], 0x0
	s_waitcnt lgkmcnt(0)
	v_pk_add_f32 v[8:9], s[20:21], v[0:1]
	v_pk_add_f32 v[10:11], s[22:23], v[2:3]
	;; [unrolled: 1-line block ×4, first 2 shown]
	s_cbranch_execnz .LBB297_6
.LBB297_5:
	v_pk_mov_b32 v[14:15], v[6:7], v[6:7] op_sel:[0,1]
	v_pk_mov_b32 v[12:13], v[4:5], v[4:5] op_sel:[0,1]
	;; [unrolled: 1-line block ×4, first 2 shown]
.LBB297_6:
	s_load_dwordx4 s[8:11], s[4:5], 0x30
	s_waitcnt lgkmcnt(0)
	s_bitcmp1_b32 s11, 0
	s_cselect_b64 vcc, -1, 0
	s_cmp_gt_i32 s8, 0
	s_cselect_b64 s[16:17], -1, 0
	s_cmp_lt_i32 s8, 1
	s_mov_b32 s11, 0
	s_cbranch_scc1 .LBB297_11
; %bb.7:
	s_load_dwordx4 s[4:7], s[4:5], 0x20
	v_mul_lo_u32 v18, v16, s8
	v_mov_b32_e32 v17, 0
	v_mov_b32_e32 v19, s13
	;; [unrolled: 1-line block ×3, first 2 shown]
	s_waitcnt lgkmcnt(0)
	v_mov_b32_e32 v20, s5
	v_mov_b32_e32 v21, s7
	;; [unrolled: 1-line block ×3, first 2 shown]
.LBB297_8:                              ; =>This Inner Loop Header: Depth=1
	v_cmp_gt_f32_e64 s[0:1], v9, v8
	v_cndmask_b32_e64 v26, v8, v9, s[0:1]
	v_cndmask_b32_e64 v24, 0, 1, s[0:1]
	v_cndmask_b32_e64 v25, v0, v1, s[0:1]
	v_cmp_gt_f32_e64 s[0:1], v10, v26
	v_cndmask_b32_e64 v26, v26, v10, s[0:1]
	v_cndmask_b32_e64 v24, v24, 2, s[0:1]
	v_cndmask_b32_e64 v25, v25, v2, s[0:1]
	;; [unrolled: 4-line block ×6, first 2 shown]
	v_cmp_gt_f32_e64 s[0:1], v15, v26
	v_cndmask_b32_e64 v30, v24, 7, s[0:1]
	v_add_u32_e32 v24, s11, v18
	v_cndmask_b32_e64 v31, v25, v7, s[0:1]
	v_ashrrev_i32_e32 v25, 31, v24
	v_cmp_le_i32_e64 s[0:1], s9, v30
	v_cmp_gt_i32_e64 s[2:3], s10, v30
	v_lshlrev_b64 v[26:27], 2, v[24:25]
	s_and_b64 s[2:3], s[0:1], s[2:3]
	v_add_co_u32_e64 v28, s[0:1], s12, v26
	v_addc_co_u32_e64 v29, s[0:1], v19, v27, s[0:1]
	global_store_dword v[28:29], v31, off
	v_subrev_u32_e32 v28, s9, v30
	v_ashrrev_i32_e32 v29, 31, v28
	s_and_b64 s[0:1], s[14:15], s[2:3]
	v_lshlrev_b64 v[24:25], 3, v[24:25]
	v_cndmask_b32_e64 v29, 0, v29, s[0:1]
	v_cndmask_b32_e64 v28, 8, v28, s[0:1]
	v_add_co_u32_e64 v24, s[0:1], s4, v24
	v_addc_co_u32_e64 v25, s[0:1], v20, v25, s[0:1]
	global_store_dwordx2 v[24:25], v[28:29], off
	v_add_co_u32_e64 v24, s[0:1], s6, v26
	v_addc_co_u32_e64 v25, s[0:1], v21, v27, s[0:1]
	global_store_dword v[24:25], v23, off
	v_add_f32_e32 v24, v17, v31
	v_cmp_ne_u32_e64 s[0:1], 0, v30
	v_cndmask_b32_e32 v17, v17, v24, vcc
	v_cndmask_b32_e64 v24, v22, v8, s[0:1]
	v_cmp_ne_u32_e64 s[0:1], 1, v30
	v_cndmask_b32_e64 v25, v22, v9, s[0:1]
	v_cmp_ne_u32_e64 s[0:1], 2, v30
	;; [unrolled: 2-line block ×5, first 2 shown]
	s_add_i32 s11, s11, 1
	v_cndmask_b32_e64 v29, v22, v13, s[0:1]
	v_cmp_ne_u32_e64 s[0:1], 6, v30
	s_cmp_lt_i32 s11, s8
	v_cndmask_b32_e64 v31, v22, v14, s[0:1]
	v_cmp_ne_u32_e64 s[0:1], 7, v30
	v_cndmask_b32_e64 v30, v22, v15, s[0:1]
	s_cselect_b64 s[0:1], -1, 0
	v_cndmask_b32_e64 v15, v15, v30, s[0:1]
	v_cndmask_b32_e64 v14, v14, v31, s[0:1]
	;; [unrolled: 1-line block ×8, first 2 shown]
	s_cmp_eq_u32 s8, s11
	v_add_u32_e32 v23, s18, v23
	s_cbranch_scc0 .LBB297_8
; %bb.9:
	s_and_b64 vcc, exec, vcc
	s_cbranch_vccnz .LBB297_12
	s_branch .LBB297_20
.LBB297_10:
                                        ; implicit-def: $vgpr8_vgpr9_vgpr10_vgpr11_vgpr12_vgpr13_vgpr14_vgpr15
	s_andn2_b64 vcc, exec, s[10:11]
	s_cbranch_vccz .LBB297_5
	s_branch .LBB297_6
.LBB297_11:
	v_mov_b32_e32 v17, 0
	s_and_b64 vcc, exec, vcc
	s_cbranch_vccz .LBB297_20
.LBB297_12:
	s_andn2_b64 vcc, exec, s[16:17]
	s_cbranch_vccnz .LBB297_20
; %bb.13:
	v_cmp_lt_f32_e32 vcc, 0, v17
	s_mov_b32 s2, 0
	v_cndmask_b32_e32 v0, 1.0, v17, vcc
	v_mul_lo_u32 v4, v16, s8
	s_cmp_eq_u32 s8, 1
	s_mov_b64 s[0:1], -1
	s_cbranch_scc1 .LBB297_17
; %bb.14:
	s_and_b32 s2, s8, 0x7ffffffe
	v_mov_b32_e32 v1, v0
	v_mov_b32_e32 v5, s13
	s_mov_b32 s3, s2
	v_mov_b32_e32 v2, v4
.LBB297_15:                             ; =>This Inner Loop Header: Depth=1
	v_ashrrev_i32_e32 v3, 31, v2
	v_lshlrev_b64 v[6:7], 2, v[2:3]
	v_add_co_u32_e32 v6, vcc, s12, v6
	v_addc_co_u32_e32 v7, vcc, v5, v7, vcc
	global_load_dwordx2 v[8:9], v[6:7], off
	s_add_i32 s3, s3, -2
	s_cmp_lg_u32 s3, 0
	v_add_u32_e32 v2, 2, v2
	s_waitcnt vmcnt(0)
	v_div_scale_f32 v3, s[0:1], v1, v1, v9
	v_div_scale_f32 v11, s[0:1], v0, v0, v8
	v_rcp_f32_e32 v12, v3
	v_rcp_f32_e32 v13, v11
	v_div_scale_f32 v10, vcc, v9, v1, v9
	v_fma_f32 v15, -v3, v12, 1.0
	v_fma_f32 v16, -v11, v13, 1.0
	v_fmac_f32_e32 v12, v15, v12
	v_div_scale_f32 v14, s[0:1], v8, v0, v8
	v_fmac_f32_e32 v13, v16, v13
	v_mul_f32_e32 v15, v10, v12
	v_mul_f32_e32 v16, v14, v13
	v_fma_f32 v17, -v3, v15, v10
	v_fma_f32 v18, -v11, v16, v14
	v_fmac_f32_e32 v15, v17, v12
	v_fmac_f32_e32 v16, v18, v13
	v_fma_f32 v3, -v3, v15, v10
	v_fma_f32 v10, -v11, v16, v14
	v_div_fmas_f32 v3, v3, v12, v15
	s_mov_b64 vcc, s[0:1]
	v_div_fixup_f32 v9, v3, v1, v9
	v_div_fmas_f32 v3, v10, v13, v16
	v_div_fixup_f32 v8, v3, v0, v8
	global_store_dwordx2 v[6:7], v[8:9], off
	s_cbranch_scc1 .LBB297_15
; %bb.16:
	s_cmp_lg_u32 s2, s8
	s_cselect_b64 s[0:1], -1, 0
.LBB297_17:
	s_and_b64 vcc, exec, s[0:1]
	s_cbranch_vccz .LBB297_20
; %bb.18:
	v_ashrrev_i32_e32 v1, 31, v4
	v_add_co_u32_e32 v2, vcc, s2, v4
	v_addc_co_u32_e32 v3, vcc, 0, v1, vcc
	v_lshlrev_b64 v[2:3], 2, v[2:3]
	v_mov_b32_e32 v1, s13
	v_add_co_u32_e32 v2, vcc, s12, v2
	s_sub_i32 s0, s8, s2
	v_addc_co_u32_e32 v3, vcc, v1, v3, vcc
.LBB297_19:                             ; =>This Inner Loop Header: Depth=1
	global_load_dword v1, v[2:3], off
	s_add_i32 s0, s0, -1
	s_cmp_lg_u32 s0, 0
	s_waitcnt vmcnt(0)
	v_div_scale_f32 v4, s[2:3], v0, v0, v1
	v_rcp_f32_e32 v5, v4
	v_div_scale_f32 v6, vcc, v1, v0, v1
	v_fma_f32 v7, -v4, v5, 1.0
	v_fmac_f32_e32 v5, v7, v5
	v_mul_f32_e32 v7, v6, v5
	v_fma_f32 v8, -v4, v7, v6
	v_fmac_f32_e32 v7, v8, v5
	v_fma_f32 v4, -v4, v7, v6
	v_div_fmas_f32 v4, v4, v5, v7
	v_div_fixup_f32 v1, v4, v0, v1
	global_store_dword v[2:3], v1, off
	v_add_co_u32_e32 v2, vcc, 4, v2
	v_addc_co_u32_e32 v3, vcc, 0, v3, vcc
	s_cbranch_scc1 .LBB297_19
.LBB297_20:
	s_endpgm
	.section	.rodata,"a",@progbits
	.p2align	6, 0x0
	.amdhsa_kernel _ZN4vllm3moe10topkGatingILi8ELi8ELi4ELi16ELi32El6__halfLNS0_11ScoringFuncE1EEEvPKT5_PKbPfiPT4_PiiiibPKf
		.amdhsa_group_segment_fixed_size 0
		.amdhsa_private_segment_fixed_size 0
		.amdhsa_kernarg_size 72
		.amdhsa_user_sgpr_count 6
		.amdhsa_user_sgpr_private_segment_buffer 1
		.amdhsa_user_sgpr_dispatch_ptr 0
		.amdhsa_user_sgpr_queue_ptr 0
		.amdhsa_user_sgpr_kernarg_segment_ptr 1
		.amdhsa_user_sgpr_dispatch_id 0
		.amdhsa_user_sgpr_flat_scratch_init 0
		.amdhsa_user_sgpr_kernarg_preload_length 0
		.amdhsa_user_sgpr_kernarg_preload_offset 0
		.amdhsa_user_sgpr_private_segment_size 0
		.amdhsa_uses_dynamic_stack 0
		.amdhsa_system_sgpr_private_segment_wavefront_offset 0
		.amdhsa_system_sgpr_workgroup_id_x 1
		.amdhsa_system_sgpr_workgroup_id_y 0
		.amdhsa_system_sgpr_workgroup_id_z 0
		.amdhsa_system_sgpr_workgroup_info 0
		.amdhsa_system_vgpr_workitem_id 1
		.amdhsa_next_free_vgpr 35
		.amdhsa_next_free_sgpr 28
		.amdhsa_accum_offset 36
		.amdhsa_reserve_vcc 1
		.amdhsa_reserve_flat_scratch 0
		.amdhsa_float_round_mode_32 0
		.amdhsa_float_round_mode_16_64 0
		.amdhsa_float_denorm_mode_32 3
		.amdhsa_float_denorm_mode_16_64 3
		.amdhsa_dx10_clamp 1
		.amdhsa_ieee_mode 1
		.amdhsa_fp16_overflow 0
		.amdhsa_tg_split 0
		.amdhsa_exception_fp_ieee_invalid_op 0
		.amdhsa_exception_fp_denorm_src 0
		.amdhsa_exception_fp_ieee_div_zero 0
		.amdhsa_exception_fp_ieee_overflow 0
		.amdhsa_exception_fp_ieee_underflow 0
		.amdhsa_exception_fp_ieee_inexact 0
		.amdhsa_exception_int_div_zero 0
	.end_amdhsa_kernel
	.section	.text._ZN4vllm3moe10topkGatingILi8ELi8ELi4ELi16ELi32El6__halfLNS0_11ScoringFuncE1EEEvPKT5_PKbPfiPT4_PiiiibPKf,"axG",@progbits,_ZN4vllm3moe10topkGatingILi8ELi8ELi4ELi16ELi32El6__halfLNS0_11ScoringFuncE1EEEvPKT5_PKbPfiPT4_PiiiibPKf,comdat
.Lfunc_end297:
	.size	_ZN4vllm3moe10topkGatingILi8ELi8ELi4ELi16ELi32El6__halfLNS0_11ScoringFuncE1EEEvPKT5_PKbPfiPT4_PiiiibPKf, .Lfunc_end297-_ZN4vllm3moe10topkGatingILi8ELi8ELi4ELi16ELi32El6__halfLNS0_11ScoringFuncE1EEEvPKT5_PKbPfiPT4_PiiiibPKf
                                        ; -- End function
	.section	.AMDGPU.csdata,"",@progbits
; Kernel info:
; codeLenInByte = 2292
; NumSgprs: 32
; NumVgprs: 35
; NumAgprs: 0
; TotalNumVgprs: 35
; ScratchSize: 0
; MemoryBound: 1
; FloatMode: 240
; IeeeMode: 1
; LDSByteSize: 0 bytes/workgroup (compile time only)
; SGPRBlocks: 3
; VGPRBlocks: 4
; NumSGPRsForWavesPerEU: 32
; NumVGPRsForWavesPerEU: 35
; AccumOffset: 36
; Occupancy: 8
; WaveLimiterHint : 0
; COMPUTE_PGM_RSRC2:SCRATCH_EN: 0
; COMPUTE_PGM_RSRC2:USER_SGPR: 6
; COMPUTE_PGM_RSRC2:TRAP_HANDLER: 0
; COMPUTE_PGM_RSRC2:TGID_X_EN: 1
; COMPUTE_PGM_RSRC2:TGID_Y_EN: 0
; COMPUTE_PGM_RSRC2:TGID_Z_EN: 0
; COMPUTE_PGM_RSRC2:TIDIG_COMP_CNT: 1
; COMPUTE_PGM_RSRC3_GFX90A:ACCUM_OFFSET: 8
; COMPUTE_PGM_RSRC3_GFX90A:TG_SPLIT: 0
	.section	.text._ZN4vllm3moe10topkGatingILi8ELi16ELi4ELi16ELi64El6__halfLNS0_11ScoringFuncE1EEEvPKT5_PKbPfiPT4_PiiiibPKf,"axG",@progbits,_ZN4vllm3moe10topkGatingILi8ELi16ELi4ELi16ELi64El6__halfLNS0_11ScoringFuncE1EEEvPKT5_PKbPfiPT4_PiiiibPKf,comdat
	.protected	_ZN4vllm3moe10topkGatingILi8ELi16ELi4ELi16ELi64El6__halfLNS0_11ScoringFuncE1EEEvPKT5_PKbPfiPT4_PiiiibPKf ; -- Begin function _ZN4vllm3moe10topkGatingILi8ELi16ELi4ELi16ELi64El6__halfLNS0_11ScoringFuncE1EEEvPKT5_PKbPfiPT4_PiiiibPKf
	.globl	_ZN4vllm3moe10topkGatingILi8ELi16ELi4ELi16ELi64El6__halfLNS0_11ScoringFuncE1EEEvPKT5_PKbPfiPT4_PiiiibPKf
	.p2align	8
	.type	_ZN4vllm3moe10topkGatingILi8ELi16ELi4ELi16ELi64El6__halfLNS0_11ScoringFuncE1EEEvPKT5_PKbPfiPT4_PiiiibPKf,@function
_ZN4vllm3moe10topkGatingILi8ELi16ELi4ELi16ELi64El6__halfLNS0_11ScoringFuncE1EEEvPKT5_PKbPfiPT4_PiiiibPKf: ; @_ZN4vllm3moe10topkGatingILi8ELi16ELi4ELi16ELi64El6__halfLNS0_11ScoringFuncE1EEEvPKT5_PKbPfiPT4_PiiiibPKf
; %bb.0:
	s_load_dword s24, s[4:5], 0x18
	v_bfe_u32 v1, v0, 10, 10
	v_and_b32_e32 v0, 0x3ff, v0
	s_lshl_b32 s0, s6, 7
	v_lshlrev_b32_e32 v1, 5, v1
	v_lshrrev_b32_e32 v2, 1, v0
	v_add3_u32 v16, s0, v1, v2
	s_waitcnt lgkmcnt(0)
	v_cmp_gt_i32_e32 vcc, s24, v16
	s_and_saveexec_b64 s[0:1], vcc
	s_cbranch_execz .LBB298_30
; %bb.1:
	s_load_dwordx4 s[0:3], s[4:5], 0x0
	s_load_dwordx2 s[16:17], s[4:5], 0x10
	s_mov_b64 s[8:9], -1
	s_mov_b64 s[18:19], -1
	s_waitcnt lgkmcnt(0)
	s_cmp_eq_u64 s[2:3], 0
	s_cbranch_scc1 .LBB298_3
; %bb.2:
	v_ashrrev_i32_e32 v1, 31, v16
	v_mov_b32_e32 v3, s3
	v_add_co_u32_e32 v2, vcc, s2, v16
	v_addc_co_u32_e32 v3, vcc, v3, v1, vcc
	global_load_ubyte v1, v[2:3], off
	s_waitcnt vmcnt(0)
	v_and_b32_e32 v1, 1, v1
	v_cmp_eq_u32_e32 vcc, 1, v1
	s_xor_b64 s[2:3], vcc, -1
	s_orn2_b64 s[18:19], s[2:3], exec
.LBB298_3:
	v_lshlrev_b32_e32 v2, 4, v16
	v_ashrrev_i32_e32 v3, 31, v2
	v_lshlrev_b64 v[2:3], 1, v[2:3]
	v_mov_b32_e32 v1, s1
	v_add_co_u32_e32 v2, vcc, s0, v2
	v_and_b32_e32 v17, 1, v0
	v_addc_co_u32_e32 v1, vcc, v1, v3, vcc
	v_lshlrev_b32_e32 v0, 4, v17
	v_add_co_u32_e32 v0, vcc, v2, v0
	v_addc_co_u32_e32 v1, vcc, 0, v1, vcc
	global_load_dwordx4 v[0:3], v[0:1], off
	v_mov_b32_e32 v8, 0x207
	s_load_dwordx2 s[10:11], s[4:5], 0x40
	v_lshlrev_b32_e32 v18, 3, v17
	s_waitcnt lgkmcnt(0)
	s_cmp_eq_u64 s[10:11], 0
	s_waitcnt vmcnt(0)
	v_cvt_f32_f16_e32 v4, v0
	v_cvt_f32_f16_sdwa v0, v0 dst_sel:DWORD dst_unused:UNUSED_PAD src0_sel:WORD_1
	v_cvt_f32_f16_e32 v5, v1
	v_cvt_f32_f16_sdwa v1, v1 dst_sel:DWORD dst_unused:UNUSED_PAD src0_sel:WORD_1
	v_mul_f32_e32 v4, 0xbfb8aa3b, v4
	v_mul_f32_e32 v9, 0xbfb8aa3b, v0
	v_cvt_f32_f16_e32 v6, v2
	v_cvt_f32_f16_sdwa v2, v2 dst_sel:DWORD dst_unused:UNUSED_PAD src0_sel:WORD_1
	v_cvt_f32_f16_e32 v7, v3
	v_cvt_f32_f16_sdwa v3, v3 dst_sel:DWORD dst_unused:UNUSED_PAD src0_sel:WORD_1
	v_mul_f32_e32 v10, 0xbfb8aa3b, v1
	v_exp_f32_e32 v0, v4
	v_exp_f32_e32 v1, v9
	v_mul_f32_e32 v5, 0xbfb8aa3b, v5
	v_mul_f32_e32 v11, 0xbfb8aa3b, v2
	;; [unrolled: 1-line block ×3, first 2 shown]
	v_exp_f32_e32 v2, v5
	v_exp_f32_e32 v3, v10
	v_pk_add_f32 v[0:1], v[0:1], 1.0 op_sel_hi:[1,0]
	v_div_scale_f32 v9, s[0:1], v1, v1, 1.0
	v_rcp_f32_e32 v21, v9
	v_exp_f32_e32 v5, v11
	v_div_scale_f32 v11, s[0:1], v0, v0, 1.0
	v_pk_add_f32 v[2:3], v[2:3], 1.0 op_sel_hi:[1,0]
	v_rcp_f32_e32 v22, v11
	v_div_scale_f32 v13, s[2:3], v3, v3, 1.0
	v_rcp_f32_e32 v23, v13
	v_fma_f32 v26, -v9, v21, 1.0
	v_div_scale_f32 v10, vcc, 1.0, v1, 1.0
	v_div_scale_f32 v15, s[6:7], v2, v2, 1.0
	v_fmac_f32_e32 v21, v26, v21
	v_mul_f32_e32 v6, 0xbfb8aa3b, v6
	v_mul_f32_e32 v7, 0xbfb8aa3b, v7
	v_rcp_f32_e32 v24, v15
	v_fma_f32 v27, -v11, v22, 1.0
	v_mul_f32_e32 v26, v10, v21
	v_exp_f32_e32 v4, v6
	v_exp_f32_e32 v6, v7
	;; [unrolled: 1-line block ×3, first 2 shown]
	v_div_scale_f32 v12, s[0:1], 1.0, v0, 1.0
	v_fmac_f32_e32 v22, v27, v22
	v_fma_f32 v30, -v9, v26, v10
	v_fma_f32 v28, -v13, v23, 1.0
	v_mul_f32_e32 v27, v12, v22
	v_fmac_f32_e32 v26, v30, v21
	v_div_scale_f32 v14, s[2:3], 1.0, v3, 1.0
	v_fmac_f32_e32 v23, v28, v23
	v_fma_f32 v31, -v11, v27, v12
	v_fma_f32 v9, -v9, v26, v10
	v_fma_f32 v29, -v15, v24, 1.0
	v_mul_f32_e32 v28, v14, v23
	v_fmac_f32_e32 v27, v31, v22
	v_div_fmas_f32 v9, v9, v21, v26
	v_div_scale_f32 v19, s[6:7], 1.0, v2, 1.0
	v_fmac_f32_e32 v24, v29, v24
	v_fma_f32 v32, -v13, v28, v14
	v_fma_f32 v10, -v11, v27, v12
	v_div_fixup_f32 v1, v9, v1, 1.0
	s_mov_b64 vcc, s[0:1]
	v_pk_add_f32 v[4:5], v[4:5], 1.0 op_sel_hi:[1,0]
	v_mul_f32_e32 v29, v19, v24
	v_fmac_f32_e32 v28, v32, v23
	v_div_fmas_f32 v9, v10, v22, v27
	v_cmp_class_f32_e32 vcc, v1, v8
	v_div_scale_f32 v20, s[12:13], v5, v5, 1.0
	v_fma_f32 v33, -v15, v29, v19
	v_fma_f32 v11, -v13, v28, v14
	v_div_fixup_f32 v0, v9, v0, 1.0
	v_cndmask_b32_e64 v1, v1, 0, vcc
	s_mov_b64 vcc, s[2:3]
	v_rcp_f32_e32 v25, v20
	v_fmac_f32_e32 v29, v33, v24
	v_div_fmas_f32 v9, v11, v23, v28
	v_cmp_class_f32_e32 vcc, v0, v8
	v_fma_f32 v12, -v15, v29, v19
	v_cndmask_b32_e64 v0, v0, 0, vcc
	s_mov_b64 vcc, s[6:7]
	v_div_fixup_f32 v3, v9, v3, 1.0
	v_div_fmas_f32 v9, v12, v24, v29
	v_div_fixup_f32 v2, v9, v2, 1.0
	v_cmp_class_f32_e32 vcc, v3, v8
	v_cndmask_b32_e64 v3, v3, 0, vcc
	v_cmp_class_f32_e32 vcc, v2, v8
	v_fma_f32 v9, -v20, v25, 1.0
	v_cndmask_b32_e64 v2, v2, 0, vcc
	v_fmac_f32_e32 v25, v9, v25
	v_div_scale_f32 v9, vcc, 1.0, v5, 1.0
	v_mul_f32_e32 v10, v9, v25
	v_fma_f32 v11, -v20, v10, v9
	v_fmac_f32_e32 v10, v11, v25
	v_div_scale_f32 v11, s[0:1], v4, v4, 1.0
	v_rcp_f32_e32 v12, v11
	v_fma_f32 v9, -v20, v10, v9
	v_div_fmas_f32 v9, v9, v25, v10
	v_div_fixup_f32 v5, v9, v5, 1.0
	v_fma_f32 v9, -v11, v12, 1.0
	v_fmac_f32_e32 v12, v9, v12
	v_div_scale_f32 v9, vcc, 1.0, v4, 1.0
	v_mul_f32_e32 v10, v9, v12
	v_fma_f32 v13, -v11, v10, v9
	v_fmac_f32_e32 v10, v13, v12
	v_fma_f32 v9, -v11, v10, v9
	v_div_fmas_f32 v9, v9, v12, v10
	v_pk_add_f32 v[6:7], v[6:7], 1.0 op_sel_hi:[1,0]
	v_div_fixup_f32 v4, v9, v4, 1.0
	v_div_scale_f32 v9, s[0:1], v7, v7, 1.0
	v_rcp_f32_e32 v10, v9
	v_cmp_class_f32_e32 vcc, v5, v8
	v_cndmask_b32_e64 v5, v5, 0, vcc
	v_cmp_class_f32_e32 vcc, v4, v8
	v_fma_f32 v11, -v9, v10, 1.0
	v_cndmask_b32_e64 v4, v4, 0, vcc
	v_fmac_f32_e32 v10, v11, v10
	v_div_scale_f32 v11, vcc, 1.0, v7, 1.0
	v_mul_f32_e32 v12, v11, v10
	v_fma_f32 v13, -v9, v12, v11
	v_fmac_f32_e32 v12, v13, v10
	v_fma_f32 v9, -v9, v12, v11
	v_div_scale_f32 v11, s[0:1], v6, v6, 1.0
	v_rcp_f32_e32 v13, v11
	v_div_fmas_f32 v9, v9, v10, v12
	v_div_fixup_f32 v7, v9, v7, 1.0
	v_fma_f32 v9, -v11, v13, 1.0
	v_fmac_f32_e32 v13, v9, v13
	v_div_scale_f32 v9, vcc, 1.0, v6, 1.0
	v_mul_f32_e32 v10, v9, v13
	v_fma_f32 v12, -v11, v10, v9
	v_fmac_f32_e32 v10, v12, v13
	v_fma_f32 v9, -v11, v10, v9
	v_div_fmas_f32 v9, v9, v13, v10
	v_div_fixup_f32 v6, v9, v6, 1.0
	v_cmp_class_f32_e32 vcc, v7, v8
	v_cndmask_b32_e64 v7, v7, 0, vcc
	v_cmp_class_f32_e32 vcc, v6, v8
	v_cndmask_b32_e64 v6, v6, 0, vcc
	s_cbranch_scc1 .LBB298_19
; %bb.4:
	v_lshlrev_b32_e32 v19, 2, v18
	global_load_dwordx4 v[8:11], v19, s[10:11]
	global_load_dwordx4 v[12:15], v19, s[10:11] offset:16
	s_waitcnt vmcnt(1)
	v_pk_add_f32 v[8:9], v[8:9], v[0:1]
	v_pk_add_f32 v[10:11], v[10:11], v[2:3]
	s_waitcnt vmcnt(0)
	v_pk_add_f32 v[12:13], v[12:13], v[4:5]
	v_pk_add_f32 v[14:15], v[14:15], v[6:7]
	s_cbranch_execnz .LBB298_6
.LBB298_5:
	v_pk_mov_b32 v[14:15], v[6:7], v[6:7] op_sel:[0,1]
	v_pk_mov_b32 v[12:13], v[4:5], v[4:5] op_sel:[0,1]
	;; [unrolled: 1-line block ×4, first 2 shown]
.LBB298_6:
	s_load_dwordx4 s[8:11], s[4:5], 0x30
	s_mov_b32 s25, 0
	v_cmp_eq_u32_e64 s[0:1], 0, v17
	s_waitcnt lgkmcnt(0)
	s_bitcmp1_b32 s11, 0
	s_cselect_b64 vcc, -1, 0
	s_cmp_gt_i32 s8, 0
	s_cselect_b64 s[6:7], -1, 0
	s_cmp_lt_i32 s8, 1
	s_cbranch_scc1 .LBB298_20
; %bb.7:
	v_mbcnt_lo_u32_b32 v19, -1, 0
	v_mbcnt_hi_u32_b32 v19, -1, v19
	s_load_dwordx4 s[12:15], s[4:5], 0x20
	v_and_b32_e32 v21, 0x7e, v19
	v_xor_b32_e32 v20, 1, v19
	v_add_u32_e32 v21, 2, v21
	v_cmp_lt_i32_e64 s[2:3], v20, v21
	v_cndmask_b32_e64 v19, v19, v20, s[2:3]
	v_lshlrev_b32_e32 v20, 2, v19
	v_mul_lo_u32 v21, v16, s8
	v_mov_b32_e32 v19, 0
	v_mov_b32_e32 v22, 0xc61c4000
	;; [unrolled: 1-line block ×3, first 2 shown]
	s_branch .LBB298_10
.LBB298_8:                              ;   in Loop: Header=BB298_10 Depth=1
	s_or_b64 exec, exec, s[4:5]
.LBB298_9:                              ;   in Loop: Header=BB298_10 Depth=1
	s_cmp_eq_u32 s8, s25
	v_add_u32_e32 v23, s24, v23
	s_cbranch_scc1 .LBB298_21
.LBB298_10:                             ; =>This Inner Loop Header: Depth=1
	v_cmp_gt_f32_e64 s[2:3], v9, v8
	v_cndmask_b32_e64 v26, v8, v9, s[2:3]
	v_cndmask_b32_e64 v24, 0, 1, s[2:3]
	v_cndmask_b32_e64 v25, v0, v1, s[2:3]
	v_cmp_gt_f32_e64 s[2:3], v10, v26
	v_cndmask_b32_e64 v26, v26, v10, s[2:3]
	v_cndmask_b32_e64 v24, v24, 2, s[2:3]
	v_cndmask_b32_e64 v25, v25, v2, s[2:3]
	;; [unrolled: 4-line block ×6, first 2 shown]
	v_cmp_gt_f32_e64 s[2:3], v15, v26
	v_cndmask_b32_e64 v24, v24, 7, s[2:3]
	v_cndmask_b32_e64 v28, v26, v15, s[2:3]
	v_or_b32_e32 v24, v18, v24
	v_cndmask_b32_e64 v25, v25, v7, s[2:3]
	ds_bpermute_b32 v29, v20, v28
	ds_bpermute_b32 v26, v20, v25
	ds_bpermute_b32 v27, v20, v24
	s_waitcnt lgkmcnt(0)
	v_cmp_lt_f32_e64 s[20:21], v28, v29
	v_cmp_nlt_f32_e64 s[2:3], v28, v29
	s_and_saveexec_b64 s[22:23], s[2:3]
	s_cbranch_execnz .LBB298_14
; %bb.11:                               ;   in Loop: Header=BB298_10 Depth=1
	s_or_b64 exec, exec, s[22:23]
	s_and_saveexec_b64 s[2:3], s[20:21]
	s_cbranch_execnz .LBB298_15
.LBB298_12:                             ;   in Loop: Header=BB298_10 Depth=1
	s_or_b64 exec, exec, s[2:3]
	s_and_saveexec_b64 s[20:21], s[0:1]
	s_cbranch_execnz .LBB298_16
.LBB298_13:                             ;   in Loop: Header=BB298_10 Depth=1
	s_or_b64 exec, exec, s[20:21]
	s_add_i32 s25, s25, 1
	s_cmp_ge_i32 s25, s8
	s_cbranch_scc1 .LBB298_9
	s_branch .LBB298_17
.LBB298_14:                             ;   in Loop: Header=BB298_10 Depth=1
	v_cmp_eq_f32_e64 s[2:3], v28, v29
	v_cmp_lt_i32_e64 s[4:5], v27, v24
	s_and_b64 s[2:3], s[2:3], s[4:5]
	s_andn2_b64 s[4:5], s[20:21], exec
	s_and_b64 s[2:3], s[2:3], exec
	s_or_b64 s[20:21], s[4:5], s[2:3]
	s_or_b64 exec, exec, s[22:23]
	s_and_saveexec_b64 s[2:3], s[20:21]
	s_cbranch_execz .LBB298_12
.LBB298_15:                             ;   in Loop: Header=BB298_10 Depth=1
	v_mov_b32_e32 v24, v27
	v_mov_b32_e32 v25, v26
	s_or_b64 exec, exec, s[2:3]
	s_and_saveexec_b64 s[20:21], s[0:1]
	s_cbranch_execz .LBB298_13
.LBB298_16:                             ;   in Loop: Header=BB298_10 Depth=1
	v_add_u32_e32 v26, s25, v21
	v_ashrrev_i32_e32 v27, 31, v26
	v_cmp_le_i32_e64 s[2:3], s9, v24
	v_cmp_gt_i32_e64 s[4:5], s10, v24
	v_lshlrev_b64 v[28:29], 2, v[26:27]
	s_and_b64 s[4:5], s[2:3], s[4:5]
	v_mov_b32_e32 v31, s17
	v_add_co_u32_e64 v30, s[2:3], s16, v28
	v_addc_co_u32_e64 v31, s[2:3], v31, v29, s[2:3]
	global_store_dword v[30:31], v25, off
	v_subrev_u32_e32 v30, s9, v24
	v_ashrrev_i32_e32 v31, 31, v30
	s_and_b64 s[2:3], s[18:19], s[4:5]
	v_lshlrev_b64 v[26:27], 3, v[26:27]
	v_cndmask_b32_e64 v31, 0, v31, s[2:3]
	v_cndmask_b32_e64 v30, 16, v30, s[2:3]
	v_mov_b32_e32 v32, s13
	v_add_co_u32_e64 v26, s[2:3], s12, v26
	v_addc_co_u32_e64 v27, s[2:3], v32, v27, s[2:3]
	global_store_dwordx2 v[26:27], v[30:31], off
	v_mov_b32_e32 v27, s15
	v_add_co_u32_e64 v26, s[2:3], s14, v28
	v_add_f32_e32 v25, v19, v25
	v_addc_co_u32_e64 v27, s[2:3], v27, v29, s[2:3]
	v_cndmask_b32_e32 v19, v19, v25, vcc
	global_store_dword v[26:27], v23, off
	s_or_b64 exec, exec, s[20:21]
	s_add_i32 s25, s25, 1
	s_cmp_ge_i32 s25, s8
	s_cbranch_scc1 .LBB298_9
.LBB298_17:                             ;   in Loop: Header=BB298_10 Depth=1
	v_ashrrev_i32_e32 v26, 31, v24
	v_lshrrev_b32_e32 v25, 29, v26
	v_add_u32_e32 v27, v24, v25
	v_ashrrev_i32_e32 v25, 3, v27
	v_lshrrev_b32_e32 v27, 31, v27
	v_add_u32_e32 v27, v25, v27
	v_and_b32_e32 v27, -2, v27
	v_sub_u32_e32 v27, v25, v27
	v_cmp_eq_u32_e64 s[2:3], v17, v27
	s_and_saveexec_b64 s[4:5], s[2:3]
	s_cbranch_execz .LBB298_8
; %bb.18:                               ;   in Loop: Header=BB298_10 Depth=1
	v_lshrrev_b32_e32 v26, 28, v26
	v_add_u32_e32 v26, v24, v26
	v_lshlrev_b32_e32 v25, 3, v25
	v_ashrrev_i32_e32 v26, 4, v26
	v_sub_u32_e32 v24, v24, v25
	v_lshl_add_u32 v24, v26, 3, v24
	v_cmp_ne_u32_e64 s[2:3], 7, v24
	v_cndmask_b32_e64 v15, v22, v15, s[2:3]
	v_cmp_ne_u32_e64 s[2:3], 6, v24
	v_cndmask_b32_e64 v14, v22, v14, s[2:3]
	;; [unrolled: 2-line block ×8, first 2 shown]
	s_branch .LBB298_8
.LBB298_19:
                                        ; implicit-def: $vgpr8_vgpr9_vgpr10_vgpr11_vgpr12_vgpr13_vgpr14_vgpr15
	s_andn2_b64 vcc, exec, s[8:9]
	s_cbranch_vccz .LBB298_5
	s_branch .LBB298_6
.LBB298_20:
	v_mov_b32_e32 v19, 0
.LBB298_21:
	v_cmp_eq_u32_e64 s[0:1], 0, v17
	s_and_b64 s[0:1], s[0:1], vcc
	s_and_b64 exec, exec, s[0:1]
	s_cbranch_execz .LBB298_30
; %bb.22:
	s_andn2_b64 vcc, exec, s[6:7]
	s_cbranch_vccnz .LBB298_30
; %bb.23:
	v_cmp_lt_f32_e32 vcc, 0, v19
	s_mov_b32 s2, 0
	v_cndmask_b32_e32 v0, 1.0, v19, vcc
	v_mul_lo_u32 v4, v16, s8
	s_cmp_eq_u32 s8, 1
	s_mov_b64 s[0:1], -1
	s_cbranch_scc1 .LBB298_27
; %bb.24:
	s_and_b32 s2, s8, 0x7ffffffe
	v_mov_b32_e32 v1, v0
	v_mov_b32_e32 v5, s17
	s_mov_b32 s3, s2
	v_mov_b32_e32 v2, v4
.LBB298_25:                             ; =>This Inner Loop Header: Depth=1
	v_ashrrev_i32_e32 v3, 31, v2
	v_lshlrev_b64 v[6:7], 2, v[2:3]
	v_add_co_u32_e32 v6, vcc, s16, v6
	v_addc_co_u32_e32 v7, vcc, v5, v7, vcc
	global_load_dwordx2 v[8:9], v[6:7], off
	s_add_i32 s3, s3, -2
	s_cmp_lg_u32 s3, 0
	v_add_u32_e32 v2, 2, v2
	s_waitcnt vmcnt(0)
	v_div_scale_f32 v3, s[0:1], v1, v1, v9
	v_div_scale_f32 v11, s[0:1], v0, v0, v8
	v_rcp_f32_e32 v12, v3
	v_rcp_f32_e32 v13, v11
	v_div_scale_f32 v10, vcc, v9, v1, v9
	v_fma_f32 v15, -v3, v12, 1.0
	v_fma_f32 v16, -v11, v13, 1.0
	v_fmac_f32_e32 v12, v15, v12
	v_div_scale_f32 v14, s[0:1], v8, v0, v8
	v_fmac_f32_e32 v13, v16, v13
	v_mul_f32_e32 v15, v10, v12
	v_mul_f32_e32 v16, v14, v13
	v_fma_f32 v17, -v3, v15, v10
	v_fma_f32 v18, -v11, v16, v14
	v_fmac_f32_e32 v15, v17, v12
	v_fmac_f32_e32 v16, v18, v13
	v_fma_f32 v3, -v3, v15, v10
	v_fma_f32 v10, -v11, v16, v14
	v_div_fmas_f32 v3, v3, v12, v15
	s_mov_b64 vcc, s[0:1]
	v_div_fixup_f32 v9, v3, v1, v9
	v_div_fmas_f32 v3, v10, v13, v16
	v_div_fixup_f32 v8, v3, v0, v8
	global_store_dwordx2 v[6:7], v[8:9], off
	s_cbranch_scc1 .LBB298_25
; %bb.26:
	s_cmp_lg_u32 s2, s8
	s_cselect_b64 s[0:1], -1, 0
.LBB298_27:
	s_and_b64 vcc, exec, s[0:1]
	s_cbranch_vccz .LBB298_30
; %bb.28:
	v_ashrrev_i32_e32 v1, 31, v4
	v_add_co_u32_e32 v2, vcc, s2, v4
	v_addc_co_u32_e32 v3, vcc, 0, v1, vcc
	v_lshlrev_b64 v[2:3], 2, v[2:3]
	v_mov_b32_e32 v1, s17
	v_add_co_u32_e32 v2, vcc, s16, v2
	s_sub_i32 s0, s8, s2
	v_addc_co_u32_e32 v3, vcc, v1, v3, vcc
.LBB298_29:                             ; =>This Inner Loop Header: Depth=1
	global_load_dword v1, v[2:3], off
	s_add_i32 s0, s0, -1
	s_cmp_lg_u32 s0, 0
	s_waitcnt vmcnt(0)
	v_div_scale_f32 v4, s[2:3], v0, v0, v1
	v_rcp_f32_e32 v5, v4
	v_div_scale_f32 v6, vcc, v1, v0, v1
	v_fma_f32 v7, -v4, v5, 1.0
	v_fmac_f32_e32 v5, v7, v5
	v_mul_f32_e32 v7, v6, v5
	v_fma_f32 v8, -v4, v7, v6
	v_fmac_f32_e32 v7, v8, v5
	v_fma_f32 v4, -v4, v7, v6
	v_div_fmas_f32 v4, v4, v5, v7
	v_div_fixup_f32 v1, v4, v0, v1
	global_store_dword v[2:3], v1, off
	v_add_co_u32_e32 v2, vcc, 4, v2
	v_addc_co_u32_e32 v3, vcc, 0, v3, vcc
	s_cbranch_scc1 .LBB298_29
.LBB298_30:
	s_endpgm
	.section	.rodata,"a",@progbits
	.p2align	6, 0x0
	.amdhsa_kernel _ZN4vllm3moe10topkGatingILi8ELi16ELi4ELi16ELi64El6__halfLNS0_11ScoringFuncE1EEEvPKT5_PKbPfiPT4_PiiiibPKf
		.amdhsa_group_segment_fixed_size 0
		.amdhsa_private_segment_fixed_size 0
		.amdhsa_kernarg_size 72
		.amdhsa_user_sgpr_count 6
		.amdhsa_user_sgpr_private_segment_buffer 1
		.amdhsa_user_sgpr_dispatch_ptr 0
		.amdhsa_user_sgpr_queue_ptr 0
		.amdhsa_user_sgpr_kernarg_segment_ptr 1
		.amdhsa_user_sgpr_dispatch_id 0
		.amdhsa_user_sgpr_flat_scratch_init 0
		.amdhsa_user_sgpr_kernarg_preload_length 0
		.amdhsa_user_sgpr_kernarg_preload_offset 0
		.amdhsa_user_sgpr_private_segment_size 0
		.amdhsa_uses_dynamic_stack 0
		.amdhsa_system_sgpr_private_segment_wavefront_offset 0
		.amdhsa_system_sgpr_workgroup_id_x 1
		.amdhsa_system_sgpr_workgroup_id_y 0
		.amdhsa_system_sgpr_workgroup_id_z 0
		.amdhsa_system_sgpr_workgroup_info 0
		.amdhsa_system_vgpr_workitem_id 1
		.amdhsa_next_free_vgpr 34
		.amdhsa_next_free_sgpr 26
		.amdhsa_accum_offset 36
		.amdhsa_reserve_vcc 1
		.amdhsa_reserve_flat_scratch 0
		.amdhsa_float_round_mode_32 0
		.amdhsa_float_round_mode_16_64 0
		.amdhsa_float_denorm_mode_32 3
		.amdhsa_float_denorm_mode_16_64 3
		.amdhsa_dx10_clamp 1
		.amdhsa_ieee_mode 1
		.amdhsa_fp16_overflow 0
		.amdhsa_tg_split 0
		.amdhsa_exception_fp_ieee_invalid_op 0
		.amdhsa_exception_fp_denorm_src 0
		.amdhsa_exception_fp_ieee_div_zero 0
		.amdhsa_exception_fp_ieee_overflow 0
		.amdhsa_exception_fp_ieee_underflow 0
		.amdhsa_exception_fp_ieee_inexact 0
		.amdhsa_exception_int_div_zero 0
	.end_amdhsa_kernel
	.section	.text._ZN4vllm3moe10topkGatingILi8ELi16ELi4ELi16ELi64El6__halfLNS0_11ScoringFuncE1EEEvPKT5_PKbPfiPT4_PiiiibPKf,"axG",@progbits,_ZN4vllm3moe10topkGatingILi8ELi16ELi4ELi16ELi64El6__halfLNS0_11ScoringFuncE1EEEvPKT5_PKbPfiPT4_PiiiibPKf,comdat
.Lfunc_end298:
	.size	_ZN4vllm3moe10topkGatingILi8ELi16ELi4ELi16ELi64El6__halfLNS0_11ScoringFuncE1EEEvPKT5_PKbPfiPT4_PiiiibPKf, .Lfunc_end298-_ZN4vllm3moe10topkGatingILi8ELi16ELi4ELi16ELi64El6__halfLNS0_11ScoringFuncE1EEEvPKT5_PKbPfiPT4_PiiiibPKf
                                        ; -- End function
	.section	.AMDGPU.csdata,"",@progbits
; Kernel info:
; codeLenInByte = 2584
; NumSgprs: 30
; NumVgprs: 34
; NumAgprs: 0
; TotalNumVgprs: 34
; ScratchSize: 0
; MemoryBound: 0
; FloatMode: 240
; IeeeMode: 1
; LDSByteSize: 0 bytes/workgroup (compile time only)
; SGPRBlocks: 3
; VGPRBlocks: 4
; NumSGPRsForWavesPerEU: 30
; NumVGPRsForWavesPerEU: 34
; AccumOffset: 36
; Occupancy: 8
; WaveLimiterHint : 0
; COMPUTE_PGM_RSRC2:SCRATCH_EN: 0
; COMPUTE_PGM_RSRC2:USER_SGPR: 6
; COMPUTE_PGM_RSRC2:TRAP_HANDLER: 0
; COMPUTE_PGM_RSRC2:TGID_X_EN: 1
; COMPUTE_PGM_RSRC2:TGID_Y_EN: 0
; COMPUTE_PGM_RSRC2:TGID_Z_EN: 0
; COMPUTE_PGM_RSRC2:TIDIG_COMP_CNT: 1
; COMPUTE_PGM_RSRC3_GFX90A:ACCUM_OFFSET: 8
; COMPUTE_PGM_RSRC3_GFX90A:TG_SPLIT: 0
	.section	.text._ZN4vllm3moe10topkGatingILi8ELi16ELi4ELi16ELi32El6__halfLNS0_11ScoringFuncE1EEEvPKT5_PKbPfiPT4_PiiiibPKf,"axG",@progbits,_ZN4vllm3moe10topkGatingILi8ELi16ELi4ELi16ELi32El6__halfLNS0_11ScoringFuncE1EEEvPKT5_PKbPfiPT4_PiiiibPKf,comdat
	.protected	_ZN4vllm3moe10topkGatingILi8ELi16ELi4ELi16ELi32El6__halfLNS0_11ScoringFuncE1EEEvPKT5_PKbPfiPT4_PiiiibPKf ; -- Begin function _ZN4vllm3moe10topkGatingILi8ELi16ELi4ELi16ELi32El6__halfLNS0_11ScoringFuncE1EEEvPKT5_PKbPfiPT4_PiiiibPKf
	.globl	_ZN4vllm3moe10topkGatingILi8ELi16ELi4ELi16ELi32El6__halfLNS0_11ScoringFuncE1EEEvPKT5_PKbPfiPT4_PiiiibPKf
	.p2align	8
	.type	_ZN4vllm3moe10topkGatingILi8ELi16ELi4ELi16ELi32El6__halfLNS0_11ScoringFuncE1EEEvPKT5_PKbPfiPT4_PiiiibPKf,@function
_ZN4vllm3moe10topkGatingILi8ELi16ELi4ELi16ELi32El6__halfLNS0_11ScoringFuncE1EEEvPKT5_PKbPfiPT4_PiiiibPKf: ; @_ZN4vllm3moe10topkGatingILi8ELi16ELi4ELi16ELi32El6__halfLNS0_11ScoringFuncE1EEEvPKT5_PKbPfiPT4_PiiiibPKf
; %bb.0:
	s_load_dword s24, s[4:5], 0x18
	v_bfe_u32 v1, v0, 10, 10
	v_and_b32_e32 v0, 0x3ff, v0
	s_lshl_b32 s0, s6, 6
	v_lshlrev_b32_e32 v1, 4, v1
	v_lshrrev_b32_e32 v2, 1, v0
	v_add3_u32 v16, s0, v1, v2
	s_waitcnt lgkmcnt(0)
	v_cmp_gt_i32_e32 vcc, s24, v16
	s_and_saveexec_b64 s[0:1], vcc
	s_cbranch_execz .LBB299_30
; %bb.1:
	s_load_dwordx4 s[0:3], s[4:5], 0x0
	s_load_dwordx2 s[16:17], s[4:5], 0x10
	s_mov_b64 s[8:9], -1
	s_mov_b64 s[18:19], -1
	s_waitcnt lgkmcnt(0)
	s_cmp_eq_u64 s[2:3], 0
	s_cbranch_scc1 .LBB299_3
; %bb.2:
	v_ashrrev_i32_e32 v1, 31, v16
	v_mov_b32_e32 v3, s3
	v_add_co_u32_e32 v2, vcc, s2, v16
	v_addc_co_u32_e32 v3, vcc, v3, v1, vcc
	global_load_ubyte v1, v[2:3], off
	s_waitcnt vmcnt(0)
	v_and_b32_e32 v1, 1, v1
	v_cmp_eq_u32_e32 vcc, 1, v1
	s_xor_b64 s[2:3], vcc, -1
	s_orn2_b64 s[18:19], s[2:3], exec
.LBB299_3:
	v_lshlrev_b32_e32 v2, 4, v16
	v_ashrrev_i32_e32 v3, 31, v2
	v_lshlrev_b64 v[2:3], 1, v[2:3]
	v_mov_b32_e32 v1, s1
	v_add_co_u32_e32 v2, vcc, s0, v2
	v_and_b32_e32 v17, 1, v0
	v_addc_co_u32_e32 v1, vcc, v1, v3, vcc
	v_lshlrev_b32_e32 v0, 4, v17
	v_add_co_u32_e32 v0, vcc, v2, v0
	v_addc_co_u32_e32 v1, vcc, 0, v1, vcc
	global_load_dwordx4 v[0:3], v[0:1], off
	v_mov_b32_e32 v8, 0x207
	s_load_dwordx2 s[10:11], s[4:5], 0x40
	v_lshlrev_b32_e32 v18, 3, v17
	s_waitcnt lgkmcnt(0)
	s_cmp_eq_u64 s[10:11], 0
	s_waitcnt vmcnt(0)
	v_cvt_f32_f16_e32 v4, v0
	v_cvt_f32_f16_sdwa v0, v0 dst_sel:DWORD dst_unused:UNUSED_PAD src0_sel:WORD_1
	v_cvt_f32_f16_e32 v5, v1
	v_cvt_f32_f16_sdwa v1, v1 dst_sel:DWORD dst_unused:UNUSED_PAD src0_sel:WORD_1
	v_mul_f32_e32 v4, 0xbfb8aa3b, v4
	v_mul_f32_e32 v9, 0xbfb8aa3b, v0
	v_cvt_f32_f16_e32 v6, v2
	v_cvt_f32_f16_sdwa v2, v2 dst_sel:DWORD dst_unused:UNUSED_PAD src0_sel:WORD_1
	v_cvt_f32_f16_e32 v7, v3
	v_cvt_f32_f16_sdwa v3, v3 dst_sel:DWORD dst_unused:UNUSED_PAD src0_sel:WORD_1
	v_mul_f32_e32 v10, 0xbfb8aa3b, v1
	v_exp_f32_e32 v0, v4
	v_exp_f32_e32 v1, v9
	v_mul_f32_e32 v5, 0xbfb8aa3b, v5
	v_mul_f32_e32 v11, 0xbfb8aa3b, v2
	;; [unrolled: 1-line block ×3, first 2 shown]
	v_exp_f32_e32 v2, v5
	v_exp_f32_e32 v3, v10
	v_pk_add_f32 v[0:1], v[0:1], 1.0 op_sel_hi:[1,0]
	v_div_scale_f32 v9, s[0:1], v1, v1, 1.0
	v_rcp_f32_e32 v21, v9
	v_exp_f32_e32 v5, v11
	v_div_scale_f32 v11, s[0:1], v0, v0, 1.0
	v_pk_add_f32 v[2:3], v[2:3], 1.0 op_sel_hi:[1,0]
	v_rcp_f32_e32 v22, v11
	v_div_scale_f32 v13, s[2:3], v3, v3, 1.0
	v_rcp_f32_e32 v23, v13
	v_fma_f32 v26, -v9, v21, 1.0
	v_div_scale_f32 v10, vcc, 1.0, v1, 1.0
	v_div_scale_f32 v15, s[6:7], v2, v2, 1.0
	v_fmac_f32_e32 v21, v26, v21
	v_mul_f32_e32 v6, 0xbfb8aa3b, v6
	v_mul_f32_e32 v7, 0xbfb8aa3b, v7
	v_rcp_f32_e32 v24, v15
	v_fma_f32 v27, -v11, v22, 1.0
	v_mul_f32_e32 v26, v10, v21
	v_exp_f32_e32 v4, v6
	v_exp_f32_e32 v6, v7
	;; [unrolled: 1-line block ×3, first 2 shown]
	v_div_scale_f32 v12, s[0:1], 1.0, v0, 1.0
	v_fmac_f32_e32 v22, v27, v22
	v_fma_f32 v30, -v9, v26, v10
	v_fma_f32 v28, -v13, v23, 1.0
	v_mul_f32_e32 v27, v12, v22
	v_fmac_f32_e32 v26, v30, v21
	v_div_scale_f32 v14, s[2:3], 1.0, v3, 1.0
	v_fmac_f32_e32 v23, v28, v23
	v_fma_f32 v31, -v11, v27, v12
	v_fma_f32 v9, -v9, v26, v10
	v_fma_f32 v29, -v15, v24, 1.0
	v_mul_f32_e32 v28, v14, v23
	v_fmac_f32_e32 v27, v31, v22
	v_div_fmas_f32 v9, v9, v21, v26
	v_div_scale_f32 v19, s[6:7], 1.0, v2, 1.0
	v_fmac_f32_e32 v24, v29, v24
	v_fma_f32 v32, -v13, v28, v14
	v_fma_f32 v10, -v11, v27, v12
	v_div_fixup_f32 v1, v9, v1, 1.0
	s_mov_b64 vcc, s[0:1]
	v_pk_add_f32 v[4:5], v[4:5], 1.0 op_sel_hi:[1,0]
	v_mul_f32_e32 v29, v19, v24
	v_fmac_f32_e32 v28, v32, v23
	v_div_fmas_f32 v9, v10, v22, v27
	v_cmp_class_f32_e32 vcc, v1, v8
	v_div_scale_f32 v20, s[12:13], v5, v5, 1.0
	v_fma_f32 v33, -v15, v29, v19
	v_fma_f32 v11, -v13, v28, v14
	v_div_fixup_f32 v0, v9, v0, 1.0
	v_cndmask_b32_e64 v1, v1, 0, vcc
	s_mov_b64 vcc, s[2:3]
	v_rcp_f32_e32 v25, v20
	v_fmac_f32_e32 v29, v33, v24
	v_div_fmas_f32 v9, v11, v23, v28
	v_cmp_class_f32_e32 vcc, v0, v8
	v_fma_f32 v12, -v15, v29, v19
	v_cndmask_b32_e64 v0, v0, 0, vcc
	s_mov_b64 vcc, s[6:7]
	v_div_fixup_f32 v3, v9, v3, 1.0
	v_div_fmas_f32 v9, v12, v24, v29
	v_div_fixup_f32 v2, v9, v2, 1.0
	v_cmp_class_f32_e32 vcc, v3, v8
	v_cndmask_b32_e64 v3, v3, 0, vcc
	v_cmp_class_f32_e32 vcc, v2, v8
	v_fma_f32 v9, -v20, v25, 1.0
	v_cndmask_b32_e64 v2, v2, 0, vcc
	v_fmac_f32_e32 v25, v9, v25
	v_div_scale_f32 v9, vcc, 1.0, v5, 1.0
	v_mul_f32_e32 v10, v9, v25
	v_fma_f32 v11, -v20, v10, v9
	v_fmac_f32_e32 v10, v11, v25
	v_div_scale_f32 v11, s[0:1], v4, v4, 1.0
	v_rcp_f32_e32 v12, v11
	v_fma_f32 v9, -v20, v10, v9
	v_div_fmas_f32 v9, v9, v25, v10
	v_div_fixup_f32 v5, v9, v5, 1.0
	v_fma_f32 v9, -v11, v12, 1.0
	v_fmac_f32_e32 v12, v9, v12
	v_div_scale_f32 v9, vcc, 1.0, v4, 1.0
	v_mul_f32_e32 v10, v9, v12
	v_fma_f32 v13, -v11, v10, v9
	v_fmac_f32_e32 v10, v13, v12
	v_fma_f32 v9, -v11, v10, v9
	v_div_fmas_f32 v9, v9, v12, v10
	v_pk_add_f32 v[6:7], v[6:7], 1.0 op_sel_hi:[1,0]
	v_div_fixup_f32 v4, v9, v4, 1.0
	v_div_scale_f32 v9, s[0:1], v7, v7, 1.0
	v_rcp_f32_e32 v10, v9
	v_cmp_class_f32_e32 vcc, v5, v8
	v_cndmask_b32_e64 v5, v5, 0, vcc
	v_cmp_class_f32_e32 vcc, v4, v8
	v_fma_f32 v11, -v9, v10, 1.0
	v_cndmask_b32_e64 v4, v4, 0, vcc
	v_fmac_f32_e32 v10, v11, v10
	v_div_scale_f32 v11, vcc, 1.0, v7, 1.0
	v_mul_f32_e32 v12, v11, v10
	v_fma_f32 v13, -v9, v12, v11
	v_fmac_f32_e32 v12, v13, v10
	v_fma_f32 v9, -v9, v12, v11
	v_div_scale_f32 v11, s[0:1], v6, v6, 1.0
	v_rcp_f32_e32 v13, v11
	v_div_fmas_f32 v9, v9, v10, v12
	v_div_fixup_f32 v7, v9, v7, 1.0
	v_fma_f32 v9, -v11, v13, 1.0
	v_fmac_f32_e32 v13, v9, v13
	v_div_scale_f32 v9, vcc, 1.0, v6, 1.0
	v_mul_f32_e32 v10, v9, v13
	v_fma_f32 v12, -v11, v10, v9
	v_fmac_f32_e32 v10, v12, v13
	v_fma_f32 v9, -v11, v10, v9
	v_div_fmas_f32 v9, v9, v13, v10
	v_div_fixup_f32 v6, v9, v6, 1.0
	v_cmp_class_f32_e32 vcc, v7, v8
	v_cndmask_b32_e64 v7, v7, 0, vcc
	v_cmp_class_f32_e32 vcc, v6, v8
	v_cndmask_b32_e64 v6, v6, 0, vcc
	s_cbranch_scc1 .LBB299_19
; %bb.4:
	v_lshlrev_b32_e32 v19, 2, v18
	global_load_dwordx4 v[8:11], v19, s[10:11]
	global_load_dwordx4 v[12:15], v19, s[10:11] offset:16
	s_waitcnt vmcnt(1)
	v_pk_add_f32 v[8:9], v[8:9], v[0:1]
	v_pk_add_f32 v[10:11], v[10:11], v[2:3]
	s_waitcnt vmcnt(0)
	v_pk_add_f32 v[12:13], v[12:13], v[4:5]
	v_pk_add_f32 v[14:15], v[14:15], v[6:7]
	s_cbranch_execnz .LBB299_6
.LBB299_5:
	v_pk_mov_b32 v[14:15], v[6:7], v[6:7] op_sel:[0,1]
	v_pk_mov_b32 v[12:13], v[4:5], v[4:5] op_sel:[0,1]
	;; [unrolled: 1-line block ×4, first 2 shown]
.LBB299_6:
	s_load_dwordx4 s[8:11], s[4:5], 0x30
	s_mov_b32 s25, 0
	v_cmp_eq_u32_e64 s[0:1], 0, v17
	s_waitcnt lgkmcnt(0)
	s_bitcmp1_b32 s11, 0
	s_cselect_b64 vcc, -1, 0
	s_cmp_gt_i32 s8, 0
	s_cselect_b64 s[6:7], -1, 0
	s_cmp_lt_i32 s8, 1
	s_cbranch_scc1 .LBB299_20
; %bb.7:
	v_mbcnt_lo_u32_b32 v19, -1, 0
	v_mbcnt_hi_u32_b32 v19, -1, v19
	s_load_dwordx4 s[12:15], s[4:5], 0x20
	v_and_b32_e32 v21, 0x7e, v19
	v_xor_b32_e32 v20, 1, v19
	v_add_u32_e32 v21, 2, v21
	v_cmp_lt_i32_e64 s[2:3], v20, v21
	v_cndmask_b32_e64 v19, v19, v20, s[2:3]
	v_lshlrev_b32_e32 v20, 2, v19
	v_mul_lo_u32 v21, v16, s8
	v_mov_b32_e32 v19, 0
	v_mov_b32_e32 v22, 0xc61c4000
	;; [unrolled: 1-line block ×3, first 2 shown]
	s_branch .LBB299_10
.LBB299_8:                              ;   in Loop: Header=BB299_10 Depth=1
	s_or_b64 exec, exec, s[4:5]
.LBB299_9:                              ;   in Loop: Header=BB299_10 Depth=1
	s_cmp_eq_u32 s8, s25
	v_add_u32_e32 v23, s24, v23
	s_cbranch_scc1 .LBB299_21
.LBB299_10:                             ; =>This Inner Loop Header: Depth=1
	v_cmp_gt_f32_e64 s[2:3], v9, v8
	v_cndmask_b32_e64 v26, v8, v9, s[2:3]
	v_cndmask_b32_e64 v24, 0, 1, s[2:3]
	v_cndmask_b32_e64 v25, v0, v1, s[2:3]
	v_cmp_gt_f32_e64 s[2:3], v10, v26
	v_cndmask_b32_e64 v26, v26, v10, s[2:3]
	v_cndmask_b32_e64 v24, v24, 2, s[2:3]
	v_cndmask_b32_e64 v25, v25, v2, s[2:3]
	;; [unrolled: 4-line block ×6, first 2 shown]
	v_cmp_gt_f32_e64 s[2:3], v15, v26
	v_cndmask_b32_e64 v24, v24, 7, s[2:3]
	v_cndmask_b32_e64 v28, v26, v15, s[2:3]
	v_or_b32_e32 v24, v18, v24
	v_cndmask_b32_e64 v25, v25, v7, s[2:3]
	ds_bpermute_b32 v29, v20, v28
	ds_bpermute_b32 v26, v20, v25
	;; [unrolled: 1-line block ×3, first 2 shown]
	s_waitcnt lgkmcnt(0)
	v_cmp_lt_f32_e64 s[20:21], v28, v29
	v_cmp_nlt_f32_e64 s[2:3], v28, v29
	s_and_saveexec_b64 s[22:23], s[2:3]
	s_cbranch_execnz .LBB299_14
; %bb.11:                               ;   in Loop: Header=BB299_10 Depth=1
	s_or_b64 exec, exec, s[22:23]
	s_and_saveexec_b64 s[2:3], s[20:21]
	s_cbranch_execnz .LBB299_15
.LBB299_12:                             ;   in Loop: Header=BB299_10 Depth=1
	s_or_b64 exec, exec, s[2:3]
	s_and_saveexec_b64 s[20:21], s[0:1]
	s_cbranch_execnz .LBB299_16
.LBB299_13:                             ;   in Loop: Header=BB299_10 Depth=1
	s_or_b64 exec, exec, s[20:21]
	s_add_i32 s25, s25, 1
	s_cmp_ge_i32 s25, s8
	s_cbranch_scc1 .LBB299_9
	s_branch .LBB299_17
.LBB299_14:                             ;   in Loop: Header=BB299_10 Depth=1
	v_cmp_eq_f32_e64 s[2:3], v28, v29
	v_cmp_lt_i32_e64 s[4:5], v27, v24
	s_and_b64 s[2:3], s[2:3], s[4:5]
	s_andn2_b64 s[4:5], s[20:21], exec
	s_and_b64 s[2:3], s[2:3], exec
	s_or_b64 s[20:21], s[4:5], s[2:3]
	s_or_b64 exec, exec, s[22:23]
	s_and_saveexec_b64 s[2:3], s[20:21]
	s_cbranch_execz .LBB299_12
.LBB299_15:                             ;   in Loop: Header=BB299_10 Depth=1
	v_mov_b32_e32 v24, v27
	v_mov_b32_e32 v25, v26
	s_or_b64 exec, exec, s[2:3]
	s_and_saveexec_b64 s[20:21], s[0:1]
	s_cbranch_execz .LBB299_13
.LBB299_16:                             ;   in Loop: Header=BB299_10 Depth=1
	v_add_u32_e32 v26, s25, v21
	v_ashrrev_i32_e32 v27, 31, v26
	v_cmp_le_i32_e64 s[2:3], s9, v24
	v_cmp_gt_i32_e64 s[4:5], s10, v24
	v_lshlrev_b64 v[28:29], 2, v[26:27]
	s_and_b64 s[4:5], s[2:3], s[4:5]
	v_mov_b32_e32 v31, s17
	v_add_co_u32_e64 v30, s[2:3], s16, v28
	v_addc_co_u32_e64 v31, s[2:3], v31, v29, s[2:3]
	global_store_dword v[30:31], v25, off
	v_subrev_u32_e32 v30, s9, v24
	v_ashrrev_i32_e32 v31, 31, v30
	s_and_b64 s[2:3], s[18:19], s[4:5]
	v_lshlrev_b64 v[26:27], 3, v[26:27]
	v_cndmask_b32_e64 v31, 0, v31, s[2:3]
	v_cndmask_b32_e64 v30, 16, v30, s[2:3]
	v_mov_b32_e32 v32, s13
	v_add_co_u32_e64 v26, s[2:3], s12, v26
	v_addc_co_u32_e64 v27, s[2:3], v32, v27, s[2:3]
	global_store_dwordx2 v[26:27], v[30:31], off
	v_mov_b32_e32 v27, s15
	v_add_co_u32_e64 v26, s[2:3], s14, v28
	v_add_f32_e32 v25, v19, v25
	v_addc_co_u32_e64 v27, s[2:3], v27, v29, s[2:3]
	v_cndmask_b32_e32 v19, v19, v25, vcc
	global_store_dword v[26:27], v23, off
	s_or_b64 exec, exec, s[20:21]
	s_add_i32 s25, s25, 1
	s_cmp_ge_i32 s25, s8
	s_cbranch_scc1 .LBB299_9
.LBB299_17:                             ;   in Loop: Header=BB299_10 Depth=1
	v_ashrrev_i32_e32 v26, 31, v24
	v_lshrrev_b32_e32 v25, 29, v26
	v_add_u32_e32 v27, v24, v25
	v_ashrrev_i32_e32 v25, 3, v27
	v_lshrrev_b32_e32 v27, 31, v27
	v_add_u32_e32 v27, v25, v27
	v_and_b32_e32 v27, -2, v27
	v_sub_u32_e32 v27, v25, v27
	v_cmp_eq_u32_e64 s[2:3], v17, v27
	s_and_saveexec_b64 s[4:5], s[2:3]
	s_cbranch_execz .LBB299_8
; %bb.18:                               ;   in Loop: Header=BB299_10 Depth=1
	v_lshrrev_b32_e32 v26, 28, v26
	v_add_u32_e32 v26, v24, v26
	v_lshlrev_b32_e32 v25, 3, v25
	v_ashrrev_i32_e32 v26, 4, v26
	v_sub_u32_e32 v24, v24, v25
	v_lshl_add_u32 v24, v26, 3, v24
	v_cmp_ne_u32_e64 s[2:3], 7, v24
	v_cndmask_b32_e64 v15, v22, v15, s[2:3]
	v_cmp_ne_u32_e64 s[2:3], 6, v24
	v_cndmask_b32_e64 v14, v22, v14, s[2:3]
	;; [unrolled: 2-line block ×8, first 2 shown]
	s_branch .LBB299_8
.LBB299_19:
                                        ; implicit-def: $vgpr8_vgpr9_vgpr10_vgpr11_vgpr12_vgpr13_vgpr14_vgpr15
	s_andn2_b64 vcc, exec, s[8:9]
	s_cbranch_vccz .LBB299_5
	s_branch .LBB299_6
.LBB299_20:
	v_mov_b32_e32 v19, 0
.LBB299_21:
	v_cmp_eq_u32_e64 s[0:1], 0, v17
	s_and_b64 s[0:1], s[0:1], vcc
	s_and_b64 exec, exec, s[0:1]
	s_cbranch_execz .LBB299_30
; %bb.22:
	s_andn2_b64 vcc, exec, s[6:7]
	s_cbranch_vccnz .LBB299_30
; %bb.23:
	v_cmp_lt_f32_e32 vcc, 0, v19
	s_mov_b32 s2, 0
	v_cndmask_b32_e32 v0, 1.0, v19, vcc
	v_mul_lo_u32 v4, v16, s8
	s_cmp_eq_u32 s8, 1
	s_mov_b64 s[0:1], -1
	s_cbranch_scc1 .LBB299_27
; %bb.24:
	s_and_b32 s2, s8, 0x7ffffffe
	v_mov_b32_e32 v1, v0
	v_mov_b32_e32 v5, s17
	s_mov_b32 s3, s2
	v_mov_b32_e32 v2, v4
.LBB299_25:                             ; =>This Inner Loop Header: Depth=1
	v_ashrrev_i32_e32 v3, 31, v2
	v_lshlrev_b64 v[6:7], 2, v[2:3]
	v_add_co_u32_e32 v6, vcc, s16, v6
	v_addc_co_u32_e32 v7, vcc, v5, v7, vcc
	global_load_dwordx2 v[8:9], v[6:7], off
	s_add_i32 s3, s3, -2
	s_cmp_lg_u32 s3, 0
	v_add_u32_e32 v2, 2, v2
	s_waitcnt vmcnt(0)
	v_div_scale_f32 v3, s[0:1], v1, v1, v9
	v_div_scale_f32 v11, s[0:1], v0, v0, v8
	v_rcp_f32_e32 v12, v3
	v_rcp_f32_e32 v13, v11
	v_div_scale_f32 v10, vcc, v9, v1, v9
	v_fma_f32 v15, -v3, v12, 1.0
	v_fma_f32 v16, -v11, v13, 1.0
	v_fmac_f32_e32 v12, v15, v12
	v_div_scale_f32 v14, s[0:1], v8, v0, v8
	v_fmac_f32_e32 v13, v16, v13
	v_mul_f32_e32 v15, v10, v12
	v_mul_f32_e32 v16, v14, v13
	v_fma_f32 v17, -v3, v15, v10
	v_fma_f32 v18, -v11, v16, v14
	v_fmac_f32_e32 v15, v17, v12
	v_fmac_f32_e32 v16, v18, v13
	v_fma_f32 v3, -v3, v15, v10
	v_fma_f32 v10, -v11, v16, v14
	v_div_fmas_f32 v3, v3, v12, v15
	s_mov_b64 vcc, s[0:1]
	v_div_fixup_f32 v9, v3, v1, v9
	v_div_fmas_f32 v3, v10, v13, v16
	v_div_fixup_f32 v8, v3, v0, v8
	global_store_dwordx2 v[6:7], v[8:9], off
	s_cbranch_scc1 .LBB299_25
; %bb.26:
	s_cmp_lg_u32 s2, s8
	s_cselect_b64 s[0:1], -1, 0
.LBB299_27:
	s_and_b64 vcc, exec, s[0:1]
	s_cbranch_vccz .LBB299_30
; %bb.28:
	v_ashrrev_i32_e32 v1, 31, v4
	v_add_co_u32_e32 v2, vcc, s2, v4
	v_addc_co_u32_e32 v3, vcc, 0, v1, vcc
	v_lshlrev_b64 v[2:3], 2, v[2:3]
	v_mov_b32_e32 v1, s17
	v_add_co_u32_e32 v2, vcc, s16, v2
	s_sub_i32 s0, s8, s2
	v_addc_co_u32_e32 v3, vcc, v1, v3, vcc
.LBB299_29:                             ; =>This Inner Loop Header: Depth=1
	global_load_dword v1, v[2:3], off
	s_add_i32 s0, s0, -1
	s_cmp_lg_u32 s0, 0
	s_waitcnt vmcnt(0)
	v_div_scale_f32 v4, s[2:3], v0, v0, v1
	v_rcp_f32_e32 v5, v4
	v_div_scale_f32 v6, vcc, v1, v0, v1
	v_fma_f32 v7, -v4, v5, 1.0
	v_fmac_f32_e32 v5, v7, v5
	v_mul_f32_e32 v7, v6, v5
	v_fma_f32 v8, -v4, v7, v6
	v_fmac_f32_e32 v7, v8, v5
	v_fma_f32 v4, -v4, v7, v6
	v_div_fmas_f32 v4, v4, v5, v7
	v_div_fixup_f32 v1, v4, v0, v1
	global_store_dword v[2:3], v1, off
	v_add_co_u32_e32 v2, vcc, 4, v2
	v_addc_co_u32_e32 v3, vcc, 0, v3, vcc
	s_cbranch_scc1 .LBB299_29
.LBB299_30:
	s_endpgm
	.section	.rodata,"a",@progbits
	.p2align	6, 0x0
	.amdhsa_kernel _ZN4vllm3moe10topkGatingILi8ELi16ELi4ELi16ELi32El6__halfLNS0_11ScoringFuncE1EEEvPKT5_PKbPfiPT4_PiiiibPKf
		.amdhsa_group_segment_fixed_size 0
		.amdhsa_private_segment_fixed_size 0
		.amdhsa_kernarg_size 72
		.amdhsa_user_sgpr_count 6
		.amdhsa_user_sgpr_private_segment_buffer 1
		.amdhsa_user_sgpr_dispatch_ptr 0
		.amdhsa_user_sgpr_queue_ptr 0
		.amdhsa_user_sgpr_kernarg_segment_ptr 1
		.amdhsa_user_sgpr_dispatch_id 0
		.amdhsa_user_sgpr_flat_scratch_init 0
		.amdhsa_user_sgpr_kernarg_preload_length 0
		.amdhsa_user_sgpr_kernarg_preload_offset 0
		.amdhsa_user_sgpr_private_segment_size 0
		.amdhsa_uses_dynamic_stack 0
		.amdhsa_system_sgpr_private_segment_wavefront_offset 0
		.amdhsa_system_sgpr_workgroup_id_x 1
		.amdhsa_system_sgpr_workgroup_id_y 0
		.amdhsa_system_sgpr_workgroup_id_z 0
		.amdhsa_system_sgpr_workgroup_info 0
		.amdhsa_system_vgpr_workitem_id 1
		.amdhsa_next_free_vgpr 34
		.amdhsa_next_free_sgpr 26
		.amdhsa_accum_offset 36
		.amdhsa_reserve_vcc 1
		.amdhsa_reserve_flat_scratch 0
		.amdhsa_float_round_mode_32 0
		.amdhsa_float_round_mode_16_64 0
		.amdhsa_float_denorm_mode_32 3
		.amdhsa_float_denorm_mode_16_64 3
		.amdhsa_dx10_clamp 1
		.amdhsa_ieee_mode 1
		.amdhsa_fp16_overflow 0
		.amdhsa_tg_split 0
		.amdhsa_exception_fp_ieee_invalid_op 0
		.amdhsa_exception_fp_denorm_src 0
		.amdhsa_exception_fp_ieee_div_zero 0
		.amdhsa_exception_fp_ieee_overflow 0
		.amdhsa_exception_fp_ieee_underflow 0
		.amdhsa_exception_fp_ieee_inexact 0
		.amdhsa_exception_int_div_zero 0
	.end_amdhsa_kernel
	.section	.text._ZN4vllm3moe10topkGatingILi8ELi16ELi4ELi16ELi32El6__halfLNS0_11ScoringFuncE1EEEvPKT5_PKbPfiPT4_PiiiibPKf,"axG",@progbits,_ZN4vllm3moe10topkGatingILi8ELi16ELi4ELi16ELi32El6__halfLNS0_11ScoringFuncE1EEEvPKT5_PKbPfiPT4_PiiiibPKf,comdat
.Lfunc_end299:
	.size	_ZN4vllm3moe10topkGatingILi8ELi16ELi4ELi16ELi32El6__halfLNS0_11ScoringFuncE1EEEvPKT5_PKbPfiPT4_PiiiibPKf, .Lfunc_end299-_ZN4vllm3moe10topkGatingILi8ELi16ELi4ELi16ELi32El6__halfLNS0_11ScoringFuncE1EEEvPKT5_PKbPfiPT4_PiiiibPKf
                                        ; -- End function
	.section	.AMDGPU.csdata,"",@progbits
; Kernel info:
; codeLenInByte = 2584
; NumSgprs: 30
; NumVgprs: 34
; NumAgprs: 0
; TotalNumVgprs: 34
; ScratchSize: 0
; MemoryBound: 0
; FloatMode: 240
; IeeeMode: 1
; LDSByteSize: 0 bytes/workgroup (compile time only)
; SGPRBlocks: 3
; VGPRBlocks: 4
; NumSGPRsForWavesPerEU: 30
; NumVGPRsForWavesPerEU: 34
; AccumOffset: 36
; Occupancy: 8
; WaveLimiterHint : 0
; COMPUTE_PGM_RSRC2:SCRATCH_EN: 0
; COMPUTE_PGM_RSRC2:USER_SGPR: 6
; COMPUTE_PGM_RSRC2:TRAP_HANDLER: 0
; COMPUTE_PGM_RSRC2:TGID_X_EN: 1
; COMPUTE_PGM_RSRC2:TGID_Y_EN: 0
; COMPUTE_PGM_RSRC2:TGID_Z_EN: 0
; COMPUTE_PGM_RSRC2:TIDIG_COMP_CNT: 1
; COMPUTE_PGM_RSRC3_GFX90A:ACCUM_OFFSET: 8
; COMPUTE_PGM_RSRC3_GFX90A:TG_SPLIT: 0
	.section	.text._ZN4vllm3moe10topkGatingILi8ELi32ELi4ELi16ELi64El6__halfLNS0_11ScoringFuncE1EEEvPKT5_PKbPfiPT4_PiiiibPKf,"axG",@progbits,_ZN4vllm3moe10topkGatingILi8ELi32ELi4ELi16ELi64El6__halfLNS0_11ScoringFuncE1EEEvPKT5_PKbPfiPT4_PiiiibPKf,comdat
	.protected	_ZN4vllm3moe10topkGatingILi8ELi32ELi4ELi16ELi64El6__halfLNS0_11ScoringFuncE1EEEvPKT5_PKbPfiPT4_PiiiibPKf ; -- Begin function _ZN4vllm3moe10topkGatingILi8ELi32ELi4ELi16ELi64El6__halfLNS0_11ScoringFuncE1EEEvPKT5_PKbPfiPT4_PiiiibPKf
	.globl	_ZN4vllm3moe10topkGatingILi8ELi32ELi4ELi16ELi64El6__halfLNS0_11ScoringFuncE1EEEvPKT5_PKbPfiPT4_PiiiibPKf
	.p2align	8
	.type	_ZN4vllm3moe10topkGatingILi8ELi32ELi4ELi16ELi64El6__halfLNS0_11ScoringFuncE1EEEvPKT5_PKbPfiPT4_PiiiibPKf,@function
_ZN4vllm3moe10topkGatingILi8ELi32ELi4ELi16ELi64El6__halfLNS0_11ScoringFuncE1EEEvPKT5_PKbPfiPT4_PiiiibPKf: ; @_ZN4vllm3moe10topkGatingILi8ELi32ELi4ELi16ELi64El6__halfLNS0_11ScoringFuncE1EEEvPKT5_PKbPfiPT4_PiiiibPKf
; %bb.0:
	s_load_dword s24, s[4:5], 0x18
	v_bfe_u32 v1, v0, 10, 10
	v_and_b32_e32 v0, 0x3ff, v0
	s_lshl_b32 s0, s6, 6
	v_lshlrev_b32_e32 v1, 4, v1
	v_lshrrev_b32_e32 v2, 2, v0
	v_add3_u32 v16, s0, v1, v2
	s_waitcnt lgkmcnt(0)
	v_cmp_gt_i32_e32 vcc, s24, v16
	s_and_saveexec_b64 s[0:1], vcc
	s_cbranch_execz .LBB300_34
; %bb.1:
	s_load_dwordx4 s[0:3], s[4:5], 0x0
	s_load_dwordx2 s[16:17], s[4:5], 0x10
	s_mov_b64 s[8:9], -1
	s_mov_b64 s[18:19], -1
	s_waitcnt lgkmcnt(0)
	s_cmp_eq_u64 s[2:3], 0
	s_cbranch_scc1 .LBB300_3
; %bb.2:
	v_ashrrev_i32_e32 v1, 31, v16
	v_mov_b32_e32 v3, s3
	v_add_co_u32_e32 v2, vcc, s2, v16
	v_addc_co_u32_e32 v3, vcc, v3, v1, vcc
	global_load_ubyte v1, v[2:3], off
	s_waitcnt vmcnt(0)
	v_and_b32_e32 v1, 1, v1
	v_cmp_eq_u32_e32 vcc, 1, v1
	s_xor_b64 s[2:3], vcc, -1
	s_orn2_b64 s[18:19], s[2:3], exec
.LBB300_3:
	v_lshlrev_b32_e32 v2, 5, v16
	v_ashrrev_i32_e32 v3, 31, v2
	v_lshlrev_b64 v[2:3], 1, v[2:3]
	v_mov_b32_e32 v1, s1
	v_add_co_u32_e32 v2, vcc, s0, v2
	v_and_b32_e32 v17, 3, v0
	v_addc_co_u32_e32 v1, vcc, v1, v3, vcc
	v_lshlrev_b32_e32 v0, 4, v17
	v_add_co_u32_e32 v0, vcc, v2, v0
	v_addc_co_u32_e32 v1, vcc, 0, v1, vcc
	global_load_dwordx4 v[0:3], v[0:1], off
	v_mov_b32_e32 v8, 0x207
	s_load_dwordx2 s[10:11], s[4:5], 0x40
	v_lshlrev_b32_e32 v18, 3, v17
	s_waitcnt lgkmcnt(0)
	s_cmp_eq_u64 s[10:11], 0
	s_waitcnt vmcnt(0)
	v_cvt_f32_f16_e32 v4, v0
	v_cvt_f32_f16_sdwa v0, v0 dst_sel:DWORD dst_unused:UNUSED_PAD src0_sel:WORD_1
	v_cvt_f32_f16_e32 v5, v1
	v_cvt_f32_f16_sdwa v1, v1 dst_sel:DWORD dst_unused:UNUSED_PAD src0_sel:WORD_1
	v_mul_f32_e32 v4, 0xbfb8aa3b, v4
	v_mul_f32_e32 v9, 0xbfb8aa3b, v0
	v_cvt_f32_f16_e32 v6, v2
	v_cvt_f32_f16_sdwa v2, v2 dst_sel:DWORD dst_unused:UNUSED_PAD src0_sel:WORD_1
	v_cvt_f32_f16_e32 v7, v3
	v_cvt_f32_f16_sdwa v3, v3 dst_sel:DWORD dst_unused:UNUSED_PAD src0_sel:WORD_1
	v_mul_f32_e32 v10, 0xbfb8aa3b, v1
	v_exp_f32_e32 v0, v4
	v_exp_f32_e32 v1, v9
	v_mul_f32_e32 v5, 0xbfb8aa3b, v5
	v_mul_f32_e32 v11, 0xbfb8aa3b, v2
	;; [unrolled: 1-line block ×3, first 2 shown]
	v_exp_f32_e32 v2, v5
	v_exp_f32_e32 v3, v10
	v_pk_add_f32 v[0:1], v[0:1], 1.0 op_sel_hi:[1,0]
	v_div_scale_f32 v9, s[0:1], v1, v1, 1.0
	v_rcp_f32_e32 v21, v9
	v_exp_f32_e32 v5, v11
	v_div_scale_f32 v11, s[0:1], v0, v0, 1.0
	v_pk_add_f32 v[2:3], v[2:3], 1.0 op_sel_hi:[1,0]
	v_rcp_f32_e32 v22, v11
	v_div_scale_f32 v13, s[2:3], v3, v3, 1.0
	v_rcp_f32_e32 v23, v13
	v_fma_f32 v26, -v9, v21, 1.0
	v_div_scale_f32 v10, vcc, 1.0, v1, 1.0
	v_div_scale_f32 v15, s[6:7], v2, v2, 1.0
	v_fmac_f32_e32 v21, v26, v21
	v_mul_f32_e32 v6, 0xbfb8aa3b, v6
	v_mul_f32_e32 v7, 0xbfb8aa3b, v7
	v_rcp_f32_e32 v24, v15
	v_fma_f32 v27, -v11, v22, 1.0
	v_mul_f32_e32 v26, v10, v21
	v_exp_f32_e32 v4, v6
	v_exp_f32_e32 v6, v7
	;; [unrolled: 1-line block ×3, first 2 shown]
	v_div_scale_f32 v12, s[0:1], 1.0, v0, 1.0
	v_fmac_f32_e32 v22, v27, v22
	v_fma_f32 v30, -v9, v26, v10
	v_fma_f32 v28, -v13, v23, 1.0
	v_mul_f32_e32 v27, v12, v22
	v_fmac_f32_e32 v26, v30, v21
	v_div_scale_f32 v14, s[2:3], 1.0, v3, 1.0
	v_fmac_f32_e32 v23, v28, v23
	v_fma_f32 v31, -v11, v27, v12
	v_fma_f32 v9, -v9, v26, v10
	v_fma_f32 v29, -v15, v24, 1.0
	v_mul_f32_e32 v28, v14, v23
	v_fmac_f32_e32 v27, v31, v22
	v_div_fmas_f32 v9, v9, v21, v26
	v_div_scale_f32 v19, s[6:7], 1.0, v2, 1.0
	v_fmac_f32_e32 v24, v29, v24
	v_fma_f32 v32, -v13, v28, v14
	v_fma_f32 v10, -v11, v27, v12
	v_div_fixup_f32 v1, v9, v1, 1.0
	s_mov_b64 vcc, s[0:1]
	v_pk_add_f32 v[4:5], v[4:5], 1.0 op_sel_hi:[1,0]
	v_mul_f32_e32 v29, v19, v24
	v_fmac_f32_e32 v28, v32, v23
	v_div_fmas_f32 v9, v10, v22, v27
	v_cmp_class_f32_e32 vcc, v1, v8
	v_div_scale_f32 v20, s[12:13], v5, v5, 1.0
	v_fma_f32 v33, -v15, v29, v19
	v_fma_f32 v11, -v13, v28, v14
	v_div_fixup_f32 v0, v9, v0, 1.0
	v_cndmask_b32_e64 v1, v1, 0, vcc
	s_mov_b64 vcc, s[2:3]
	v_rcp_f32_e32 v25, v20
	v_fmac_f32_e32 v29, v33, v24
	v_div_fmas_f32 v9, v11, v23, v28
	v_cmp_class_f32_e32 vcc, v0, v8
	v_fma_f32 v12, -v15, v29, v19
	v_cndmask_b32_e64 v0, v0, 0, vcc
	s_mov_b64 vcc, s[6:7]
	v_div_fixup_f32 v3, v9, v3, 1.0
	v_div_fmas_f32 v9, v12, v24, v29
	v_div_fixup_f32 v2, v9, v2, 1.0
	v_cmp_class_f32_e32 vcc, v3, v8
	v_cndmask_b32_e64 v3, v3, 0, vcc
	v_cmp_class_f32_e32 vcc, v2, v8
	v_fma_f32 v9, -v20, v25, 1.0
	v_cndmask_b32_e64 v2, v2, 0, vcc
	v_fmac_f32_e32 v25, v9, v25
	v_div_scale_f32 v9, vcc, 1.0, v5, 1.0
	v_mul_f32_e32 v10, v9, v25
	v_fma_f32 v11, -v20, v10, v9
	v_fmac_f32_e32 v10, v11, v25
	v_div_scale_f32 v11, s[0:1], v4, v4, 1.0
	v_rcp_f32_e32 v12, v11
	v_fma_f32 v9, -v20, v10, v9
	v_div_fmas_f32 v9, v9, v25, v10
	v_div_fixup_f32 v5, v9, v5, 1.0
	v_fma_f32 v9, -v11, v12, 1.0
	v_fmac_f32_e32 v12, v9, v12
	v_div_scale_f32 v9, vcc, 1.0, v4, 1.0
	v_mul_f32_e32 v10, v9, v12
	v_fma_f32 v13, -v11, v10, v9
	v_fmac_f32_e32 v10, v13, v12
	v_fma_f32 v9, -v11, v10, v9
	v_div_fmas_f32 v9, v9, v12, v10
	v_pk_add_f32 v[6:7], v[6:7], 1.0 op_sel_hi:[1,0]
	v_div_fixup_f32 v4, v9, v4, 1.0
	v_div_scale_f32 v9, s[0:1], v7, v7, 1.0
	v_rcp_f32_e32 v10, v9
	v_cmp_class_f32_e32 vcc, v5, v8
	v_cndmask_b32_e64 v5, v5, 0, vcc
	v_cmp_class_f32_e32 vcc, v4, v8
	v_fma_f32 v11, -v9, v10, 1.0
	v_cndmask_b32_e64 v4, v4, 0, vcc
	v_fmac_f32_e32 v10, v11, v10
	v_div_scale_f32 v11, vcc, 1.0, v7, 1.0
	v_mul_f32_e32 v12, v11, v10
	v_fma_f32 v13, -v9, v12, v11
	v_fmac_f32_e32 v12, v13, v10
	v_fma_f32 v9, -v9, v12, v11
	v_div_scale_f32 v11, s[0:1], v6, v6, 1.0
	v_rcp_f32_e32 v13, v11
	v_div_fmas_f32 v9, v9, v10, v12
	v_div_fixup_f32 v7, v9, v7, 1.0
	v_fma_f32 v9, -v11, v13, 1.0
	v_fmac_f32_e32 v13, v9, v13
	v_div_scale_f32 v9, vcc, 1.0, v6, 1.0
	v_mul_f32_e32 v10, v9, v13
	v_fma_f32 v12, -v11, v10, v9
	v_fmac_f32_e32 v10, v12, v13
	v_fma_f32 v9, -v11, v10, v9
	v_div_fmas_f32 v9, v9, v13, v10
	v_div_fixup_f32 v6, v9, v6, 1.0
	v_cmp_class_f32_e32 vcc, v7, v8
	v_cndmask_b32_e64 v7, v7, 0, vcc
	v_cmp_class_f32_e32 vcc, v6, v8
	v_cndmask_b32_e64 v6, v6, 0, vcc
	s_cbranch_scc1 .LBB300_23
; %bb.4:
	v_lshlrev_b32_e32 v19, 2, v18
	global_load_dwordx4 v[8:11], v19, s[10:11]
	global_load_dwordx4 v[12:15], v19, s[10:11] offset:16
	s_waitcnt vmcnt(1)
	v_pk_add_f32 v[8:9], v[8:9], v[0:1]
	v_pk_add_f32 v[10:11], v[10:11], v[2:3]
	s_waitcnt vmcnt(0)
	v_pk_add_f32 v[12:13], v[12:13], v[4:5]
	v_pk_add_f32 v[14:15], v[14:15], v[6:7]
	s_cbranch_execnz .LBB300_6
.LBB300_5:
	v_pk_mov_b32 v[14:15], v[6:7], v[6:7] op_sel:[0,1]
	v_pk_mov_b32 v[12:13], v[4:5], v[4:5] op_sel:[0,1]
	;; [unrolled: 1-line block ×4, first 2 shown]
.LBB300_6:
	s_load_dwordx4 s[8:11], s[4:5], 0x30
	s_mov_b32 s25, 0
	v_cmp_eq_u32_e64 s[0:1], 0, v17
	s_waitcnt lgkmcnt(0)
	s_bitcmp1_b32 s11, 0
	s_cselect_b64 vcc, -1, 0
	s_cmp_gt_i32 s8, 0
	s_cselect_b64 s[6:7], -1, 0
	s_cmp_lt_i32 s8, 1
	s_cbranch_scc1 .LBB300_24
; %bb.7:
	v_mbcnt_lo_u32_b32 v19, -1, 0
	v_mbcnt_hi_u32_b32 v19, -1, v19
	v_and_b32_e32 v20, 0x7c, v19
	s_load_dwordx4 s[12:15], s[4:5], 0x20
	v_add_u32_e32 v22, 4, v20
	v_xor_b32_e32 v21, 2, v19
	v_cmp_lt_i32_e64 s[2:3], v21, v22
	v_xor_b32_e32 v23, 1, v19
	v_cndmask_b32_e64 v21, v19, v21, s[2:3]
	v_cmp_lt_i32_e64 s[2:3], v23, v22
	v_cndmask_b32_e64 v19, v19, v23, s[2:3]
	v_mul_lo_u32 v20, v16, s8
	v_lshlrev_b32_e32 v21, 2, v21
	v_lshlrev_b32_e32 v22, 2, v19
	v_mov_b32_e32 v19, 0
	v_mov_b32_e32 v23, 0xc61c4000
	;; [unrolled: 1-line block ×3, first 2 shown]
	s_branch .LBB300_10
.LBB300_8:                              ;   in Loop: Header=BB300_10 Depth=1
	s_or_b64 exec, exec, s[4:5]
.LBB300_9:                              ;   in Loop: Header=BB300_10 Depth=1
	s_cmp_eq_u32 s8, s25
	v_add_u32_e32 v24, s24, v24
	s_cbranch_scc1 .LBB300_25
.LBB300_10:                             ; =>This Inner Loop Header: Depth=1
	v_cmp_gt_f32_e64 s[2:3], v9, v8
	v_cndmask_b32_e64 v27, v8, v9, s[2:3]
	v_cndmask_b32_e64 v25, 0, 1, s[2:3]
	v_cndmask_b32_e64 v26, v0, v1, s[2:3]
	v_cmp_gt_f32_e64 s[2:3], v10, v27
	v_cndmask_b32_e64 v27, v27, v10, s[2:3]
	v_cndmask_b32_e64 v25, v25, 2, s[2:3]
	v_cndmask_b32_e64 v26, v26, v2, s[2:3]
	v_cmp_gt_f32_e64 s[2:3], v11, v27
	v_cndmask_b32_e64 v27, v27, v11, s[2:3]
	v_cndmask_b32_e64 v25, v25, 3, s[2:3]
	v_cndmask_b32_e64 v26, v26, v3, s[2:3]
	v_cmp_gt_f32_e64 s[2:3], v12, v27
	v_cndmask_b32_e64 v27, v27, v12, s[2:3]
	v_cndmask_b32_e64 v25, v25, 4, s[2:3]
	v_cndmask_b32_e64 v26, v26, v4, s[2:3]
	v_cmp_gt_f32_e64 s[2:3], v13, v27
	v_cndmask_b32_e64 v27, v27, v13, s[2:3]
	v_cndmask_b32_e64 v25, v25, 5, s[2:3]
	v_cndmask_b32_e64 v26, v26, v5, s[2:3]
	v_cmp_gt_f32_e64 s[2:3], v14, v27
	v_cndmask_b32_e64 v27, v27, v14, s[2:3]
	v_cndmask_b32_e64 v25, v25, 6, s[2:3]
	v_cndmask_b32_e64 v26, v26, v6, s[2:3]
	v_cmp_gt_f32_e64 s[2:3], v15, v27
	v_cndmask_b32_e64 v25, v25, 7, s[2:3]
	v_cndmask_b32_e64 v27, v27, v15, s[2:3]
	v_or_b32_e32 v25, v18, v25
	v_cndmask_b32_e64 v26, v26, v7, s[2:3]
	s_waitcnt lgkmcnt(0)
	ds_bpermute_b32 v28, v21, v27
	ds_bpermute_b32 v30, v21, v26
	;; [unrolled: 1-line block ×3, first 2 shown]
	s_waitcnt lgkmcnt(0)
	v_cmp_lt_f32_e64 s[20:21], v27, v28
	v_cmp_nlt_f32_e64 s[2:3], v27, v28
	s_and_saveexec_b64 s[22:23], s[2:3]
; %bb.11:                               ;   in Loop: Header=BB300_10 Depth=1
	v_cmp_eq_f32_e64 s[2:3], v27, v28
	v_cmp_lt_i32_e64 s[4:5], v29, v25
	s_and_b64 s[2:3], s[2:3], s[4:5]
	s_andn2_b64 s[4:5], s[20:21], exec
	s_and_b64 s[2:3], s[2:3], exec
	s_or_b64 s[20:21], s[4:5], s[2:3]
; %bb.12:                               ;   in Loop: Header=BB300_10 Depth=1
	s_or_b64 exec, exec, s[22:23]
	s_and_saveexec_b64 s[2:3], s[20:21]
; %bb.13:                               ;   in Loop: Header=BB300_10 Depth=1
	v_mov_b32_e32 v26, v30
	v_mov_b32_e32 v27, v28
	;; [unrolled: 1-line block ×3, first 2 shown]
; %bb.14:                               ;   in Loop: Header=BB300_10 Depth=1
	s_or_b64 exec, exec, s[2:3]
	ds_bpermute_b32 v30, v22, v27
	ds_bpermute_b32 v28, v22, v26
	ds_bpermute_b32 v29, v22, v25
	s_waitcnt lgkmcnt(2)
	v_cmp_lt_f32_e64 s[20:21], v27, v30
	v_cmp_nlt_f32_e64 s[2:3], v27, v30
	s_and_saveexec_b64 s[22:23], s[2:3]
	s_cbranch_execnz .LBB300_18
; %bb.15:                               ;   in Loop: Header=BB300_10 Depth=1
	s_or_b64 exec, exec, s[22:23]
	s_and_saveexec_b64 s[2:3], s[20:21]
	s_cbranch_execnz .LBB300_19
.LBB300_16:                             ;   in Loop: Header=BB300_10 Depth=1
	s_or_b64 exec, exec, s[2:3]
	s_and_saveexec_b64 s[20:21], s[0:1]
	s_cbranch_execnz .LBB300_20
.LBB300_17:                             ;   in Loop: Header=BB300_10 Depth=1
	s_or_b64 exec, exec, s[20:21]
	s_add_i32 s25, s25, 1
	s_cmp_ge_i32 s25, s8
	s_cbranch_scc1 .LBB300_9
	s_branch .LBB300_21
.LBB300_18:                             ;   in Loop: Header=BB300_10 Depth=1
	v_cmp_eq_f32_e64 s[2:3], v27, v30
	s_waitcnt lgkmcnt(0)
	v_cmp_lt_i32_e64 s[4:5], v29, v25
	s_and_b64 s[2:3], s[2:3], s[4:5]
	s_andn2_b64 s[4:5], s[20:21], exec
	s_and_b64 s[2:3], s[2:3], exec
	s_or_b64 s[20:21], s[4:5], s[2:3]
	s_or_b64 exec, exec, s[22:23]
	s_and_saveexec_b64 s[2:3], s[20:21]
	s_cbranch_execz .LBB300_16
.LBB300_19:                             ;   in Loop: Header=BB300_10 Depth=1
	s_waitcnt lgkmcnt(0)
	v_mov_b32_e32 v25, v29
	v_mov_b32_e32 v26, v28
	s_or_b64 exec, exec, s[2:3]
	s_and_saveexec_b64 s[20:21], s[0:1]
	s_cbranch_execz .LBB300_17
.LBB300_20:                             ;   in Loop: Header=BB300_10 Depth=1
	s_waitcnt lgkmcnt(1)
	v_add_u32_e32 v28, s25, v20
	s_waitcnt lgkmcnt(0)
	v_ashrrev_i32_e32 v29, 31, v28
	v_cmp_le_i32_e64 s[2:3], s9, v25
	v_cmp_gt_i32_e64 s[4:5], s10, v25
	v_lshlrev_b64 v[30:31], 2, v[28:29]
	s_and_b64 s[4:5], s[2:3], s[4:5]
	v_mov_b32_e32 v27, s17
	v_add_co_u32_e64 v32, s[2:3], s16, v30
	v_addc_co_u32_e64 v33, s[2:3], v27, v31, s[2:3]
	v_subrev_u32_e32 v27, s9, v25
	global_store_dword v[32:33], v26, off
	v_ashrrev_i32_e32 v32, 31, v27
	s_and_b64 s[2:3], s[18:19], s[4:5]
	v_lshlrev_b64 v[28:29], 3, v[28:29]
	v_cndmask_b32_e64 v33, 0, v32, s[2:3]
	v_cndmask_b32_e64 v32, 32, v27, s[2:3]
	v_mov_b32_e32 v27, s13
	v_add_co_u32_e64 v28, s[2:3], s12, v28
	v_addc_co_u32_e64 v29, s[2:3], v27, v29, s[2:3]
	global_store_dwordx2 v[28:29], v[32:33], off
	v_mov_b32_e32 v27, s15
	v_add_co_u32_e64 v28, s[2:3], s14, v30
	v_add_f32_e32 v26, v19, v26
	v_addc_co_u32_e64 v29, s[2:3], v27, v31, s[2:3]
	v_cndmask_b32_e32 v19, v19, v26, vcc
	global_store_dword v[28:29], v24, off
	s_or_b64 exec, exec, s[20:21]
	s_add_i32 s25, s25, 1
	s_cmp_ge_i32 s25, s8
	s_cbranch_scc1 .LBB300_9
.LBB300_21:                             ;   in Loop: Header=BB300_10 Depth=1
	v_ashrrev_i32_e32 v27, 31, v25
	v_lshrrev_b32_e32 v26, 29, v27
	v_add_u32_e32 v26, v25, v26
	v_ashrrev_i32_e32 v26, 3, v26
	s_waitcnt lgkmcnt(1)
	v_lshrrev_b32_e32 v28, 30, v26
	v_add_u32_e32 v28, v26, v28
	v_and_b32_e32 v28, -4, v28
	v_sub_u32_e32 v28, v26, v28
	v_cmp_eq_u32_e64 s[2:3], v17, v28
	s_and_saveexec_b64 s[4:5], s[2:3]
	s_cbranch_execz .LBB300_8
; %bb.22:                               ;   in Loop: Header=BB300_10 Depth=1
	v_lshrrev_b32_e32 v27, 27, v27
	v_add_u32_e32 v27, v25, v27
	v_lshlrev_b32_e32 v26, 3, v26
	v_ashrrev_i32_e32 v27, 5, v27
	v_sub_u32_e32 v25, v25, v26
	v_lshl_add_u32 v25, v27, 3, v25
	v_cmp_ne_u32_e64 s[2:3], 7, v25
	v_cndmask_b32_e64 v15, v23, v15, s[2:3]
	v_cmp_ne_u32_e64 s[2:3], 6, v25
	v_cndmask_b32_e64 v14, v23, v14, s[2:3]
	;; [unrolled: 2-line block ×8, first 2 shown]
	s_branch .LBB300_8
.LBB300_23:
                                        ; implicit-def: $vgpr8_vgpr9_vgpr10_vgpr11_vgpr12_vgpr13_vgpr14_vgpr15
	s_andn2_b64 vcc, exec, s[8:9]
	s_cbranch_vccz .LBB300_5
	s_branch .LBB300_6
.LBB300_24:
	v_mov_b32_e32 v19, 0
.LBB300_25:
	v_cmp_eq_u32_e64 s[0:1], 0, v17
	s_and_b64 s[0:1], s[0:1], vcc
	s_and_b64 exec, exec, s[0:1]
	s_cbranch_execz .LBB300_34
; %bb.26:
	s_andn2_b64 vcc, exec, s[6:7]
	s_cbranch_vccnz .LBB300_34
; %bb.27:
	v_cmp_lt_f32_e32 vcc, 0, v19
	s_mov_b32 s2, 0
	v_cndmask_b32_e32 v0, 1.0, v19, vcc
	v_mul_lo_u32 v4, v16, s8
	s_cmp_eq_u32 s8, 1
	s_mov_b64 s[0:1], -1
	s_cbranch_scc1 .LBB300_31
; %bb.28:
	s_and_b32 s2, s8, 0x7ffffffe
	v_mov_b32_e32 v1, v0
	v_mov_b32_e32 v5, s17
	s_mov_b32 s3, s2
	v_mov_b32_e32 v2, v4
.LBB300_29:                             ; =>This Inner Loop Header: Depth=1
	v_ashrrev_i32_e32 v3, 31, v2
	v_lshlrev_b64 v[6:7], 2, v[2:3]
	v_add_co_u32_e32 v6, vcc, s16, v6
	v_addc_co_u32_e32 v7, vcc, v5, v7, vcc
	global_load_dwordx2 v[8:9], v[6:7], off
	s_add_i32 s3, s3, -2
	s_cmp_lg_u32 s3, 0
	v_add_u32_e32 v2, 2, v2
	s_waitcnt vmcnt(0)
	v_div_scale_f32 v3, s[0:1], v1, v1, v9
	v_div_scale_f32 v11, s[0:1], v0, v0, v8
	v_rcp_f32_e32 v12, v3
	v_rcp_f32_e32 v13, v11
	v_div_scale_f32 v10, vcc, v9, v1, v9
	v_fma_f32 v15, -v3, v12, 1.0
	v_fma_f32 v16, -v11, v13, 1.0
	v_fmac_f32_e32 v12, v15, v12
	v_div_scale_f32 v14, s[0:1], v8, v0, v8
	v_fmac_f32_e32 v13, v16, v13
	v_mul_f32_e32 v15, v10, v12
	v_mul_f32_e32 v16, v14, v13
	v_fma_f32 v17, -v3, v15, v10
	v_fma_f32 v18, -v11, v16, v14
	v_fmac_f32_e32 v15, v17, v12
	v_fmac_f32_e32 v16, v18, v13
	v_fma_f32 v3, -v3, v15, v10
	v_fma_f32 v10, -v11, v16, v14
	v_div_fmas_f32 v3, v3, v12, v15
	s_mov_b64 vcc, s[0:1]
	v_div_fixup_f32 v9, v3, v1, v9
	v_div_fmas_f32 v3, v10, v13, v16
	v_div_fixup_f32 v8, v3, v0, v8
	global_store_dwordx2 v[6:7], v[8:9], off
	s_cbranch_scc1 .LBB300_29
; %bb.30:
	s_cmp_lg_u32 s2, s8
	s_cselect_b64 s[0:1], -1, 0
.LBB300_31:
	s_and_b64 vcc, exec, s[0:1]
	s_cbranch_vccz .LBB300_34
; %bb.32:
	v_ashrrev_i32_e32 v1, 31, v4
	v_add_co_u32_e32 v2, vcc, s2, v4
	v_addc_co_u32_e32 v3, vcc, 0, v1, vcc
	v_lshlrev_b64 v[2:3], 2, v[2:3]
	v_mov_b32_e32 v1, s17
	v_add_co_u32_e32 v2, vcc, s16, v2
	s_sub_i32 s0, s8, s2
	v_addc_co_u32_e32 v3, vcc, v1, v3, vcc
.LBB300_33:                             ; =>This Inner Loop Header: Depth=1
	global_load_dword v1, v[2:3], off
	s_add_i32 s0, s0, -1
	s_cmp_lg_u32 s0, 0
	s_waitcnt vmcnt(0)
	v_div_scale_f32 v4, s[2:3], v0, v0, v1
	v_rcp_f32_e32 v5, v4
	v_div_scale_f32 v6, vcc, v1, v0, v1
	v_fma_f32 v7, -v4, v5, 1.0
	v_fmac_f32_e32 v5, v7, v5
	v_mul_f32_e32 v7, v6, v5
	v_fma_f32 v8, -v4, v7, v6
	v_fmac_f32_e32 v7, v8, v5
	v_fma_f32 v4, -v4, v7, v6
	v_div_fmas_f32 v4, v4, v5, v7
	v_div_fixup_f32 v1, v4, v0, v1
	global_store_dword v[2:3], v1, off
	v_add_co_u32_e32 v2, vcc, 4, v2
	v_addc_co_u32_e32 v3, vcc, 0, v3, vcc
	s_cbranch_scc1 .LBB300_33
.LBB300_34:
	s_endpgm
	.section	.rodata,"a",@progbits
	.p2align	6, 0x0
	.amdhsa_kernel _ZN4vllm3moe10topkGatingILi8ELi32ELi4ELi16ELi64El6__halfLNS0_11ScoringFuncE1EEEvPKT5_PKbPfiPT4_PiiiibPKf
		.amdhsa_group_segment_fixed_size 0
		.amdhsa_private_segment_fixed_size 0
		.amdhsa_kernarg_size 72
		.amdhsa_user_sgpr_count 6
		.amdhsa_user_sgpr_private_segment_buffer 1
		.amdhsa_user_sgpr_dispatch_ptr 0
		.amdhsa_user_sgpr_queue_ptr 0
		.amdhsa_user_sgpr_kernarg_segment_ptr 1
		.amdhsa_user_sgpr_dispatch_id 0
		.amdhsa_user_sgpr_flat_scratch_init 0
		.amdhsa_user_sgpr_kernarg_preload_length 0
		.amdhsa_user_sgpr_kernarg_preload_offset 0
		.amdhsa_user_sgpr_private_segment_size 0
		.amdhsa_uses_dynamic_stack 0
		.amdhsa_system_sgpr_private_segment_wavefront_offset 0
		.amdhsa_system_sgpr_workgroup_id_x 1
		.amdhsa_system_sgpr_workgroup_id_y 0
		.amdhsa_system_sgpr_workgroup_id_z 0
		.amdhsa_system_sgpr_workgroup_info 0
		.amdhsa_system_vgpr_workitem_id 1
		.amdhsa_next_free_vgpr 34
		.amdhsa_next_free_sgpr 26
		.amdhsa_accum_offset 36
		.amdhsa_reserve_vcc 1
		.amdhsa_reserve_flat_scratch 0
		.amdhsa_float_round_mode_32 0
		.amdhsa_float_round_mode_16_64 0
		.amdhsa_float_denorm_mode_32 3
		.amdhsa_float_denorm_mode_16_64 3
		.amdhsa_dx10_clamp 1
		.amdhsa_ieee_mode 1
		.amdhsa_fp16_overflow 0
		.amdhsa_tg_split 0
		.amdhsa_exception_fp_ieee_invalid_op 0
		.amdhsa_exception_fp_denorm_src 0
		.amdhsa_exception_fp_ieee_div_zero 0
		.amdhsa_exception_fp_ieee_overflow 0
		.amdhsa_exception_fp_ieee_underflow 0
		.amdhsa_exception_fp_ieee_inexact 0
		.amdhsa_exception_int_div_zero 0
	.end_amdhsa_kernel
	.section	.text._ZN4vllm3moe10topkGatingILi8ELi32ELi4ELi16ELi64El6__halfLNS0_11ScoringFuncE1EEEvPKT5_PKbPfiPT4_PiiiibPKf,"axG",@progbits,_ZN4vllm3moe10topkGatingILi8ELi32ELi4ELi16ELi64El6__halfLNS0_11ScoringFuncE1EEEvPKT5_PKbPfiPT4_PiiiibPKf,comdat
.Lfunc_end300:
	.size	_ZN4vllm3moe10topkGatingILi8ELi32ELi4ELi16ELi64El6__halfLNS0_11ScoringFuncE1EEEvPKT5_PKbPfiPT4_PiiiibPKf, .Lfunc_end300-_ZN4vllm3moe10topkGatingILi8ELi32ELi4ELi16ELi64El6__halfLNS0_11ScoringFuncE1EEEvPKT5_PKbPfiPT4_PiiiibPKf
                                        ; -- End function
	.section	.AMDGPU.csdata,"",@progbits
; Kernel info:
; codeLenInByte = 2736
; NumSgprs: 30
; NumVgprs: 34
; NumAgprs: 0
; TotalNumVgprs: 34
; ScratchSize: 0
; MemoryBound: 0
; FloatMode: 240
; IeeeMode: 1
; LDSByteSize: 0 bytes/workgroup (compile time only)
; SGPRBlocks: 3
; VGPRBlocks: 4
; NumSGPRsForWavesPerEU: 30
; NumVGPRsForWavesPerEU: 34
; AccumOffset: 36
; Occupancy: 8
; WaveLimiterHint : 0
; COMPUTE_PGM_RSRC2:SCRATCH_EN: 0
; COMPUTE_PGM_RSRC2:USER_SGPR: 6
; COMPUTE_PGM_RSRC2:TRAP_HANDLER: 0
; COMPUTE_PGM_RSRC2:TGID_X_EN: 1
; COMPUTE_PGM_RSRC2:TGID_Y_EN: 0
; COMPUTE_PGM_RSRC2:TGID_Z_EN: 0
; COMPUTE_PGM_RSRC2:TIDIG_COMP_CNT: 1
; COMPUTE_PGM_RSRC3_GFX90A:ACCUM_OFFSET: 8
; COMPUTE_PGM_RSRC3_GFX90A:TG_SPLIT: 0
	.section	.text._ZN4vllm3moe10topkGatingILi8ELi32ELi4ELi16ELi32El6__halfLNS0_11ScoringFuncE1EEEvPKT5_PKbPfiPT4_PiiiibPKf,"axG",@progbits,_ZN4vllm3moe10topkGatingILi8ELi32ELi4ELi16ELi32El6__halfLNS0_11ScoringFuncE1EEEvPKT5_PKbPfiPT4_PiiiibPKf,comdat
	.protected	_ZN4vllm3moe10topkGatingILi8ELi32ELi4ELi16ELi32El6__halfLNS0_11ScoringFuncE1EEEvPKT5_PKbPfiPT4_PiiiibPKf ; -- Begin function _ZN4vllm3moe10topkGatingILi8ELi32ELi4ELi16ELi32El6__halfLNS0_11ScoringFuncE1EEEvPKT5_PKbPfiPT4_PiiiibPKf
	.globl	_ZN4vllm3moe10topkGatingILi8ELi32ELi4ELi16ELi32El6__halfLNS0_11ScoringFuncE1EEEvPKT5_PKbPfiPT4_PiiiibPKf
	.p2align	8
	.type	_ZN4vllm3moe10topkGatingILi8ELi32ELi4ELi16ELi32El6__halfLNS0_11ScoringFuncE1EEEvPKT5_PKbPfiPT4_PiiiibPKf,@function
_ZN4vllm3moe10topkGatingILi8ELi32ELi4ELi16ELi32El6__halfLNS0_11ScoringFuncE1EEEvPKT5_PKbPfiPT4_PiiiibPKf: ; @_ZN4vllm3moe10topkGatingILi8ELi32ELi4ELi16ELi32El6__halfLNS0_11ScoringFuncE1EEEvPKT5_PKbPfiPT4_PiiiibPKf
; %bb.0:
	s_load_dword s24, s[4:5], 0x18
	v_bfe_u32 v1, v0, 10, 10
	v_and_b32_e32 v0, 0x3ff, v0
	s_lshl_b32 s0, s6, 5
	v_lshlrev_b32_e32 v1, 3, v1
	v_lshrrev_b32_e32 v2, 2, v0
	v_add3_u32 v16, s0, v1, v2
	s_waitcnt lgkmcnt(0)
	v_cmp_gt_i32_e32 vcc, s24, v16
	s_and_saveexec_b64 s[0:1], vcc
	s_cbranch_execz .LBB301_34
; %bb.1:
	s_load_dwordx4 s[0:3], s[4:5], 0x0
	s_load_dwordx2 s[16:17], s[4:5], 0x10
	s_mov_b64 s[8:9], -1
	s_mov_b64 s[18:19], -1
	s_waitcnt lgkmcnt(0)
	s_cmp_eq_u64 s[2:3], 0
	s_cbranch_scc1 .LBB301_3
; %bb.2:
	v_ashrrev_i32_e32 v1, 31, v16
	v_mov_b32_e32 v3, s3
	v_add_co_u32_e32 v2, vcc, s2, v16
	v_addc_co_u32_e32 v3, vcc, v3, v1, vcc
	global_load_ubyte v1, v[2:3], off
	s_waitcnt vmcnt(0)
	v_and_b32_e32 v1, 1, v1
	v_cmp_eq_u32_e32 vcc, 1, v1
	s_xor_b64 s[2:3], vcc, -1
	s_orn2_b64 s[18:19], s[2:3], exec
.LBB301_3:
	v_lshlrev_b32_e32 v2, 5, v16
	v_ashrrev_i32_e32 v3, 31, v2
	v_lshlrev_b64 v[2:3], 1, v[2:3]
	v_mov_b32_e32 v1, s1
	v_add_co_u32_e32 v2, vcc, s0, v2
	v_and_b32_e32 v17, 3, v0
	v_addc_co_u32_e32 v1, vcc, v1, v3, vcc
	v_lshlrev_b32_e32 v0, 4, v17
	v_add_co_u32_e32 v0, vcc, v2, v0
	v_addc_co_u32_e32 v1, vcc, 0, v1, vcc
	global_load_dwordx4 v[0:3], v[0:1], off
	v_mov_b32_e32 v8, 0x207
	s_load_dwordx2 s[10:11], s[4:5], 0x40
	v_lshlrev_b32_e32 v18, 3, v17
	s_waitcnt lgkmcnt(0)
	s_cmp_eq_u64 s[10:11], 0
	s_waitcnt vmcnt(0)
	v_cvt_f32_f16_e32 v4, v0
	v_cvt_f32_f16_sdwa v0, v0 dst_sel:DWORD dst_unused:UNUSED_PAD src0_sel:WORD_1
	v_cvt_f32_f16_e32 v5, v1
	v_cvt_f32_f16_sdwa v1, v1 dst_sel:DWORD dst_unused:UNUSED_PAD src0_sel:WORD_1
	v_mul_f32_e32 v4, 0xbfb8aa3b, v4
	v_mul_f32_e32 v9, 0xbfb8aa3b, v0
	v_cvt_f32_f16_e32 v6, v2
	v_cvt_f32_f16_sdwa v2, v2 dst_sel:DWORD dst_unused:UNUSED_PAD src0_sel:WORD_1
	v_cvt_f32_f16_e32 v7, v3
	v_cvt_f32_f16_sdwa v3, v3 dst_sel:DWORD dst_unused:UNUSED_PAD src0_sel:WORD_1
	v_mul_f32_e32 v10, 0xbfb8aa3b, v1
	v_exp_f32_e32 v0, v4
	v_exp_f32_e32 v1, v9
	v_mul_f32_e32 v5, 0xbfb8aa3b, v5
	v_mul_f32_e32 v11, 0xbfb8aa3b, v2
	v_mul_f32_e32 v12, 0xbfb8aa3b, v3
	v_exp_f32_e32 v2, v5
	v_exp_f32_e32 v3, v10
	v_pk_add_f32 v[0:1], v[0:1], 1.0 op_sel_hi:[1,0]
	v_div_scale_f32 v9, s[0:1], v1, v1, 1.0
	v_rcp_f32_e32 v21, v9
	v_exp_f32_e32 v5, v11
	v_div_scale_f32 v11, s[0:1], v0, v0, 1.0
	v_pk_add_f32 v[2:3], v[2:3], 1.0 op_sel_hi:[1,0]
	v_rcp_f32_e32 v22, v11
	v_div_scale_f32 v13, s[2:3], v3, v3, 1.0
	v_rcp_f32_e32 v23, v13
	v_fma_f32 v26, -v9, v21, 1.0
	v_div_scale_f32 v10, vcc, 1.0, v1, 1.0
	v_div_scale_f32 v15, s[6:7], v2, v2, 1.0
	v_fmac_f32_e32 v21, v26, v21
	v_mul_f32_e32 v6, 0xbfb8aa3b, v6
	v_mul_f32_e32 v7, 0xbfb8aa3b, v7
	v_rcp_f32_e32 v24, v15
	v_fma_f32 v27, -v11, v22, 1.0
	v_mul_f32_e32 v26, v10, v21
	v_exp_f32_e32 v4, v6
	v_exp_f32_e32 v6, v7
	;; [unrolled: 1-line block ×3, first 2 shown]
	v_div_scale_f32 v12, s[0:1], 1.0, v0, 1.0
	v_fmac_f32_e32 v22, v27, v22
	v_fma_f32 v30, -v9, v26, v10
	v_fma_f32 v28, -v13, v23, 1.0
	v_mul_f32_e32 v27, v12, v22
	v_fmac_f32_e32 v26, v30, v21
	v_div_scale_f32 v14, s[2:3], 1.0, v3, 1.0
	v_fmac_f32_e32 v23, v28, v23
	v_fma_f32 v31, -v11, v27, v12
	v_fma_f32 v9, -v9, v26, v10
	v_fma_f32 v29, -v15, v24, 1.0
	v_mul_f32_e32 v28, v14, v23
	v_fmac_f32_e32 v27, v31, v22
	v_div_fmas_f32 v9, v9, v21, v26
	v_div_scale_f32 v19, s[6:7], 1.0, v2, 1.0
	v_fmac_f32_e32 v24, v29, v24
	v_fma_f32 v32, -v13, v28, v14
	v_fma_f32 v10, -v11, v27, v12
	v_div_fixup_f32 v1, v9, v1, 1.0
	s_mov_b64 vcc, s[0:1]
	v_pk_add_f32 v[4:5], v[4:5], 1.0 op_sel_hi:[1,0]
	v_mul_f32_e32 v29, v19, v24
	v_fmac_f32_e32 v28, v32, v23
	v_div_fmas_f32 v9, v10, v22, v27
	v_cmp_class_f32_e32 vcc, v1, v8
	v_div_scale_f32 v20, s[12:13], v5, v5, 1.0
	v_fma_f32 v33, -v15, v29, v19
	v_fma_f32 v11, -v13, v28, v14
	v_div_fixup_f32 v0, v9, v0, 1.0
	v_cndmask_b32_e64 v1, v1, 0, vcc
	s_mov_b64 vcc, s[2:3]
	v_rcp_f32_e32 v25, v20
	v_fmac_f32_e32 v29, v33, v24
	v_div_fmas_f32 v9, v11, v23, v28
	v_cmp_class_f32_e32 vcc, v0, v8
	v_fma_f32 v12, -v15, v29, v19
	v_cndmask_b32_e64 v0, v0, 0, vcc
	s_mov_b64 vcc, s[6:7]
	v_div_fixup_f32 v3, v9, v3, 1.0
	v_div_fmas_f32 v9, v12, v24, v29
	v_div_fixup_f32 v2, v9, v2, 1.0
	v_cmp_class_f32_e32 vcc, v3, v8
	v_cndmask_b32_e64 v3, v3, 0, vcc
	v_cmp_class_f32_e32 vcc, v2, v8
	v_fma_f32 v9, -v20, v25, 1.0
	v_cndmask_b32_e64 v2, v2, 0, vcc
	v_fmac_f32_e32 v25, v9, v25
	v_div_scale_f32 v9, vcc, 1.0, v5, 1.0
	v_mul_f32_e32 v10, v9, v25
	v_fma_f32 v11, -v20, v10, v9
	v_fmac_f32_e32 v10, v11, v25
	v_div_scale_f32 v11, s[0:1], v4, v4, 1.0
	v_rcp_f32_e32 v12, v11
	v_fma_f32 v9, -v20, v10, v9
	v_div_fmas_f32 v9, v9, v25, v10
	v_div_fixup_f32 v5, v9, v5, 1.0
	v_fma_f32 v9, -v11, v12, 1.0
	v_fmac_f32_e32 v12, v9, v12
	v_div_scale_f32 v9, vcc, 1.0, v4, 1.0
	v_mul_f32_e32 v10, v9, v12
	v_fma_f32 v13, -v11, v10, v9
	v_fmac_f32_e32 v10, v13, v12
	v_fma_f32 v9, -v11, v10, v9
	v_div_fmas_f32 v9, v9, v12, v10
	v_pk_add_f32 v[6:7], v[6:7], 1.0 op_sel_hi:[1,0]
	v_div_fixup_f32 v4, v9, v4, 1.0
	v_div_scale_f32 v9, s[0:1], v7, v7, 1.0
	v_rcp_f32_e32 v10, v9
	v_cmp_class_f32_e32 vcc, v5, v8
	v_cndmask_b32_e64 v5, v5, 0, vcc
	v_cmp_class_f32_e32 vcc, v4, v8
	v_fma_f32 v11, -v9, v10, 1.0
	v_cndmask_b32_e64 v4, v4, 0, vcc
	v_fmac_f32_e32 v10, v11, v10
	v_div_scale_f32 v11, vcc, 1.0, v7, 1.0
	v_mul_f32_e32 v12, v11, v10
	v_fma_f32 v13, -v9, v12, v11
	v_fmac_f32_e32 v12, v13, v10
	v_fma_f32 v9, -v9, v12, v11
	v_div_scale_f32 v11, s[0:1], v6, v6, 1.0
	v_rcp_f32_e32 v13, v11
	v_div_fmas_f32 v9, v9, v10, v12
	v_div_fixup_f32 v7, v9, v7, 1.0
	v_fma_f32 v9, -v11, v13, 1.0
	v_fmac_f32_e32 v13, v9, v13
	v_div_scale_f32 v9, vcc, 1.0, v6, 1.0
	v_mul_f32_e32 v10, v9, v13
	v_fma_f32 v12, -v11, v10, v9
	v_fmac_f32_e32 v10, v12, v13
	v_fma_f32 v9, -v11, v10, v9
	v_div_fmas_f32 v9, v9, v13, v10
	v_div_fixup_f32 v6, v9, v6, 1.0
	v_cmp_class_f32_e32 vcc, v7, v8
	v_cndmask_b32_e64 v7, v7, 0, vcc
	v_cmp_class_f32_e32 vcc, v6, v8
	v_cndmask_b32_e64 v6, v6, 0, vcc
	s_cbranch_scc1 .LBB301_23
; %bb.4:
	v_lshlrev_b32_e32 v19, 2, v18
	global_load_dwordx4 v[8:11], v19, s[10:11]
	global_load_dwordx4 v[12:15], v19, s[10:11] offset:16
	s_waitcnt vmcnt(1)
	v_pk_add_f32 v[8:9], v[8:9], v[0:1]
	v_pk_add_f32 v[10:11], v[10:11], v[2:3]
	s_waitcnt vmcnt(0)
	v_pk_add_f32 v[12:13], v[12:13], v[4:5]
	v_pk_add_f32 v[14:15], v[14:15], v[6:7]
	s_cbranch_execnz .LBB301_6
.LBB301_5:
	v_pk_mov_b32 v[14:15], v[6:7], v[6:7] op_sel:[0,1]
	v_pk_mov_b32 v[12:13], v[4:5], v[4:5] op_sel:[0,1]
	;; [unrolled: 1-line block ×4, first 2 shown]
.LBB301_6:
	s_load_dwordx4 s[8:11], s[4:5], 0x30
	s_mov_b32 s25, 0
	v_cmp_eq_u32_e64 s[0:1], 0, v17
	s_waitcnt lgkmcnt(0)
	s_bitcmp1_b32 s11, 0
	s_cselect_b64 vcc, -1, 0
	s_cmp_gt_i32 s8, 0
	s_cselect_b64 s[6:7], -1, 0
	s_cmp_lt_i32 s8, 1
	s_cbranch_scc1 .LBB301_24
; %bb.7:
	v_mbcnt_lo_u32_b32 v19, -1, 0
	v_mbcnt_hi_u32_b32 v19, -1, v19
	v_and_b32_e32 v20, 0x7c, v19
	s_load_dwordx4 s[12:15], s[4:5], 0x20
	v_add_u32_e32 v22, 4, v20
	v_xor_b32_e32 v21, 2, v19
	v_cmp_lt_i32_e64 s[2:3], v21, v22
	v_xor_b32_e32 v23, 1, v19
	v_cndmask_b32_e64 v21, v19, v21, s[2:3]
	v_cmp_lt_i32_e64 s[2:3], v23, v22
	v_cndmask_b32_e64 v19, v19, v23, s[2:3]
	v_mul_lo_u32 v20, v16, s8
	v_lshlrev_b32_e32 v21, 2, v21
	v_lshlrev_b32_e32 v22, 2, v19
	v_mov_b32_e32 v19, 0
	v_mov_b32_e32 v23, 0xc61c4000
	;; [unrolled: 1-line block ×3, first 2 shown]
	s_branch .LBB301_10
.LBB301_8:                              ;   in Loop: Header=BB301_10 Depth=1
	s_or_b64 exec, exec, s[4:5]
.LBB301_9:                              ;   in Loop: Header=BB301_10 Depth=1
	s_cmp_eq_u32 s8, s25
	v_add_u32_e32 v24, s24, v24
	s_cbranch_scc1 .LBB301_25
.LBB301_10:                             ; =>This Inner Loop Header: Depth=1
	v_cmp_gt_f32_e64 s[2:3], v9, v8
	v_cndmask_b32_e64 v27, v8, v9, s[2:3]
	v_cndmask_b32_e64 v25, 0, 1, s[2:3]
	v_cndmask_b32_e64 v26, v0, v1, s[2:3]
	v_cmp_gt_f32_e64 s[2:3], v10, v27
	v_cndmask_b32_e64 v27, v27, v10, s[2:3]
	v_cndmask_b32_e64 v25, v25, 2, s[2:3]
	v_cndmask_b32_e64 v26, v26, v2, s[2:3]
	;; [unrolled: 4-line block ×6, first 2 shown]
	v_cmp_gt_f32_e64 s[2:3], v15, v27
	v_cndmask_b32_e64 v25, v25, 7, s[2:3]
	v_cndmask_b32_e64 v27, v27, v15, s[2:3]
	v_or_b32_e32 v25, v18, v25
	v_cndmask_b32_e64 v26, v26, v7, s[2:3]
	s_waitcnt lgkmcnt(0)
	ds_bpermute_b32 v28, v21, v27
	ds_bpermute_b32 v30, v21, v26
	;; [unrolled: 1-line block ×3, first 2 shown]
	s_waitcnt lgkmcnt(0)
	v_cmp_lt_f32_e64 s[20:21], v27, v28
	v_cmp_nlt_f32_e64 s[2:3], v27, v28
	s_and_saveexec_b64 s[22:23], s[2:3]
; %bb.11:                               ;   in Loop: Header=BB301_10 Depth=1
	v_cmp_eq_f32_e64 s[2:3], v27, v28
	v_cmp_lt_i32_e64 s[4:5], v29, v25
	s_and_b64 s[2:3], s[2:3], s[4:5]
	s_andn2_b64 s[4:5], s[20:21], exec
	s_and_b64 s[2:3], s[2:3], exec
	s_or_b64 s[20:21], s[4:5], s[2:3]
; %bb.12:                               ;   in Loop: Header=BB301_10 Depth=1
	s_or_b64 exec, exec, s[22:23]
	s_and_saveexec_b64 s[2:3], s[20:21]
; %bb.13:                               ;   in Loop: Header=BB301_10 Depth=1
	v_mov_b32_e32 v26, v30
	v_mov_b32_e32 v27, v28
	;; [unrolled: 1-line block ×3, first 2 shown]
; %bb.14:                               ;   in Loop: Header=BB301_10 Depth=1
	s_or_b64 exec, exec, s[2:3]
	ds_bpermute_b32 v30, v22, v27
	ds_bpermute_b32 v28, v22, v26
	;; [unrolled: 1-line block ×3, first 2 shown]
	s_waitcnt lgkmcnt(2)
	v_cmp_lt_f32_e64 s[20:21], v27, v30
	v_cmp_nlt_f32_e64 s[2:3], v27, v30
	s_and_saveexec_b64 s[22:23], s[2:3]
	s_cbranch_execnz .LBB301_18
; %bb.15:                               ;   in Loop: Header=BB301_10 Depth=1
	s_or_b64 exec, exec, s[22:23]
	s_and_saveexec_b64 s[2:3], s[20:21]
	s_cbranch_execnz .LBB301_19
.LBB301_16:                             ;   in Loop: Header=BB301_10 Depth=1
	s_or_b64 exec, exec, s[2:3]
	s_and_saveexec_b64 s[20:21], s[0:1]
	s_cbranch_execnz .LBB301_20
.LBB301_17:                             ;   in Loop: Header=BB301_10 Depth=1
	s_or_b64 exec, exec, s[20:21]
	s_add_i32 s25, s25, 1
	s_cmp_ge_i32 s25, s8
	s_cbranch_scc1 .LBB301_9
	s_branch .LBB301_21
.LBB301_18:                             ;   in Loop: Header=BB301_10 Depth=1
	v_cmp_eq_f32_e64 s[2:3], v27, v30
	s_waitcnt lgkmcnt(0)
	v_cmp_lt_i32_e64 s[4:5], v29, v25
	s_and_b64 s[2:3], s[2:3], s[4:5]
	s_andn2_b64 s[4:5], s[20:21], exec
	s_and_b64 s[2:3], s[2:3], exec
	s_or_b64 s[20:21], s[4:5], s[2:3]
	s_or_b64 exec, exec, s[22:23]
	s_and_saveexec_b64 s[2:3], s[20:21]
	s_cbranch_execz .LBB301_16
.LBB301_19:                             ;   in Loop: Header=BB301_10 Depth=1
	s_waitcnt lgkmcnt(0)
	v_mov_b32_e32 v25, v29
	v_mov_b32_e32 v26, v28
	s_or_b64 exec, exec, s[2:3]
	s_and_saveexec_b64 s[20:21], s[0:1]
	s_cbranch_execz .LBB301_17
.LBB301_20:                             ;   in Loop: Header=BB301_10 Depth=1
	s_waitcnt lgkmcnt(1)
	v_add_u32_e32 v28, s25, v20
	s_waitcnt lgkmcnt(0)
	v_ashrrev_i32_e32 v29, 31, v28
	v_cmp_le_i32_e64 s[2:3], s9, v25
	v_cmp_gt_i32_e64 s[4:5], s10, v25
	v_lshlrev_b64 v[30:31], 2, v[28:29]
	s_and_b64 s[4:5], s[2:3], s[4:5]
	v_mov_b32_e32 v27, s17
	v_add_co_u32_e64 v32, s[2:3], s16, v30
	v_addc_co_u32_e64 v33, s[2:3], v27, v31, s[2:3]
	v_subrev_u32_e32 v27, s9, v25
	global_store_dword v[32:33], v26, off
	v_ashrrev_i32_e32 v32, 31, v27
	s_and_b64 s[2:3], s[18:19], s[4:5]
	v_lshlrev_b64 v[28:29], 3, v[28:29]
	v_cndmask_b32_e64 v33, 0, v32, s[2:3]
	v_cndmask_b32_e64 v32, 32, v27, s[2:3]
	v_mov_b32_e32 v27, s13
	v_add_co_u32_e64 v28, s[2:3], s12, v28
	v_addc_co_u32_e64 v29, s[2:3], v27, v29, s[2:3]
	global_store_dwordx2 v[28:29], v[32:33], off
	v_mov_b32_e32 v27, s15
	v_add_co_u32_e64 v28, s[2:3], s14, v30
	v_add_f32_e32 v26, v19, v26
	v_addc_co_u32_e64 v29, s[2:3], v27, v31, s[2:3]
	v_cndmask_b32_e32 v19, v19, v26, vcc
	global_store_dword v[28:29], v24, off
	s_or_b64 exec, exec, s[20:21]
	s_add_i32 s25, s25, 1
	s_cmp_ge_i32 s25, s8
	s_cbranch_scc1 .LBB301_9
.LBB301_21:                             ;   in Loop: Header=BB301_10 Depth=1
	v_ashrrev_i32_e32 v27, 31, v25
	v_lshrrev_b32_e32 v26, 29, v27
	v_add_u32_e32 v26, v25, v26
	v_ashrrev_i32_e32 v26, 3, v26
	s_waitcnt lgkmcnt(1)
	v_lshrrev_b32_e32 v28, 30, v26
	v_add_u32_e32 v28, v26, v28
	v_and_b32_e32 v28, -4, v28
	v_sub_u32_e32 v28, v26, v28
	v_cmp_eq_u32_e64 s[2:3], v17, v28
	s_and_saveexec_b64 s[4:5], s[2:3]
	s_cbranch_execz .LBB301_8
; %bb.22:                               ;   in Loop: Header=BB301_10 Depth=1
	v_lshrrev_b32_e32 v27, 27, v27
	v_add_u32_e32 v27, v25, v27
	v_lshlrev_b32_e32 v26, 3, v26
	v_ashrrev_i32_e32 v27, 5, v27
	v_sub_u32_e32 v25, v25, v26
	v_lshl_add_u32 v25, v27, 3, v25
	v_cmp_ne_u32_e64 s[2:3], 7, v25
	v_cndmask_b32_e64 v15, v23, v15, s[2:3]
	v_cmp_ne_u32_e64 s[2:3], 6, v25
	v_cndmask_b32_e64 v14, v23, v14, s[2:3]
	v_cmp_ne_u32_e64 s[2:3], 5, v25
	v_cndmask_b32_e64 v13, v23, v13, s[2:3]
	v_cmp_ne_u32_e64 s[2:3], 4, v25
	v_cndmask_b32_e64 v12, v23, v12, s[2:3]
	v_cmp_ne_u32_e64 s[2:3], 3, v25
	v_cndmask_b32_e64 v11, v23, v11, s[2:3]
	v_cmp_ne_u32_e64 s[2:3], 2, v25
	v_cndmask_b32_e64 v10, v23, v10, s[2:3]
	v_cmp_ne_u32_e64 s[2:3], 1, v25
	v_cndmask_b32_e64 v9, v23, v9, s[2:3]
	v_cmp_ne_u32_e64 s[2:3], 0, v25
	v_cndmask_b32_e64 v8, v23, v8, s[2:3]
	s_branch .LBB301_8
.LBB301_23:
                                        ; implicit-def: $vgpr8_vgpr9_vgpr10_vgpr11_vgpr12_vgpr13_vgpr14_vgpr15
	s_andn2_b64 vcc, exec, s[8:9]
	s_cbranch_vccz .LBB301_5
	s_branch .LBB301_6
.LBB301_24:
	v_mov_b32_e32 v19, 0
.LBB301_25:
	v_cmp_eq_u32_e64 s[0:1], 0, v17
	s_and_b64 s[0:1], s[0:1], vcc
	s_and_b64 exec, exec, s[0:1]
	s_cbranch_execz .LBB301_34
; %bb.26:
	s_andn2_b64 vcc, exec, s[6:7]
	s_cbranch_vccnz .LBB301_34
; %bb.27:
	v_cmp_lt_f32_e32 vcc, 0, v19
	s_mov_b32 s2, 0
	v_cndmask_b32_e32 v0, 1.0, v19, vcc
	v_mul_lo_u32 v4, v16, s8
	s_cmp_eq_u32 s8, 1
	s_mov_b64 s[0:1], -1
	s_cbranch_scc1 .LBB301_31
; %bb.28:
	s_and_b32 s2, s8, 0x7ffffffe
	v_mov_b32_e32 v1, v0
	v_mov_b32_e32 v5, s17
	s_mov_b32 s3, s2
	v_mov_b32_e32 v2, v4
.LBB301_29:                             ; =>This Inner Loop Header: Depth=1
	v_ashrrev_i32_e32 v3, 31, v2
	v_lshlrev_b64 v[6:7], 2, v[2:3]
	v_add_co_u32_e32 v6, vcc, s16, v6
	v_addc_co_u32_e32 v7, vcc, v5, v7, vcc
	global_load_dwordx2 v[8:9], v[6:7], off
	s_add_i32 s3, s3, -2
	s_cmp_lg_u32 s3, 0
	v_add_u32_e32 v2, 2, v2
	s_waitcnt vmcnt(0)
	v_div_scale_f32 v3, s[0:1], v1, v1, v9
	v_div_scale_f32 v11, s[0:1], v0, v0, v8
	v_rcp_f32_e32 v12, v3
	v_rcp_f32_e32 v13, v11
	v_div_scale_f32 v10, vcc, v9, v1, v9
	v_fma_f32 v15, -v3, v12, 1.0
	v_fma_f32 v16, -v11, v13, 1.0
	v_fmac_f32_e32 v12, v15, v12
	v_div_scale_f32 v14, s[0:1], v8, v0, v8
	v_fmac_f32_e32 v13, v16, v13
	v_mul_f32_e32 v15, v10, v12
	v_mul_f32_e32 v16, v14, v13
	v_fma_f32 v17, -v3, v15, v10
	v_fma_f32 v18, -v11, v16, v14
	v_fmac_f32_e32 v15, v17, v12
	v_fmac_f32_e32 v16, v18, v13
	v_fma_f32 v3, -v3, v15, v10
	v_fma_f32 v10, -v11, v16, v14
	v_div_fmas_f32 v3, v3, v12, v15
	s_mov_b64 vcc, s[0:1]
	v_div_fixup_f32 v9, v3, v1, v9
	v_div_fmas_f32 v3, v10, v13, v16
	v_div_fixup_f32 v8, v3, v0, v8
	global_store_dwordx2 v[6:7], v[8:9], off
	s_cbranch_scc1 .LBB301_29
; %bb.30:
	s_cmp_lg_u32 s2, s8
	s_cselect_b64 s[0:1], -1, 0
.LBB301_31:
	s_and_b64 vcc, exec, s[0:1]
	s_cbranch_vccz .LBB301_34
; %bb.32:
	v_ashrrev_i32_e32 v1, 31, v4
	v_add_co_u32_e32 v2, vcc, s2, v4
	v_addc_co_u32_e32 v3, vcc, 0, v1, vcc
	v_lshlrev_b64 v[2:3], 2, v[2:3]
	v_mov_b32_e32 v1, s17
	v_add_co_u32_e32 v2, vcc, s16, v2
	s_sub_i32 s0, s8, s2
	v_addc_co_u32_e32 v3, vcc, v1, v3, vcc
.LBB301_33:                             ; =>This Inner Loop Header: Depth=1
	global_load_dword v1, v[2:3], off
	s_add_i32 s0, s0, -1
	s_cmp_lg_u32 s0, 0
	s_waitcnt vmcnt(0)
	v_div_scale_f32 v4, s[2:3], v0, v0, v1
	v_rcp_f32_e32 v5, v4
	v_div_scale_f32 v6, vcc, v1, v0, v1
	v_fma_f32 v7, -v4, v5, 1.0
	v_fmac_f32_e32 v5, v7, v5
	v_mul_f32_e32 v7, v6, v5
	v_fma_f32 v8, -v4, v7, v6
	v_fmac_f32_e32 v7, v8, v5
	v_fma_f32 v4, -v4, v7, v6
	v_div_fmas_f32 v4, v4, v5, v7
	v_div_fixup_f32 v1, v4, v0, v1
	global_store_dword v[2:3], v1, off
	v_add_co_u32_e32 v2, vcc, 4, v2
	v_addc_co_u32_e32 v3, vcc, 0, v3, vcc
	s_cbranch_scc1 .LBB301_33
.LBB301_34:
	s_endpgm
	.section	.rodata,"a",@progbits
	.p2align	6, 0x0
	.amdhsa_kernel _ZN4vllm3moe10topkGatingILi8ELi32ELi4ELi16ELi32El6__halfLNS0_11ScoringFuncE1EEEvPKT5_PKbPfiPT4_PiiiibPKf
		.amdhsa_group_segment_fixed_size 0
		.amdhsa_private_segment_fixed_size 0
		.amdhsa_kernarg_size 72
		.amdhsa_user_sgpr_count 6
		.amdhsa_user_sgpr_private_segment_buffer 1
		.amdhsa_user_sgpr_dispatch_ptr 0
		.amdhsa_user_sgpr_queue_ptr 0
		.amdhsa_user_sgpr_kernarg_segment_ptr 1
		.amdhsa_user_sgpr_dispatch_id 0
		.amdhsa_user_sgpr_flat_scratch_init 0
		.amdhsa_user_sgpr_kernarg_preload_length 0
		.amdhsa_user_sgpr_kernarg_preload_offset 0
		.amdhsa_user_sgpr_private_segment_size 0
		.amdhsa_uses_dynamic_stack 0
		.amdhsa_system_sgpr_private_segment_wavefront_offset 0
		.amdhsa_system_sgpr_workgroup_id_x 1
		.amdhsa_system_sgpr_workgroup_id_y 0
		.amdhsa_system_sgpr_workgroup_id_z 0
		.amdhsa_system_sgpr_workgroup_info 0
		.amdhsa_system_vgpr_workitem_id 1
		.amdhsa_next_free_vgpr 34
		.amdhsa_next_free_sgpr 26
		.amdhsa_accum_offset 36
		.amdhsa_reserve_vcc 1
		.amdhsa_reserve_flat_scratch 0
		.amdhsa_float_round_mode_32 0
		.amdhsa_float_round_mode_16_64 0
		.amdhsa_float_denorm_mode_32 3
		.amdhsa_float_denorm_mode_16_64 3
		.amdhsa_dx10_clamp 1
		.amdhsa_ieee_mode 1
		.amdhsa_fp16_overflow 0
		.amdhsa_tg_split 0
		.amdhsa_exception_fp_ieee_invalid_op 0
		.amdhsa_exception_fp_denorm_src 0
		.amdhsa_exception_fp_ieee_div_zero 0
		.amdhsa_exception_fp_ieee_overflow 0
		.amdhsa_exception_fp_ieee_underflow 0
		.amdhsa_exception_fp_ieee_inexact 0
		.amdhsa_exception_int_div_zero 0
	.end_amdhsa_kernel
	.section	.text._ZN4vllm3moe10topkGatingILi8ELi32ELi4ELi16ELi32El6__halfLNS0_11ScoringFuncE1EEEvPKT5_PKbPfiPT4_PiiiibPKf,"axG",@progbits,_ZN4vllm3moe10topkGatingILi8ELi32ELi4ELi16ELi32El6__halfLNS0_11ScoringFuncE1EEEvPKT5_PKbPfiPT4_PiiiibPKf,comdat
.Lfunc_end301:
	.size	_ZN4vllm3moe10topkGatingILi8ELi32ELi4ELi16ELi32El6__halfLNS0_11ScoringFuncE1EEEvPKT5_PKbPfiPT4_PiiiibPKf, .Lfunc_end301-_ZN4vllm3moe10topkGatingILi8ELi32ELi4ELi16ELi32El6__halfLNS0_11ScoringFuncE1EEEvPKT5_PKbPfiPT4_PiiiibPKf
                                        ; -- End function
	.section	.AMDGPU.csdata,"",@progbits
; Kernel info:
; codeLenInByte = 2736
; NumSgprs: 30
; NumVgprs: 34
; NumAgprs: 0
; TotalNumVgprs: 34
; ScratchSize: 0
; MemoryBound: 0
; FloatMode: 240
; IeeeMode: 1
; LDSByteSize: 0 bytes/workgroup (compile time only)
; SGPRBlocks: 3
; VGPRBlocks: 4
; NumSGPRsForWavesPerEU: 30
; NumVGPRsForWavesPerEU: 34
; AccumOffset: 36
; Occupancy: 8
; WaveLimiterHint : 0
; COMPUTE_PGM_RSRC2:SCRATCH_EN: 0
; COMPUTE_PGM_RSRC2:USER_SGPR: 6
; COMPUTE_PGM_RSRC2:TRAP_HANDLER: 0
; COMPUTE_PGM_RSRC2:TGID_X_EN: 1
; COMPUTE_PGM_RSRC2:TGID_Y_EN: 0
; COMPUTE_PGM_RSRC2:TGID_Z_EN: 0
; COMPUTE_PGM_RSRC2:TIDIG_COMP_CNT: 1
; COMPUTE_PGM_RSRC3_GFX90A:ACCUM_OFFSET: 8
; COMPUTE_PGM_RSRC3_GFX90A:TG_SPLIT: 0
	.section	.text._ZN4vllm3moe10topkGatingILi8ELi64ELi4ELi16ELi64El6__halfLNS0_11ScoringFuncE1EEEvPKT5_PKbPfiPT4_PiiiibPKf,"axG",@progbits,_ZN4vllm3moe10topkGatingILi8ELi64ELi4ELi16ELi64El6__halfLNS0_11ScoringFuncE1EEEvPKT5_PKbPfiPT4_PiiiibPKf,comdat
	.protected	_ZN4vllm3moe10topkGatingILi8ELi64ELi4ELi16ELi64El6__halfLNS0_11ScoringFuncE1EEEvPKT5_PKbPfiPT4_PiiiibPKf ; -- Begin function _ZN4vllm3moe10topkGatingILi8ELi64ELi4ELi16ELi64El6__halfLNS0_11ScoringFuncE1EEEvPKT5_PKbPfiPT4_PiiiibPKf
	.globl	_ZN4vllm3moe10topkGatingILi8ELi64ELi4ELi16ELi64El6__halfLNS0_11ScoringFuncE1EEEvPKT5_PKbPfiPT4_PiiiibPKf
	.p2align	8
	.type	_ZN4vllm3moe10topkGatingILi8ELi64ELi4ELi16ELi64El6__halfLNS0_11ScoringFuncE1EEEvPKT5_PKbPfiPT4_PiiiibPKf,@function
_ZN4vllm3moe10topkGatingILi8ELi64ELi4ELi16ELi64El6__halfLNS0_11ScoringFuncE1EEEvPKT5_PKbPfiPT4_PiiiibPKf: ; @_ZN4vllm3moe10topkGatingILi8ELi64ELi4ELi16ELi64El6__halfLNS0_11ScoringFuncE1EEEvPKT5_PKbPfiPT4_PiiiibPKf
; %bb.0:
	s_load_dword s24, s[4:5], 0x18
	v_bfe_u32 v1, v0, 10, 10
	v_and_b32_e32 v0, 0x3ff, v0
	s_lshl_b32 s0, s6, 5
	v_lshlrev_b32_e32 v1, 3, v1
	v_lshrrev_b32_e32 v2, 3, v0
	v_add3_u32 v16, s0, v1, v2
	s_waitcnt lgkmcnt(0)
	v_cmp_gt_i32_e32 vcc, s24, v16
	s_and_saveexec_b64 s[0:1], vcc
	s_cbranch_execz .LBB302_38
; %bb.1:
	s_load_dwordx4 s[0:3], s[4:5], 0x0
	s_load_dwordx2 s[16:17], s[4:5], 0x10
	s_mov_b64 s[8:9], -1
	s_mov_b64 s[18:19], -1
	s_waitcnt lgkmcnt(0)
	s_cmp_eq_u64 s[2:3], 0
	s_cbranch_scc1 .LBB302_3
; %bb.2:
	v_ashrrev_i32_e32 v1, 31, v16
	v_mov_b32_e32 v3, s3
	v_add_co_u32_e32 v2, vcc, s2, v16
	v_addc_co_u32_e32 v3, vcc, v3, v1, vcc
	global_load_ubyte v1, v[2:3], off
	s_waitcnt vmcnt(0)
	v_and_b32_e32 v1, 1, v1
	v_cmp_eq_u32_e32 vcc, 1, v1
	s_xor_b64 s[2:3], vcc, -1
	s_orn2_b64 s[18:19], s[2:3], exec
.LBB302_3:
	v_lshlrev_b32_e32 v2, 6, v16
	v_ashrrev_i32_e32 v3, 31, v2
	v_lshlrev_b64 v[2:3], 1, v[2:3]
	v_mov_b32_e32 v1, s1
	v_add_co_u32_e32 v2, vcc, s0, v2
	v_and_b32_e32 v17, 7, v0
	v_addc_co_u32_e32 v1, vcc, v1, v3, vcc
	v_lshlrev_b32_e32 v0, 4, v17
	v_add_co_u32_e32 v0, vcc, v2, v0
	v_addc_co_u32_e32 v1, vcc, 0, v1, vcc
	global_load_dwordx4 v[0:3], v[0:1], off
	v_mov_b32_e32 v8, 0x207
	s_load_dwordx2 s[10:11], s[4:5], 0x40
	v_lshlrev_b32_e32 v18, 3, v17
	s_waitcnt lgkmcnt(0)
	s_cmp_eq_u64 s[10:11], 0
	s_waitcnt vmcnt(0)
	v_cvt_f32_f16_e32 v4, v0
	v_cvt_f32_f16_sdwa v0, v0 dst_sel:DWORD dst_unused:UNUSED_PAD src0_sel:WORD_1
	v_cvt_f32_f16_e32 v5, v1
	v_cvt_f32_f16_sdwa v1, v1 dst_sel:DWORD dst_unused:UNUSED_PAD src0_sel:WORD_1
	v_mul_f32_e32 v4, 0xbfb8aa3b, v4
	v_mul_f32_e32 v9, 0xbfb8aa3b, v0
	v_cvt_f32_f16_e32 v6, v2
	v_cvt_f32_f16_sdwa v2, v2 dst_sel:DWORD dst_unused:UNUSED_PAD src0_sel:WORD_1
	v_cvt_f32_f16_e32 v7, v3
	v_cvt_f32_f16_sdwa v3, v3 dst_sel:DWORD dst_unused:UNUSED_PAD src0_sel:WORD_1
	v_mul_f32_e32 v10, 0xbfb8aa3b, v1
	v_exp_f32_e32 v0, v4
	v_exp_f32_e32 v1, v9
	v_mul_f32_e32 v5, 0xbfb8aa3b, v5
	v_mul_f32_e32 v11, 0xbfb8aa3b, v2
	;; [unrolled: 1-line block ×3, first 2 shown]
	v_exp_f32_e32 v2, v5
	v_exp_f32_e32 v3, v10
	v_pk_add_f32 v[0:1], v[0:1], 1.0 op_sel_hi:[1,0]
	v_div_scale_f32 v9, s[0:1], v1, v1, 1.0
	v_rcp_f32_e32 v21, v9
	v_exp_f32_e32 v5, v11
	v_div_scale_f32 v11, s[0:1], v0, v0, 1.0
	v_pk_add_f32 v[2:3], v[2:3], 1.0 op_sel_hi:[1,0]
	v_rcp_f32_e32 v22, v11
	v_div_scale_f32 v13, s[2:3], v3, v3, 1.0
	v_rcp_f32_e32 v23, v13
	v_fma_f32 v26, -v9, v21, 1.0
	v_div_scale_f32 v10, vcc, 1.0, v1, 1.0
	v_div_scale_f32 v15, s[6:7], v2, v2, 1.0
	v_fmac_f32_e32 v21, v26, v21
	v_mul_f32_e32 v6, 0xbfb8aa3b, v6
	v_mul_f32_e32 v7, 0xbfb8aa3b, v7
	v_rcp_f32_e32 v24, v15
	v_fma_f32 v27, -v11, v22, 1.0
	v_mul_f32_e32 v26, v10, v21
	v_exp_f32_e32 v4, v6
	v_exp_f32_e32 v6, v7
	;; [unrolled: 1-line block ×3, first 2 shown]
	v_div_scale_f32 v12, s[0:1], 1.0, v0, 1.0
	v_fmac_f32_e32 v22, v27, v22
	v_fma_f32 v30, -v9, v26, v10
	v_fma_f32 v28, -v13, v23, 1.0
	v_mul_f32_e32 v27, v12, v22
	v_fmac_f32_e32 v26, v30, v21
	v_div_scale_f32 v14, s[2:3], 1.0, v3, 1.0
	v_fmac_f32_e32 v23, v28, v23
	v_fma_f32 v31, -v11, v27, v12
	v_fma_f32 v9, -v9, v26, v10
	v_fma_f32 v29, -v15, v24, 1.0
	v_mul_f32_e32 v28, v14, v23
	v_fmac_f32_e32 v27, v31, v22
	v_div_fmas_f32 v9, v9, v21, v26
	v_div_scale_f32 v19, s[6:7], 1.0, v2, 1.0
	v_fmac_f32_e32 v24, v29, v24
	v_fma_f32 v32, -v13, v28, v14
	v_fma_f32 v10, -v11, v27, v12
	v_div_fixup_f32 v1, v9, v1, 1.0
	s_mov_b64 vcc, s[0:1]
	v_pk_add_f32 v[4:5], v[4:5], 1.0 op_sel_hi:[1,0]
	v_mul_f32_e32 v29, v19, v24
	v_fmac_f32_e32 v28, v32, v23
	v_div_fmas_f32 v9, v10, v22, v27
	v_cmp_class_f32_e32 vcc, v1, v8
	v_div_scale_f32 v20, s[12:13], v5, v5, 1.0
	v_fma_f32 v33, -v15, v29, v19
	v_fma_f32 v11, -v13, v28, v14
	v_div_fixup_f32 v0, v9, v0, 1.0
	v_cndmask_b32_e64 v1, v1, 0, vcc
	s_mov_b64 vcc, s[2:3]
	v_rcp_f32_e32 v25, v20
	v_fmac_f32_e32 v29, v33, v24
	v_div_fmas_f32 v9, v11, v23, v28
	v_cmp_class_f32_e32 vcc, v0, v8
	v_fma_f32 v12, -v15, v29, v19
	v_cndmask_b32_e64 v0, v0, 0, vcc
	s_mov_b64 vcc, s[6:7]
	v_div_fixup_f32 v3, v9, v3, 1.0
	v_div_fmas_f32 v9, v12, v24, v29
	v_div_fixup_f32 v2, v9, v2, 1.0
	v_cmp_class_f32_e32 vcc, v3, v8
	v_cndmask_b32_e64 v3, v3, 0, vcc
	v_cmp_class_f32_e32 vcc, v2, v8
	v_fma_f32 v9, -v20, v25, 1.0
	v_cndmask_b32_e64 v2, v2, 0, vcc
	v_fmac_f32_e32 v25, v9, v25
	v_div_scale_f32 v9, vcc, 1.0, v5, 1.0
	v_mul_f32_e32 v10, v9, v25
	v_fma_f32 v11, -v20, v10, v9
	v_fmac_f32_e32 v10, v11, v25
	v_div_scale_f32 v11, s[0:1], v4, v4, 1.0
	v_rcp_f32_e32 v12, v11
	v_fma_f32 v9, -v20, v10, v9
	v_div_fmas_f32 v9, v9, v25, v10
	v_div_fixup_f32 v5, v9, v5, 1.0
	v_fma_f32 v9, -v11, v12, 1.0
	v_fmac_f32_e32 v12, v9, v12
	v_div_scale_f32 v9, vcc, 1.0, v4, 1.0
	v_mul_f32_e32 v10, v9, v12
	v_fma_f32 v13, -v11, v10, v9
	v_fmac_f32_e32 v10, v13, v12
	v_fma_f32 v9, -v11, v10, v9
	v_div_fmas_f32 v9, v9, v12, v10
	v_pk_add_f32 v[6:7], v[6:7], 1.0 op_sel_hi:[1,0]
	v_div_fixup_f32 v4, v9, v4, 1.0
	v_div_scale_f32 v9, s[0:1], v7, v7, 1.0
	v_rcp_f32_e32 v10, v9
	v_cmp_class_f32_e32 vcc, v5, v8
	v_cndmask_b32_e64 v5, v5, 0, vcc
	v_cmp_class_f32_e32 vcc, v4, v8
	v_fma_f32 v11, -v9, v10, 1.0
	v_cndmask_b32_e64 v4, v4, 0, vcc
	v_fmac_f32_e32 v10, v11, v10
	v_div_scale_f32 v11, vcc, 1.0, v7, 1.0
	v_mul_f32_e32 v12, v11, v10
	v_fma_f32 v13, -v9, v12, v11
	v_fmac_f32_e32 v12, v13, v10
	v_fma_f32 v9, -v9, v12, v11
	v_div_scale_f32 v11, s[0:1], v6, v6, 1.0
	v_rcp_f32_e32 v13, v11
	v_div_fmas_f32 v9, v9, v10, v12
	v_div_fixup_f32 v7, v9, v7, 1.0
	v_fma_f32 v9, -v11, v13, 1.0
	v_fmac_f32_e32 v13, v9, v13
	v_div_scale_f32 v9, vcc, 1.0, v6, 1.0
	v_mul_f32_e32 v10, v9, v13
	v_fma_f32 v12, -v11, v10, v9
	v_fmac_f32_e32 v10, v12, v13
	v_fma_f32 v9, -v11, v10, v9
	v_div_fmas_f32 v9, v9, v13, v10
	v_div_fixup_f32 v6, v9, v6, 1.0
	v_cmp_class_f32_e32 vcc, v7, v8
	v_cndmask_b32_e64 v7, v7, 0, vcc
	v_cmp_class_f32_e32 vcc, v6, v8
	v_cndmask_b32_e64 v6, v6, 0, vcc
	s_cbranch_scc1 .LBB302_27
; %bb.4:
	v_lshlrev_b32_e32 v19, 2, v18
	global_load_dwordx4 v[8:11], v19, s[10:11]
	global_load_dwordx4 v[12:15], v19, s[10:11] offset:16
	s_waitcnt vmcnt(1)
	v_pk_add_f32 v[8:9], v[8:9], v[0:1]
	v_pk_add_f32 v[10:11], v[10:11], v[2:3]
	s_waitcnt vmcnt(0)
	v_pk_add_f32 v[12:13], v[12:13], v[4:5]
	v_pk_add_f32 v[14:15], v[14:15], v[6:7]
	s_cbranch_execnz .LBB302_6
.LBB302_5:
	v_pk_mov_b32 v[14:15], v[6:7], v[6:7] op_sel:[0,1]
	v_pk_mov_b32 v[12:13], v[4:5], v[4:5] op_sel:[0,1]
	;; [unrolled: 1-line block ×4, first 2 shown]
.LBB302_6:
	s_load_dwordx4 s[8:11], s[4:5], 0x30
	s_mov_b32 s25, 0
	v_cmp_eq_u32_e64 s[0:1], 0, v17
	s_waitcnt lgkmcnt(0)
	s_bitcmp1_b32 s11, 0
	s_cselect_b64 vcc, -1, 0
	s_cmp_gt_i32 s8, 0
	s_cselect_b64 s[6:7], -1, 0
	s_cmp_lt_i32 s8, 1
	s_cbranch_scc1 .LBB302_28
; %bb.7:
	v_mbcnt_lo_u32_b32 v19, -1, 0
	v_mbcnt_hi_u32_b32 v19, -1, v19
	v_and_b32_e32 v20, 0x78, v19
	v_add_u32_e32 v23, 8, v20
	v_xor_b32_e32 v21, 4, v19
	s_load_dwordx4 s[12:15], s[4:5], 0x20
	v_cmp_lt_i32_e64 s[2:3], v21, v23
	v_xor_b32_e32 v22, 2, v19
	v_cndmask_b32_e64 v21, v19, v21, s[2:3]
	v_cmp_lt_i32_e64 s[2:3], v22, v23
	v_xor_b32_e32 v24, 1, v19
	v_cndmask_b32_e64 v22, v19, v22, s[2:3]
	v_cmp_lt_i32_e64 s[2:3], v24, v23
	v_cndmask_b32_e64 v19, v19, v24, s[2:3]
	v_mul_lo_u32 v20, v16, s8
	v_lshlrev_b32_e32 v21, 2, v21
	v_lshlrev_b32_e32 v22, 2, v22
	;; [unrolled: 1-line block ×3, first 2 shown]
	v_mov_b32_e32 v19, 0
	v_mov_b32_e32 v24, 0xc61c4000
	;; [unrolled: 1-line block ×3, first 2 shown]
	s_branch .LBB302_10
.LBB302_8:                              ;   in Loop: Header=BB302_10 Depth=1
	s_or_b64 exec, exec, s[4:5]
.LBB302_9:                              ;   in Loop: Header=BB302_10 Depth=1
	s_cmp_eq_u32 s8, s25
	v_add_u32_e32 v25, s24, v25
	s_cbranch_scc1 .LBB302_29
.LBB302_10:                             ; =>This Inner Loop Header: Depth=1
	v_cmp_gt_f32_e64 s[2:3], v9, v8
	v_cndmask_b32_e64 v28, v8, v9, s[2:3]
	v_cndmask_b32_e64 v26, 0, 1, s[2:3]
	v_cndmask_b32_e64 v27, v0, v1, s[2:3]
	v_cmp_gt_f32_e64 s[2:3], v10, v28
	v_cndmask_b32_e64 v28, v28, v10, s[2:3]
	v_cndmask_b32_e64 v26, v26, 2, s[2:3]
	v_cndmask_b32_e64 v27, v27, v2, s[2:3]
	;; [unrolled: 4-line block ×6, first 2 shown]
	v_cmp_gt_f32_e64 s[2:3], v15, v28
	v_cndmask_b32_e64 v26, v26, 7, s[2:3]
	v_cndmask_b32_e64 v28, v28, v15, s[2:3]
	v_or_b32_e32 v26, v18, v26
	v_cndmask_b32_e64 v27, v27, v7, s[2:3]
	s_waitcnt lgkmcnt(0)
	ds_bpermute_b32 v29, v21, v28
	ds_bpermute_b32 v31, v21, v27
	;; [unrolled: 1-line block ×3, first 2 shown]
	s_waitcnt lgkmcnt(0)
	v_cmp_lt_f32_e64 s[20:21], v28, v29
	v_cmp_nlt_f32_e64 s[2:3], v28, v29
	s_and_saveexec_b64 s[22:23], s[2:3]
; %bb.11:                               ;   in Loop: Header=BB302_10 Depth=1
	v_cmp_eq_f32_e64 s[2:3], v28, v29
	v_cmp_lt_i32_e64 s[4:5], v30, v26
	s_and_b64 s[2:3], s[2:3], s[4:5]
	s_andn2_b64 s[4:5], s[20:21], exec
	s_and_b64 s[2:3], s[2:3], exec
	s_or_b64 s[20:21], s[4:5], s[2:3]
; %bb.12:                               ;   in Loop: Header=BB302_10 Depth=1
	s_or_b64 exec, exec, s[22:23]
	s_and_saveexec_b64 s[2:3], s[20:21]
; %bb.13:                               ;   in Loop: Header=BB302_10 Depth=1
	v_mov_b32_e32 v27, v31
	v_mov_b32_e32 v28, v29
	;; [unrolled: 1-line block ×3, first 2 shown]
; %bb.14:                               ;   in Loop: Header=BB302_10 Depth=1
	s_or_b64 exec, exec, s[2:3]
	ds_bpermute_b32 v29, v22, v28
	ds_bpermute_b32 v31, v22, v27
	;; [unrolled: 1-line block ×3, first 2 shown]
	s_waitcnt lgkmcnt(2)
	v_cmp_lt_f32_e64 s[20:21], v28, v29
	v_cmp_nlt_f32_e64 s[2:3], v28, v29
	s_and_saveexec_b64 s[22:23], s[2:3]
	s_cbranch_execz .LBB302_16
; %bb.15:                               ;   in Loop: Header=BB302_10 Depth=1
	v_cmp_eq_f32_e64 s[2:3], v28, v29
	s_waitcnt lgkmcnt(0)
	v_cmp_lt_i32_e64 s[4:5], v30, v26
	s_and_b64 s[2:3], s[2:3], s[4:5]
	s_andn2_b64 s[4:5], s[20:21], exec
	s_and_b64 s[2:3], s[2:3], exec
	s_or_b64 s[20:21], s[4:5], s[2:3]
.LBB302_16:                             ;   in Loop: Header=BB302_10 Depth=1
	s_or_b64 exec, exec, s[22:23]
	s_and_saveexec_b64 s[2:3], s[20:21]
	s_cbranch_execz .LBB302_18
; %bb.17:                               ;   in Loop: Header=BB302_10 Depth=1
	s_waitcnt lgkmcnt(1)
	v_mov_b32_e32 v27, v31
	v_mov_b32_e32 v28, v29
	s_waitcnt lgkmcnt(0)
	v_mov_b32_e32 v26, v30
.LBB302_18:                             ;   in Loop: Header=BB302_10 Depth=1
	s_or_b64 exec, exec, s[2:3]
	s_waitcnt lgkmcnt(1)
	ds_bpermute_b32 v31, v23, v28
	ds_bpermute_b32 v29, v23, v27
	s_waitcnt lgkmcnt(2)
	ds_bpermute_b32 v30, v23, v26
	s_waitcnt lgkmcnt(2)
	v_cmp_lt_f32_e64 s[20:21], v28, v31
	v_cmp_nlt_f32_e64 s[2:3], v28, v31
	s_and_saveexec_b64 s[22:23], s[2:3]
	s_cbranch_execnz .LBB302_22
; %bb.19:                               ;   in Loop: Header=BB302_10 Depth=1
	s_or_b64 exec, exec, s[22:23]
	s_and_saveexec_b64 s[2:3], s[20:21]
	s_cbranch_execnz .LBB302_23
.LBB302_20:                             ;   in Loop: Header=BB302_10 Depth=1
	s_or_b64 exec, exec, s[2:3]
	s_and_saveexec_b64 s[20:21], s[0:1]
	s_cbranch_execnz .LBB302_24
.LBB302_21:                             ;   in Loop: Header=BB302_10 Depth=1
	s_or_b64 exec, exec, s[20:21]
	s_add_i32 s25, s25, 1
	s_cmp_ge_i32 s25, s8
	s_cbranch_scc1 .LBB302_9
	s_branch .LBB302_25
.LBB302_22:                             ;   in Loop: Header=BB302_10 Depth=1
	v_cmp_eq_f32_e64 s[2:3], v28, v31
	s_waitcnt lgkmcnt(0)
	v_cmp_lt_i32_e64 s[4:5], v30, v26
	s_and_b64 s[2:3], s[2:3], s[4:5]
	s_andn2_b64 s[4:5], s[20:21], exec
	s_and_b64 s[2:3], s[2:3], exec
	s_or_b64 s[20:21], s[4:5], s[2:3]
	s_or_b64 exec, exec, s[22:23]
	s_and_saveexec_b64 s[2:3], s[20:21]
	s_cbranch_execz .LBB302_20
.LBB302_23:                             ;   in Loop: Header=BB302_10 Depth=1
	s_waitcnt lgkmcnt(0)
	v_mov_b32_e32 v26, v30
	v_mov_b32_e32 v27, v29
	s_or_b64 exec, exec, s[2:3]
	s_and_saveexec_b64 s[20:21], s[0:1]
	s_cbranch_execz .LBB302_21
.LBB302_24:                             ;   in Loop: Header=BB302_10 Depth=1
	v_add_u32_e32 v28, s25, v20
	s_waitcnt lgkmcnt(1)
	v_ashrrev_i32_e32 v29, 31, v28
	v_cmp_le_i32_e64 s[2:3], s9, v26
	v_cmp_gt_i32_e64 s[4:5], s10, v26
	s_waitcnt lgkmcnt(0)
	v_lshlrev_b64 v[30:31], 2, v[28:29]
	s_and_b64 s[4:5], s[2:3], s[4:5]
	v_mov_b32_e32 v33, s17
	v_add_co_u32_e64 v32, s[2:3], s16, v30
	v_addc_co_u32_e64 v33, s[2:3], v33, v31, s[2:3]
	global_store_dword v[32:33], v27, off
	v_subrev_u32_e32 v32, s9, v26
	v_ashrrev_i32_e32 v33, 31, v32
	s_and_b64 s[2:3], s[18:19], s[4:5]
	v_lshlrev_b64 v[28:29], 3, v[28:29]
	v_cndmask_b32_e64 v33, 0, v33, s[2:3]
	v_cndmask_b32_e64 v32, 64, v32, s[2:3]
	v_mov_b32_e32 v34, s13
	v_add_co_u32_e64 v28, s[2:3], s12, v28
	v_addc_co_u32_e64 v29, s[2:3], v34, v29, s[2:3]
	global_store_dwordx2 v[28:29], v[32:33], off
	v_mov_b32_e32 v29, s15
	v_add_co_u32_e64 v28, s[2:3], s14, v30
	v_add_f32_e32 v27, v19, v27
	v_addc_co_u32_e64 v29, s[2:3], v29, v31, s[2:3]
	v_cndmask_b32_e32 v19, v19, v27, vcc
	global_store_dword v[28:29], v25, off
	s_or_b64 exec, exec, s[20:21]
	s_add_i32 s25, s25, 1
	s_cmp_ge_i32 s25, s8
	s_cbranch_scc1 .LBB302_9
.LBB302_25:                             ;   in Loop: Header=BB302_10 Depth=1
	v_ashrrev_i32_e32 v28, 31, v26
	v_lshrrev_b32_e32 v27, 29, v28
	v_add_u32_e32 v27, v26, v27
	v_ashrrev_i32_e32 v27, 3, v27
	s_waitcnt lgkmcnt(1)
	v_lshrrev_b32_e32 v29, 29, v27
	v_add_u32_e32 v29, v27, v29
	v_and_b32_e32 v29, -8, v29
	v_sub_u32_e32 v29, v27, v29
	v_cmp_eq_u32_e64 s[2:3], v17, v29
	s_and_saveexec_b64 s[4:5], s[2:3]
	s_cbranch_execz .LBB302_8
; %bb.26:                               ;   in Loop: Header=BB302_10 Depth=1
	v_lshrrev_b32_e32 v28, 26, v28
	v_add_u32_e32 v28, v26, v28
	v_lshlrev_b32_e32 v27, 3, v27
	v_ashrrev_i32_e32 v28, 6, v28
	v_sub_u32_e32 v26, v26, v27
	v_lshl_add_u32 v26, v28, 3, v26
	v_cmp_ne_u32_e64 s[2:3], 7, v26
	v_cndmask_b32_e64 v15, v24, v15, s[2:3]
	v_cmp_ne_u32_e64 s[2:3], 6, v26
	v_cndmask_b32_e64 v14, v24, v14, s[2:3]
	;; [unrolled: 2-line block ×8, first 2 shown]
	s_branch .LBB302_8
.LBB302_27:
                                        ; implicit-def: $vgpr8_vgpr9_vgpr10_vgpr11_vgpr12_vgpr13_vgpr14_vgpr15
	s_andn2_b64 vcc, exec, s[8:9]
	s_cbranch_vccz .LBB302_5
	s_branch .LBB302_6
.LBB302_28:
	v_mov_b32_e32 v19, 0
.LBB302_29:
	v_cmp_eq_u32_e64 s[0:1], 0, v17
	s_and_b64 s[0:1], s[0:1], vcc
	s_and_b64 exec, exec, s[0:1]
	s_cbranch_execz .LBB302_38
; %bb.30:
	s_andn2_b64 vcc, exec, s[6:7]
	s_cbranch_vccnz .LBB302_38
; %bb.31:
	v_cmp_lt_f32_e32 vcc, 0, v19
	s_mov_b32 s2, 0
	v_cndmask_b32_e32 v0, 1.0, v19, vcc
	v_mul_lo_u32 v4, v16, s8
	s_cmp_eq_u32 s8, 1
	s_mov_b64 s[0:1], -1
	s_cbranch_scc1 .LBB302_35
; %bb.32:
	s_and_b32 s2, s8, 0x7ffffffe
	v_mov_b32_e32 v1, v0
	v_mov_b32_e32 v5, s17
	s_mov_b32 s3, s2
	v_mov_b32_e32 v2, v4
.LBB302_33:                             ; =>This Inner Loop Header: Depth=1
	v_ashrrev_i32_e32 v3, 31, v2
	v_lshlrev_b64 v[6:7], 2, v[2:3]
	v_add_co_u32_e32 v6, vcc, s16, v6
	v_addc_co_u32_e32 v7, vcc, v5, v7, vcc
	global_load_dwordx2 v[8:9], v[6:7], off
	s_add_i32 s3, s3, -2
	s_cmp_lg_u32 s3, 0
	v_add_u32_e32 v2, 2, v2
	s_waitcnt vmcnt(0)
	v_div_scale_f32 v3, s[0:1], v1, v1, v9
	v_div_scale_f32 v11, s[0:1], v0, v0, v8
	v_rcp_f32_e32 v12, v3
	v_rcp_f32_e32 v13, v11
	v_div_scale_f32 v10, vcc, v9, v1, v9
	v_fma_f32 v15, -v3, v12, 1.0
	v_fma_f32 v16, -v11, v13, 1.0
	v_fmac_f32_e32 v12, v15, v12
	v_div_scale_f32 v14, s[0:1], v8, v0, v8
	v_fmac_f32_e32 v13, v16, v13
	v_mul_f32_e32 v15, v10, v12
	v_mul_f32_e32 v16, v14, v13
	v_fma_f32 v17, -v3, v15, v10
	v_fma_f32 v18, -v11, v16, v14
	v_fmac_f32_e32 v15, v17, v12
	v_fmac_f32_e32 v16, v18, v13
	v_fma_f32 v3, -v3, v15, v10
	v_fma_f32 v10, -v11, v16, v14
	v_div_fmas_f32 v3, v3, v12, v15
	s_mov_b64 vcc, s[0:1]
	v_div_fixup_f32 v9, v3, v1, v9
	v_div_fmas_f32 v3, v10, v13, v16
	v_div_fixup_f32 v8, v3, v0, v8
	global_store_dwordx2 v[6:7], v[8:9], off
	s_cbranch_scc1 .LBB302_33
; %bb.34:
	s_cmp_lg_u32 s2, s8
	s_cselect_b64 s[0:1], -1, 0
.LBB302_35:
	s_and_b64 vcc, exec, s[0:1]
	s_cbranch_vccz .LBB302_38
; %bb.36:
	v_ashrrev_i32_e32 v1, 31, v4
	v_add_co_u32_e32 v2, vcc, s2, v4
	v_addc_co_u32_e32 v3, vcc, 0, v1, vcc
	v_lshlrev_b64 v[2:3], 2, v[2:3]
	v_mov_b32_e32 v1, s17
	v_add_co_u32_e32 v2, vcc, s16, v2
	s_sub_i32 s0, s8, s2
	v_addc_co_u32_e32 v3, vcc, v1, v3, vcc
.LBB302_37:                             ; =>This Inner Loop Header: Depth=1
	global_load_dword v1, v[2:3], off
	s_add_i32 s0, s0, -1
	s_cmp_lg_u32 s0, 0
	s_waitcnt vmcnt(0)
	v_div_scale_f32 v4, s[2:3], v0, v0, v1
	v_rcp_f32_e32 v5, v4
	v_div_scale_f32 v6, vcc, v1, v0, v1
	v_fma_f32 v7, -v4, v5, 1.0
	v_fmac_f32_e32 v5, v7, v5
	v_mul_f32_e32 v7, v6, v5
	v_fma_f32 v8, -v4, v7, v6
	v_fmac_f32_e32 v7, v8, v5
	v_fma_f32 v4, -v4, v7, v6
	v_div_fmas_f32 v4, v4, v5, v7
	v_div_fixup_f32 v1, v4, v0, v1
	global_store_dword v[2:3], v1, off
	v_add_co_u32_e32 v2, vcc, 4, v2
	v_addc_co_u32_e32 v3, vcc, 0, v3, vcc
	s_cbranch_scc1 .LBB302_37
.LBB302_38:
	s_endpgm
	.section	.rodata,"a",@progbits
	.p2align	6, 0x0
	.amdhsa_kernel _ZN4vllm3moe10topkGatingILi8ELi64ELi4ELi16ELi64El6__halfLNS0_11ScoringFuncE1EEEvPKT5_PKbPfiPT4_PiiiibPKf
		.amdhsa_group_segment_fixed_size 0
		.amdhsa_private_segment_fixed_size 0
		.amdhsa_kernarg_size 72
		.amdhsa_user_sgpr_count 6
		.amdhsa_user_sgpr_private_segment_buffer 1
		.amdhsa_user_sgpr_dispatch_ptr 0
		.amdhsa_user_sgpr_queue_ptr 0
		.amdhsa_user_sgpr_kernarg_segment_ptr 1
		.amdhsa_user_sgpr_dispatch_id 0
		.amdhsa_user_sgpr_flat_scratch_init 0
		.amdhsa_user_sgpr_kernarg_preload_length 0
		.amdhsa_user_sgpr_kernarg_preload_offset 0
		.amdhsa_user_sgpr_private_segment_size 0
		.amdhsa_uses_dynamic_stack 0
		.amdhsa_system_sgpr_private_segment_wavefront_offset 0
		.amdhsa_system_sgpr_workgroup_id_x 1
		.amdhsa_system_sgpr_workgroup_id_y 0
		.amdhsa_system_sgpr_workgroup_id_z 0
		.amdhsa_system_sgpr_workgroup_info 0
		.amdhsa_system_vgpr_workitem_id 1
		.amdhsa_next_free_vgpr 35
		.amdhsa_next_free_sgpr 26
		.amdhsa_accum_offset 36
		.amdhsa_reserve_vcc 1
		.amdhsa_reserve_flat_scratch 0
		.amdhsa_float_round_mode_32 0
		.amdhsa_float_round_mode_16_64 0
		.amdhsa_float_denorm_mode_32 3
		.amdhsa_float_denorm_mode_16_64 3
		.amdhsa_dx10_clamp 1
		.amdhsa_ieee_mode 1
		.amdhsa_fp16_overflow 0
		.amdhsa_tg_split 0
		.amdhsa_exception_fp_ieee_invalid_op 0
		.amdhsa_exception_fp_denorm_src 0
		.amdhsa_exception_fp_ieee_div_zero 0
		.amdhsa_exception_fp_ieee_overflow 0
		.amdhsa_exception_fp_ieee_underflow 0
		.amdhsa_exception_fp_ieee_inexact 0
		.amdhsa_exception_int_div_zero 0
	.end_amdhsa_kernel
	.section	.text._ZN4vllm3moe10topkGatingILi8ELi64ELi4ELi16ELi64El6__halfLNS0_11ScoringFuncE1EEEvPKT5_PKbPfiPT4_PiiiibPKf,"axG",@progbits,_ZN4vllm3moe10topkGatingILi8ELi64ELi4ELi16ELi64El6__halfLNS0_11ScoringFuncE1EEEvPKT5_PKbPfiPT4_PiiiibPKf,comdat
.Lfunc_end302:
	.size	_ZN4vllm3moe10topkGatingILi8ELi64ELi4ELi16ELi64El6__halfLNS0_11ScoringFuncE1EEEvPKT5_PKbPfiPT4_PiiiibPKf, .Lfunc_end302-_ZN4vllm3moe10topkGatingILi8ELi64ELi4ELi16ELi64El6__halfLNS0_11ScoringFuncE1EEEvPKT5_PKbPfiPT4_PiiiibPKf
                                        ; -- End function
	.section	.AMDGPU.csdata,"",@progbits
; Kernel info:
; codeLenInByte = 2892
; NumSgprs: 30
; NumVgprs: 35
; NumAgprs: 0
; TotalNumVgprs: 35
; ScratchSize: 0
; MemoryBound: 0
; FloatMode: 240
; IeeeMode: 1
; LDSByteSize: 0 bytes/workgroup (compile time only)
; SGPRBlocks: 3
; VGPRBlocks: 4
; NumSGPRsForWavesPerEU: 30
; NumVGPRsForWavesPerEU: 35
; AccumOffset: 36
; Occupancy: 8
; WaveLimiterHint : 0
; COMPUTE_PGM_RSRC2:SCRATCH_EN: 0
; COMPUTE_PGM_RSRC2:USER_SGPR: 6
; COMPUTE_PGM_RSRC2:TRAP_HANDLER: 0
; COMPUTE_PGM_RSRC2:TGID_X_EN: 1
; COMPUTE_PGM_RSRC2:TGID_Y_EN: 0
; COMPUTE_PGM_RSRC2:TGID_Z_EN: 0
; COMPUTE_PGM_RSRC2:TIDIG_COMP_CNT: 1
; COMPUTE_PGM_RSRC3_GFX90A:ACCUM_OFFSET: 8
; COMPUTE_PGM_RSRC3_GFX90A:TG_SPLIT: 0
	.section	.text._ZN4vllm3moe10topkGatingILi8ELi64ELi4ELi16ELi32El6__halfLNS0_11ScoringFuncE1EEEvPKT5_PKbPfiPT4_PiiiibPKf,"axG",@progbits,_ZN4vllm3moe10topkGatingILi8ELi64ELi4ELi16ELi32El6__halfLNS0_11ScoringFuncE1EEEvPKT5_PKbPfiPT4_PiiiibPKf,comdat
	.protected	_ZN4vllm3moe10topkGatingILi8ELi64ELi4ELi16ELi32El6__halfLNS0_11ScoringFuncE1EEEvPKT5_PKbPfiPT4_PiiiibPKf ; -- Begin function _ZN4vllm3moe10topkGatingILi8ELi64ELi4ELi16ELi32El6__halfLNS0_11ScoringFuncE1EEEvPKT5_PKbPfiPT4_PiiiibPKf
	.globl	_ZN4vllm3moe10topkGatingILi8ELi64ELi4ELi16ELi32El6__halfLNS0_11ScoringFuncE1EEEvPKT5_PKbPfiPT4_PiiiibPKf
	.p2align	8
	.type	_ZN4vllm3moe10topkGatingILi8ELi64ELi4ELi16ELi32El6__halfLNS0_11ScoringFuncE1EEEvPKT5_PKbPfiPT4_PiiiibPKf,@function
_ZN4vllm3moe10topkGatingILi8ELi64ELi4ELi16ELi32El6__halfLNS0_11ScoringFuncE1EEEvPKT5_PKbPfiPT4_PiiiibPKf: ; @_ZN4vllm3moe10topkGatingILi8ELi64ELi4ELi16ELi32El6__halfLNS0_11ScoringFuncE1EEEvPKT5_PKbPfiPT4_PiiiibPKf
; %bb.0:
	s_load_dword s24, s[4:5], 0x18
	v_bfe_u32 v1, v0, 10, 10
	v_and_b32_e32 v0, 0x3ff, v0
	s_lshl_b32 s0, s6, 4
	v_lshlrev_b32_e32 v1, 2, v1
	v_lshrrev_b32_e32 v2, 3, v0
	v_add3_u32 v16, s0, v1, v2
	s_waitcnt lgkmcnt(0)
	v_cmp_gt_i32_e32 vcc, s24, v16
	s_and_saveexec_b64 s[0:1], vcc
	s_cbranch_execz .LBB303_38
; %bb.1:
	s_load_dwordx4 s[0:3], s[4:5], 0x0
	s_load_dwordx2 s[16:17], s[4:5], 0x10
	s_mov_b64 s[8:9], -1
	s_mov_b64 s[18:19], -1
	s_waitcnt lgkmcnt(0)
	s_cmp_eq_u64 s[2:3], 0
	s_cbranch_scc1 .LBB303_3
; %bb.2:
	v_ashrrev_i32_e32 v1, 31, v16
	v_mov_b32_e32 v3, s3
	v_add_co_u32_e32 v2, vcc, s2, v16
	v_addc_co_u32_e32 v3, vcc, v3, v1, vcc
	global_load_ubyte v1, v[2:3], off
	s_waitcnt vmcnt(0)
	v_and_b32_e32 v1, 1, v1
	v_cmp_eq_u32_e32 vcc, 1, v1
	s_xor_b64 s[2:3], vcc, -1
	s_orn2_b64 s[18:19], s[2:3], exec
.LBB303_3:
	v_lshlrev_b32_e32 v2, 6, v16
	v_ashrrev_i32_e32 v3, 31, v2
	v_lshlrev_b64 v[2:3], 1, v[2:3]
	v_mov_b32_e32 v1, s1
	v_add_co_u32_e32 v2, vcc, s0, v2
	v_and_b32_e32 v17, 7, v0
	v_addc_co_u32_e32 v1, vcc, v1, v3, vcc
	v_lshlrev_b32_e32 v0, 4, v17
	v_add_co_u32_e32 v0, vcc, v2, v0
	v_addc_co_u32_e32 v1, vcc, 0, v1, vcc
	global_load_dwordx4 v[0:3], v[0:1], off
	v_mov_b32_e32 v8, 0x207
	s_load_dwordx2 s[10:11], s[4:5], 0x40
	v_lshlrev_b32_e32 v18, 3, v17
	s_waitcnt lgkmcnt(0)
	s_cmp_eq_u64 s[10:11], 0
	s_waitcnt vmcnt(0)
	v_cvt_f32_f16_e32 v4, v0
	v_cvt_f32_f16_sdwa v0, v0 dst_sel:DWORD dst_unused:UNUSED_PAD src0_sel:WORD_1
	v_cvt_f32_f16_e32 v5, v1
	v_cvt_f32_f16_sdwa v1, v1 dst_sel:DWORD dst_unused:UNUSED_PAD src0_sel:WORD_1
	v_mul_f32_e32 v4, 0xbfb8aa3b, v4
	v_mul_f32_e32 v9, 0xbfb8aa3b, v0
	v_cvt_f32_f16_e32 v6, v2
	v_cvt_f32_f16_sdwa v2, v2 dst_sel:DWORD dst_unused:UNUSED_PAD src0_sel:WORD_1
	v_cvt_f32_f16_e32 v7, v3
	v_cvt_f32_f16_sdwa v3, v3 dst_sel:DWORD dst_unused:UNUSED_PAD src0_sel:WORD_1
	v_mul_f32_e32 v10, 0xbfb8aa3b, v1
	v_exp_f32_e32 v0, v4
	v_exp_f32_e32 v1, v9
	v_mul_f32_e32 v5, 0xbfb8aa3b, v5
	v_mul_f32_e32 v11, 0xbfb8aa3b, v2
	;; [unrolled: 1-line block ×3, first 2 shown]
	v_exp_f32_e32 v2, v5
	v_exp_f32_e32 v3, v10
	v_pk_add_f32 v[0:1], v[0:1], 1.0 op_sel_hi:[1,0]
	v_div_scale_f32 v9, s[0:1], v1, v1, 1.0
	v_rcp_f32_e32 v21, v9
	v_exp_f32_e32 v5, v11
	v_div_scale_f32 v11, s[0:1], v0, v0, 1.0
	v_pk_add_f32 v[2:3], v[2:3], 1.0 op_sel_hi:[1,0]
	v_rcp_f32_e32 v22, v11
	v_div_scale_f32 v13, s[2:3], v3, v3, 1.0
	v_rcp_f32_e32 v23, v13
	v_fma_f32 v26, -v9, v21, 1.0
	v_div_scale_f32 v10, vcc, 1.0, v1, 1.0
	v_div_scale_f32 v15, s[6:7], v2, v2, 1.0
	v_fmac_f32_e32 v21, v26, v21
	v_mul_f32_e32 v6, 0xbfb8aa3b, v6
	v_mul_f32_e32 v7, 0xbfb8aa3b, v7
	v_rcp_f32_e32 v24, v15
	v_fma_f32 v27, -v11, v22, 1.0
	v_mul_f32_e32 v26, v10, v21
	v_exp_f32_e32 v4, v6
	v_exp_f32_e32 v6, v7
	;; [unrolled: 1-line block ×3, first 2 shown]
	v_div_scale_f32 v12, s[0:1], 1.0, v0, 1.0
	v_fmac_f32_e32 v22, v27, v22
	v_fma_f32 v30, -v9, v26, v10
	v_fma_f32 v28, -v13, v23, 1.0
	v_mul_f32_e32 v27, v12, v22
	v_fmac_f32_e32 v26, v30, v21
	v_div_scale_f32 v14, s[2:3], 1.0, v3, 1.0
	v_fmac_f32_e32 v23, v28, v23
	v_fma_f32 v31, -v11, v27, v12
	v_fma_f32 v9, -v9, v26, v10
	v_fma_f32 v29, -v15, v24, 1.0
	v_mul_f32_e32 v28, v14, v23
	v_fmac_f32_e32 v27, v31, v22
	v_div_fmas_f32 v9, v9, v21, v26
	v_div_scale_f32 v19, s[6:7], 1.0, v2, 1.0
	v_fmac_f32_e32 v24, v29, v24
	v_fma_f32 v32, -v13, v28, v14
	v_fma_f32 v10, -v11, v27, v12
	v_div_fixup_f32 v1, v9, v1, 1.0
	s_mov_b64 vcc, s[0:1]
	v_pk_add_f32 v[4:5], v[4:5], 1.0 op_sel_hi:[1,0]
	v_mul_f32_e32 v29, v19, v24
	v_fmac_f32_e32 v28, v32, v23
	v_div_fmas_f32 v9, v10, v22, v27
	v_cmp_class_f32_e32 vcc, v1, v8
	v_div_scale_f32 v20, s[12:13], v5, v5, 1.0
	v_fma_f32 v33, -v15, v29, v19
	v_fma_f32 v11, -v13, v28, v14
	v_div_fixup_f32 v0, v9, v0, 1.0
	v_cndmask_b32_e64 v1, v1, 0, vcc
	s_mov_b64 vcc, s[2:3]
	v_rcp_f32_e32 v25, v20
	v_fmac_f32_e32 v29, v33, v24
	v_div_fmas_f32 v9, v11, v23, v28
	v_cmp_class_f32_e32 vcc, v0, v8
	v_fma_f32 v12, -v15, v29, v19
	v_cndmask_b32_e64 v0, v0, 0, vcc
	s_mov_b64 vcc, s[6:7]
	v_div_fixup_f32 v3, v9, v3, 1.0
	v_div_fmas_f32 v9, v12, v24, v29
	v_div_fixup_f32 v2, v9, v2, 1.0
	v_cmp_class_f32_e32 vcc, v3, v8
	v_cndmask_b32_e64 v3, v3, 0, vcc
	v_cmp_class_f32_e32 vcc, v2, v8
	v_fma_f32 v9, -v20, v25, 1.0
	v_cndmask_b32_e64 v2, v2, 0, vcc
	v_fmac_f32_e32 v25, v9, v25
	v_div_scale_f32 v9, vcc, 1.0, v5, 1.0
	v_mul_f32_e32 v10, v9, v25
	v_fma_f32 v11, -v20, v10, v9
	v_fmac_f32_e32 v10, v11, v25
	v_div_scale_f32 v11, s[0:1], v4, v4, 1.0
	v_rcp_f32_e32 v12, v11
	v_fma_f32 v9, -v20, v10, v9
	v_div_fmas_f32 v9, v9, v25, v10
	v_div_fixup_f32 v5, v9, v5, 1.0
	v_fma_f32 v9, -v11, v12, 1.0
	v_fmac_f32_e32 v12, v9, v12
	v_div_scale_f32 v9, vcc, 1.0, v4, 1.0
	v_mul_f32_e32 v10, v9, v12
	v_fma_f32 v13, -v11, v10, v9
	v_fmac_f32_e32 v10, v13, v12
	v_fma_f32 v9, -v11, v10, v9
	v_div_fmas_f32 v9, v9, v12, v10
	v_pk_add_f32 v[6:7], v[6:7], 1.0 op_sel_hi:[1,0]
	v_div_fixup_f32 v4, v9, v4, 1.0
	v_div_scale_f32 v9, s[0:1], v7, v7, 1.0
	v_rcp_f32_e32 v10, v9
	v_cmp_class_f32_e32 vcc, v5, v8
	v_cndmask_b32_e64 v5, v5, 0, vcc
	v_cmp_class_f32_e32 vcc, v4, v8
	v_fma_f32 v11, -v9, v10, 1.0
	v_cndmask_b32_e64 v4, v4, 0, vcc
	v_fmac_f32_e32 v10, v11, v10
	v_div_scale_f32 v11, vcc, 1.0, v7, 1.0
	v_mul_f32_e32 v12, v11, v10
	v_fma_f32 v13, -v9, v12, v11
	v_fmac_f32_e32 v12, v13, v10
	v_fma_f32 v9, -v9, v12, v11
	v_div_scale_f32 v11, s[0:1], v6, v6, 1.0
	v_rcp_f32_e32 v13, v11
	v_div_fmas_f32 v9, v9, v10, v12
	v_div_fixup_f32 v7, v9, v7, 1.0
	v_fma_f32 v9, -v11, v13, 1.0
	v_fmac_f32_e32 v13, v9, v13
	v_div_scale_f32 v9, vcc, 1.0, v6, 1.0
	v_mul_f32_e32 v10, v9, v13
	v_fma_f32 v12, -v11, v10, v9
	v_fmac_f32_e32 v10, v12, v13
	v_fma_f32 v9, -v11, v10, v9
	v_div_fmas_f32 v9, v9, v13, v10
	v_div_fixup_f32 v6, v9, v6, 1.0
	v_cmp_class_f32_e32 vcc, v7, v8
	v_cndmask_b32_e64 v7, v7, 0, vcc
	v_cmp_class_f32_e32 vcc, v6, v8
	v_cndmask_b32_e64 v6, v6, 0, vcc
	s_cbranch_scc1 .LBB303_27
; %bb.4:
	v_lshlrev_b32_e32 v19, 2, v18
	global_load_dwordx4 v[8:11], v19, s[10:11]
	global_load_dwordx4 v[12:15], v19, s[10:11] offset:16
	s_waitcnt vmcnt(1)
	v_pk_add_f32 v[8:9], v[8:9], v[0:1]
	v_pk_add_f32 v[10:11], v[10:11], v[2:3]
	s_waitcnt vmcnt(0)
	v_pk_add_f32 v[12:13], v[12:13], v[4:5]
	v_pk_add_f32 v[14:15], v[14:15], v[6:7]
	s_cbranch_execnz .LBB303_6
.LBB303_5:
	v_pk_mov_b32 v[14:15], v[6:7], v[6:7] op_sel:[0,1]
	v_pk_mov_b32 v[12:13], v[4:5], v[4:5] op_sel:[0,1]
	;; [unrolled: 1-line block ×4, first 2 shown]
.LBB303_6:
	s_load_dwordx4 s[8:11], s[4:5], 0x30
	s_mov_b32 s25, 0
	v_cmp_eq_u32_e64 s[0:1], 0, v17
	s_waitcnt lgkmcnt(0)
	s_bitcmp1_b32 s11, 0
	s_cselect_b64 vcc, -1, 0
	s_cmp_gt_i32 s8, 0
	s_cselect_b64 s[6:7], -1, 0
	s_cmp_lt_i32 s8, 1
	s_cbranch_scc1 .LBB303_28
; %bb.7:
	v_mbcnt_lo_u32_b32 v19, -1, 0
	v_mbcnt_hi_u32_b32 v19, -1, v19
	v_and_b32_e32 v20, 0x78, v19
	v_add_u32_e32 v23, 8, v20
	v_xor_b32_e32 v21, 4, v19
	s_load_dwordx4 s[12:15], s[4:5], 0x20
	v_cmp_lt_i32_e64 s[2:3], v21, v23
	v_xor_b32_e32 v22, 2, v19
	v_cndmask_b32_e64 v21, v19, v21, s[2:3]
	v_cmp_lt_i32_e64 s[2:3], v22, v23
	v_xor_b32_e32 v24, 1, v19
	v_cndmask_b32_e64 v22, v19, v22, s[2:3]
	v_cmp_lt_i32_e64 s[2:3], v24, v23
	v_cndmask_b32_e64 v19, v19, v24, s[2:3]
	v_mul_lo_u32 v20, v16, s8
	v_lshlrev_b32_e32 v21, 2, v21
	v_lshlrev_b32_e32 v22, 2, v22
	v_lshlrev_b32_e32 v23, 2, v19
	v_mov_b32_e32 v19, 0
	v_mov_b32_e32 v24, 0xc61c4000
	;; [unrolled: 1-line block ×3, first 2 shown]
	s_branch .LBB303_10
.LBB303_8:                              ;   in Loop: Header=BB303_10 Depth=1
	s_or_b64 exec, exec, s[4:5]
.LBB303_9:                              ;   in Loop: Header=BB303_10 Depth=1
	s_cmp_eq_u32 s8, s25
	v_add_u32_e32 v25, s24, v25
	s_cbranch_scc1 .LBB303_29
.LBB303_10:                             ; =>This Inner Loop Header: Depth=1
	v_cmp_gt_f32_e64 s[2:3], v9, v8
	v_cndmask_b32_e64 v28, v8, v9, s[2:3]
	v_cndmask_b32_e64 v26, 0, 1, s[2:3]
	v_cndmask_b32_e64 v27, v0, v1, s[2:3]
	v_cmp_gt_f32_e64 s[2:3], v10, v28
	v_cndmask_b32_e64 v28, v28, v10, s[2:3]
	v_cndmask_b32_e64 v26, v26, 2, s[2:3]
	v_cndmask_b32_e64 v27, v27, v2, s[2:3]
	;; [unrolled: 4-line block ×6, first 2 shown]
	v_cmp_gt_f32_e64 s[2:3], v15, v28
	v_cndmask_b32_e64 v26, v26, 7, s[2:3]
	v_cndmask_b32_e64 v28, v28, v15, s[2:3]
	v_or_b32_e32 v26, v18, v26
	v_cndmask_b32_e64 v27, v27, v7, s[2:3]
	s_waitcnt lgkmcnt(0)
	ds_bpermute_b32 v29, v21, v28
	ds_bpermute_b32 v31, v21, v27
	;; [unrolled: 1-line block ×3, first 2 shown]
	s_waitcnt lgkmcnt(0)
	v_cmp_lt_f32_e64 s[20:21], v28, v29
	v_cmp_nlt_f32_e64 s[2:3], v28, v29
	s_and_saveexec_b64 s[22:23], s[2:3]
; %bb.11:                               ;   in Loop: Header=BB303_10 Depth=1
	v_cmp_eq_f32_e64 s[2:3], v28, v29
	v_cmp_lt_i32_e64 s[4:5], v30, v26
	s_and_b64 s[2:3], s[2:3], s[4:5]
	s_andn2_b64 s[4:5], s[20:21], exec
	s_and_b64 s[2:3], s[2:3], exec
	s_or_b64 s[20:21], s[4:5], s[2:3]
; %bb.12:                               ;   in Loop: Header=BB303_10 Depth=1
	s_or_b64 exec, exec, s[22:23]
	s_and_saveexec_b64 s[2:3], s[20:21]
; %bb.13:                               ;   in Loop: Header=BB303_10 Depth=1
	v_mov_b32_e32 v27, v31
	v_mov_b32_e32 v28, v29
	;; [unrolled: 1-line block ×3, first 2 shown]
; %bb.14:                               ;   in Loop: Header=BB303_10 Depth=1
	s_or_b64 exec, exec, s[2:3]
	ds_bpermute_b32 v29, v22, v28
	ds_bpermute_b32 v31, v22, v27
	;; [unrolled: 1-line block ×3, first 2 shown]
	s_waitcnt lgkmcnt(2)
	v_cmp_lt_f32_e64 s[20:21], v28, v29
	v_cmp_nlt_f32_e64 s[2:3], v28, v29
	s_and_saveexec_b64 s[22:23], s[2:3]
	s_cbranch_execz .LBB303_16
; %bb.15:                               ;   in Loop: Header=BB303_10 Depth=1
	v_cmp_eq_f32_e64 s[2:3], v28, v29
	s_waitcnt lgkmcnt(0)
	v_cmp_lt_i32_e64 s[4:5], v30, v26
	s_and_b64 s[2:3], s[2:3], s[4:5]
	s_andn2_b64 s[4:5], s[20:21], exec
	s_and_b64 s[2:3], s[2:3], exec
	s_or_b64 s[20:21], s[4:5], s[2:3]
.LBB303_16:                             ;   in Loop: Header=BB303_10 Depth=1
	s_or_b64 exec, exec, s[22:23]
	s_and_saveexec_b64 s[2:3], s[20:21]
	s_cbranch_execz .LBB303_18
; %bb.17:                               ;   in Loop: Header=BB303_10 Depth=1
	s_waitcnt lgkmcnt(1)
	v_mov_b32_e32 v27, v31
	v_mov_b32_e32 v28, v29
	s_waitcnt lgkmcnt(0)
	v_mov_b32_e32 v26, v30
.LBB303_18:                             ;   in Loop: Header=BB303_10 Depth=1
	s_or_b64 exec, exec, s[2:3]
	s_waitcnt lgkmcnt(1)
	ds_bpermute_b32 v31, v23, v28
	ds_bpermute_b32 v29, v23, v27
	s_waitcnt lgkmcnt(2)
	ds_bpermute_b32 v30, v23, v26
	s_waitcnt lgkmcnt(2)
	v_cmp_lt_f32_e64 s[20:21], v28, v31
	v_cmp_nlt_f32_e64 s[2:3], v28, v31
	s_and_saveexec_b64 s[22:23], s[2:3]
	s_cbranch_execnz .LBB303_22
; %bb.19:                               ;   in Loop: Header=BB303_10 Depth=1
	s_or_b64 exec, exec, s[22:23]
	s_and_saveexec_b64 s[2:3], s[20:21]
	s_cbranch_execnz .LBB303_23
.LBB303_20:                             ;   in Loop: Header=BB303_10 Depth=1
	s_or_b64 exec, exec, s[2:3]
	s_and_saveexec_b64 s[20:21], s[0:1]
	s_cbranch_execnz .LBB303_24
.LBB303_21:                             ;   in Loop: Header=BB303_10 Depth=1
	s_or_b64 exec, exec, s[20:21]
	s_add_i32 s25, s25, 1
	s_cmp_ge_i32 s25, s8
	s_cbranch_scc1 .LBB303_9
	s_branch .LBB303_25
.LBB303_22:                             ;   in Loop: Header=BB303_10 Depth=1
	v_cmp_eq_f32_e64 s[2:3], v28, v31
	s_waitcnt lgkmcnt(0)
	v_cmp_lt_i32_e64 s[4:5], v30, v26
	s_and_b64 s[2:3], s[2:3], s[4:5]
	s_andn2_b64 s[4:5], s[20:21], exec
	s_and_b64 s[2:3], s[2:3], exec
	s_or_b64 s[20:21], s[4:5], s[2:3]
	s_or_b64 exec, exec, s[22:23]
	s_and_saveexec_b64 s[2:3], s[20:21]
	s_cbranch_execz .LBB303_20
.LBB303_23:                             ;   in Loop: Header=BB303_10 Depth=1
	s_waitcnt lgkmcnt(0)
	v_mov_b32_e32 v26, v30
	v_mov_b32_e32 v27, v29
	s_or_b64 exec, exec, s[2:3]
	s_and_saveexec_b64 s[20:21], s[0:1]
	s_cbranch_execz .LBB303_21
.LBB303_24:                             ;   in Loop: Header=BB303_10 Depth=1
	v_add_u32_e32 v28, s25, v20
	s_waitcnt lgkmcnt(1)
	v_ashrrev_i32_e32 v29, 31, v28
	v_cmp_le_i32_e64 s[2:3], s9, v26
	v_cmp_gt_i32_e64 s[4:5], s10, v26
	s_waitcnt lgkmcnt(0)
	v_lshlrev_b64 v[30:31], 2, v[28:29]
	s_and_b64 s[4:5], s[2:3], s[4:5]
	v_mov_b32_e32 v33, s17
	v_add_co_u32_e64 v32, s[2:3], s16, v30
	v_addc_co_u32_e64 v33, s[2:3], v33, v31, s[2:3]
	global_store_dword v[32:33], v27, off
	v_subrev_u32_e32 v32, s9, v26
	v_ashrrev_i32_e32 v33, 31, v32
	s_and_b64 s[2:3], s[18:19], s[4:5]
	v_lshlrev_b64 v[28:29], 3, v[28:29]
	v_cndmask_b32_e64 v33, 0, v33, s[2:3]
	v_cndmask_b32_e64 v32, 64, v32, s[2:3]
	v_mov_b32_e32 v34, s13
	v_add_co_u32_e64 v28, s[2:3], s12, v28
	v_addc_co_u32_e64 v29, s[2:3], v34, v29, s[2:3]
	global_store_dwordx2 v[28:29], v[32:33], off
	v_mov_b32_e32 v29, s15
	v_add_co_u32_e64 v28, s[2:3], s14, v30
	v_add_f32_e32 v27, v19, v27
	v_addc_co_u32_e64 v29, s[2:3], v29, v31, s[2:3]
	v_cndmask_b32_e32 v19, v19, v27, vcc
	global_store_dword v[28:29], v25, off
	s_or_b64 exec, exec, s[20:21]
	s_add_i32 s25, s25, 1
	s_cmp_ge_i32 s25, s8
	s_cbranch_scc1 .LBB303_9
.LBB303_25:                             ;   in Loop: Header=BB303_10 Depth=1
	v_ashrrev_i32_e32 v28, 31, v26
	v_lshrrev_b32_e32 v27, 29, v28
	v_add_u32_e32 v27, v26, v27
	v_ashrrev_i32_e32 v27, 3, v27
	s_waitcnt lgkmcnt(1)
	v_lshrrev_b32_e32 v29, 29, v27
	v_add_u32_e32 v29, v27, v29
	v_and_b32_e32 v29, -8, v29
	v_sub_u32_e32 v29, v27, v29
	v_cmp_eq_u32_e64 s[2:3], v17, v29
	s_and_saveexec_b64 s[4:5], s[2:3]
	s_cbranch_execz .LBB303_8
; %bb.26:                               ;   in Loop: Header=BB303_10 Depth=1
	v_lshrrev_b32_e32 v28, 26, v28
	v_add_u32_e32 v28, v26, v28
	v_lshlrev_b32_e32 v27, 3, v27
	v_ashrrev_i32_e32 v28, 6, v28
	v_sub_u32_e32 v26, v26, v27
	v_lshl_add_u32 v26, v28, 3, v26
	v_cmp_ne_u32_e64 s[2:3], 7, v26
	v_cndmask_b32_e64 v15, v24, v15, s[2:3]
	v_cmp_ne_u32_e64 s[2:3], 6, v26
	v_cndmask_b32_e64 v14, v24, v14, s[2:3]
	;; [unrolled: 2-line block ×8, first 2 shown]
	s_branch .LBB303_8
.LBB303_27:
                                        ; implicit-def: $vgpr8_vgpr9_vgpr10_vgpr11_vgpr12_vgpr13_vgpr14_vgpr15
	s_andn2_b64 vcc, exec, s[8:9]
	s_cbranch_vccz .LBB303_5
	s_branch .LBB303_6
.LBB303_28:
	v_mov_b32_e32 v19, 0
.LBB303_29:
	v_cmp_eq_u32_e64 s[0:1], 0, v17
	s_and_b64 s[0:1], s[0:1], vcc
	s_and_b64 exec, exec, s[0:1]
	s_cbranch_execz .LBB303_38
; %bb.30:
	s_andn2_b64 vcc, exec, s[6:7]
	s_cbranch_vccnz .LBB303_38
; %bb.31:
	v_cmp_lt_f32_e32 vcc, 0, v19
	s_mov_b32 s2, 0
	v_cndmask_b32_e32 v0, 1.0, v19, vcc
	v_mul_lo_u32 v4, v16, s8
	s_cmp_eq_u32 s8, 1
	s_mov_b64 s[0:1], -1
	s_cbranch_scc1 .LBB303_35
; %bb.32:
	s_and_b32 s2, s8, 0x7ffffffe
	v_mov_b32_e32 v1, v0
	v_mov_b32_e32 v5, s17
	s_mov_b32 s3, s2
	v_mov_b32_e32 v2, v4
.LBB303_33:                             ; =>This Inner Loop Header: Depth=1
	v_ashrrev_i32_e32 v3, 31, v2
	v_lshlrev_b64 v[6:7], 2, v[2:3]
	v_add_co_u32_e32 v6, vcc, s16, v6
	v_addc_co_u32_e32 v7, vcc, v5, v7, vcc
	global_load_dwordx2 v[8:9], v[6:7], off
	s_add_i32 s3, s3, -2
	s_cmp_lg_u32 s3, 0
	v_add_u32_e32 v2, 2, v2
	s_waitcnt vmcnt(0)
	v_div_scale_f32 v3, s[0:1], v1, v1, v9
	v_div_scale_f32 v11, s[0:1], v0, v0, v8
	v_rcp_f32_e32 v12, v3
	v_rcp_f32_e32 v13, v11
	v_div_scale_f32 v10, vcc, v9, v1, v9
	v_fma_f32 v15, -v3, v12, 1.0
	v_fma_f32 v16, -v11, v13, 1.0
	v_fmac_f32_e32 v12, v15, v12
	v_div_scale_f32 v14, s[0:1], v8, v0, v8
	v_fmac_f32_e32 v13, v16, v13
	v_mul_f32_e32 v15, v10, v12
	v_mul_f32_e32 v16, v14, v13
	v_fma_f32 v17, -v3, v15, v10
	v_fma_f32 v18, -v11, v16, v14
	v_fmac_f32_e32 v15, v17, v12
	v_fmac_f32_e32 v16, v18, v13
	v_fma_f32 v3, -v3, v15, v10
	v_fma_f32 v10, -v11, v16, v14
	v_div_fmas_f32 v3, v3, v12, v15
	s_mov_b64 vcc, s[0:1]
	v_div_fixup_f32 v9, v3, v1, v9
	v_div_fmas_f32 v3, v10, v13, v16
	v_div_fixup_f32 v8, v3, v0, v8
	global_store_dwordx2 v[6:7], v[8:9], off
	s_cbranch_scc1 .LBB303_33
; %bb.34:
	s_cmp_lg_u32 s2, s8
	s_cselect_b64 s[0:1], -1, 0
.LBB303_35:
	s_and_b64 vcc, exec, s[0:1]
	s_cbranch_vccz .LBB303_38
; %bb.36:
	v_ashrrev_i32_e32 v1, 31, v4
	v_add_co_u32_e32 v2, vcc, s2, v4
	v_addc_co_u32_e32 v3, vcc, 0, v1, vcc
	v_lshlrev_b64 v[2:3], 2, v[2:3]
	v_mov_b32_e32 v1, s17
	v_add_co_u32_e32 v2, vcc, s16, v2
	s_sub_i32 s0, s8, s2
	v_addc_co_u32_e32 v3, vcc, v1, v3, vcc
.LBB303_37:                             ; =>This Inner Loop Header: Depth=1
	global_load_dword v1, v[2:3], off
	s_add_i32 s0, s0, -1
	s_cmp_lg_u32 s0, 0
	s_waitcnt vmcnt(0)
	v_div_scale_f32 v4, s[2:3], v0, v0, v1
	v_rcp_f32_e32 v5, v4
	v_div_scale_f32 v6, vcc, v1, v0, v1
	v_fma_f32 v7, -v4, v5, 1.0
	v_fmac_f32_e32 v5, v7, v5
	v_mul_f32_e32 v7, v6, v5
	v_fma_f32 v8, -v4, v7, v6
	v_fmac_f32_e32 v7, v8, v5
	v_fma_f32 v4, -v4, v7, v6
	v_div_fmas_f32 v4, v4, v5, v7
	v_div_fixup_f32 v1, v4, v0, v1
	global_store_dword v[2:3], v1, off
	v_add_co_u32_e32 v2, vcc, 4, v2
	v_addc_co_u32_e32 v3, vcc, 0, v3, vcc
	s_cbranch_scc1 .LBB303_37
.LBB303_38:
	s_endpgm
	.section	.rodata,"a",@progbits
	.p2align	6, 0x0
	.amdhsa_kernel _ZN4vllm3moe10topkGatingILi8ELi64ELi4ELi16ELi32El6__halfLNS0_11ScoringFuncE1EEEvPKT5_PKbPfiPT4_PiiiibPKf
		.amdhsa_group_segment_fixed_size 0
		.amdhsa_private_segment_fixed_size 0
		.amdhsa_kernarg_size 72
		.amdhsa_user_sgpr_count 6
		.amdhsa_user_sgpr_private_segment_buffer 1
		.amdhsa_user_sgpr_dispatch_ptr 0
		.amdhsa_user_sgpr_queue_ptr 0
		.amdhsa_user_sgpr_kernarg_segment_ptr 1
		.amdhsa_user_sgpr_dispatch_id 0
		.amdhsa_user_sgpr_flat_scratch_init 0
		.amdhsa_user_sgpr_kernarg_preload_length 0
		.amdhsa_user_sgpr_kernarg_preload_offset 0
		.amdhsa_user_sgpr_private_segment_size 0
		.amdhsa_uses_dynamic_stack 0
		.amdhsa_system_sgpr_private_segment_wavefront_offset 0
		.amdhsa_system_sgpr_workgroup_id_x 1
		.amdhsa_system_sgpr_workgroup_id_y 0
		.amdhsa_system_sgpr_workgroup_id_z 0
		.amdhsa_system_sgpr_workgroup_info 0
		.amdhsa_system_vgpr_workitem_id 1
		.amdhsa_next_free_vgpr 35
		.amdhsa_next_free_sgpr 26
		.amdhsa_accum_offset 36
		.amdhsa_reserve_vcc 1
		.amdhsa_reserve_flat_scratch 0
		.amdhsa_float_round_mode_32 0
		.amdhsa_float_round_mode_16_64 0
		.amdhsa_float_denorm_mode_32 3
		.amdhsa_float_denorm_mode_16_64 3
		.amdhsa_dx10_clamp 1
		.amdhsa_ieee_mode 1
		.amdhsa_fp16_overflow 0
		.amdhsa_tg_split 0
		.amdhsa_exception_fp_ieee_invalid_op 0
		.amdhsa_exception_fp_denorm_src 0
		.amdhsa_exception_fp_ieee_div_zero 0
		.amdhsa_exception_fp_ieee_overflow 0
		.amdhsa_exception_fp_ieee_underflow 0
		.amdhsa_exception_fp_ieee_inexact 0
		.amdhsa_exception_int_div_zero 0
	.end_amdhsa_kernel
	.section	.text._ZN4vllm3moe10topkGatingILi8ELi64ELi4ELi16ELi32El6__halfLNS0_11ScoringFuncE1EEEvPKT5_PKbPfiPT4_PiiiibPKf,"axG",@progbits,_ZN4vllm3moe10topkGatingILi8ELi64ELi4ELi16ELi32El6__halfLNS0_11ScoringFuncE1EEEvPKT5_PKbPfiPT4_PiiiibPKf,comdat
.Lfunc_end303:
	.size	_ZN4vllm3moe10topkGatingILi8ELi64ELi4ELi16ELi32El6__halfLNS0_11ScoringFuncE1EEEvPKT5_PKbPfiPT4_PiiiibPKf, .Lfunc_end303-_ZN4vllm3moe10topkGatingILi8ELi64ELi4ELi16ELi32El6__halfLNS0_11ScoringFuncE1EEEvPKT5_PKbPfiPT4_PiiiibPKf
                                        ; -- End function
	.section	.AMDGPU.csdata,"",@progbits
; Kernel info:
; codeLenInByte = 2892
; NumSgprs: 30
; NumVgprs: 35
; NumAgprs: 0
; TotalNumVgprs: 35
; ScratchSize: 0
; MemoryBound: 0
; FloatMode: 240
; IeeeMode: 1
; LDSByteSize: 0 bytes/workgroup (compile time only)
; SGPRBlocks: 3
; VGPRBlocks: 4
; NumSGPRsForWavesPerEU: 30
; NumVGPRsForWavesPerEU: 35
; AccumOffset: 36
; Occupancy: 8
; WaveLimiterHint : 0
; COMPUTE_PGM_RSRC2:SCRATCH_EN: 0
; COMPUTE_PGM_RSRC2:USER_SGPR: 6
; COMPUTE_PGM_RSRC2:TRAP_HANDLER: 0
; COMPUTE_PGM_RSRC2:TGID_X_EN: 1
; COMPUTE_PGM_RSRC2:TGID_Y_EN: 0
; COMPUTE_PGM_RSRC2:TGID_Z_EN: 0
; COMPUTE_PGM_RSRC2:TIDIG_COMP_CNT: 1
; COMPUTE_PGM_RSRC3_GFX90A:ACCUM_OFFSET: 8
; COMPUTE_PGM_RSRC3_GFX90A:TG_SPLIT: 0
	.section	.text._ZN4vllm3moe10topkGatingILi8ELi128ELi4ELi16ELi64El6__halfLNS0_11ScoringFuncE1EEEvPKT5_PKbPfiPT4_PiiiibPKf,"axG",@progbits,_ZN4vllm3moe10topkGatingILi8ELi128ELi4ELi16ELi64El6__halfLNS0_11ScoringFuncE1EEEvPKT5_PKbPfiPT4_PiiiibPKf,comdat
	.protected	_ZN4vllm3moe10topkGatingILi8ELi128ELi4ELi16ELi64El6__halfLNS0_11ScoringFuncE1EEEvPKT5_PKbPfiPT4_PiiiibPKf ; -- Begin function _ZN4vllm3moe10topkGatingILi8ELi128ELi4ELi16ELi64El6__halfLNS0_11ScoringFuncE1EEEvPKT5_PKbPfiPT4_PiiiibPKf
	.globl	_ZN4vllm3moe10topkGatingILi8ELi128ELi4ELi16ELi64El6__halfLNS0_11ScoringFuncE1EEEvPKT5_PKbPfiPT4_PiiiibPKf
	.p2align	8
	.type	_ZN4vllm3moe10topkGatingILi8ELi128ELi4ELi16ELi64El6__halfLNS0_11ScoringFuncE1EEEvPKT5_PKbPfiPT4_PiiiibPKf,@function
_ZN4vllm3moe10topkGatingILi8ELi128ELi4ELi16ELi64El6__halfLNS0_11ScoringFuncE1EEEvPKT5_PKbPfiPT4_PiiiibPKf: ; @_ZN4vllm3moe10topkGatingILi8ELi128ELi4ELi16ELi64El6__halfLNS0_11ScoringFuncE1EEEvPKT5_PKbPfiPT4_PiiiibPKf
; %bb.0:
	s_load_dword s24, s[4:5], 0x18
	v_bfe_u32 v1, v0, 10, 10
	v_and_b32_e32 v0, 0x3ff, v0
	s_lshl_b32 s0, s6, 4
	v_lshlrev_b32_e32 v1, 2, v1
	v_lshrrev_b32_e32 v2, 4, v0
	v_add3_u32 v17, s0, v1, v2
	s_waitcnt lgkmcnt(0)
	v_cmp_gt_i32_e32 vcc, s24, v17
	s_and_saveexec_b64 s[0:1], vcc
	s_cbranch_execz .LBB304_38
; %bb.1:
	s_load_dwordx4 s[0:3], s[4:5], 0x0
	s_load_dwordx2 s[16:17], s[4:5], 0x10
	s_mov_b64 s[8:9], -1
	s_mov_b64 s[18:19], -1
	s_waitcnt lgkmcnt(0)
	s_cmp_eq_u64 s[2:3], 0
	s_cbranch_scc1 .LBB304_3
; %bb.2:
	v_ashrrev_i32_e32 v1, 31, v17
	v_mov_b32_e32 v3, s3
	v_add_co_u32_e32 v2, vcc, s2, v17
	v_addc_co_u32_e32 v3, vcc, v3, v1, vcc
	global_load_ubyte v1, v[2:3], off
	s_waitcnt vmcnt(0)
	v_and_b32_e32 v1, 1, v1
	v_cmp_eq_u32_e32 vcc, 1, v1
	s_xor_b64 s[2:3], vcc, -1
	s_orn2_b64 s[18:19], s[2:3], exec
.LBB304_3:
	v_lshlrev_b32_e32 v2, 7, v17
	v_ashrrev_i32_e32 v3, 31, v2
	v_lshlrev_b64 v[2:3], 1, v[2:3]
	v_mov_b32_e32 v1, s1
	v_add_co_u32_e32 v2, vcc, s0, v2
	v_and_b32_e32 v21, 15, v0
	v_addc_co_u32_e32 v1, vcc, v1, v3, vcc
	v_lshlrev_b32_e32 v0, 4, v21
	v_add_co_u32_e32 v0, vcc, v2, v0
	v_addc_co_u32_e32 v1, vcc, 0, v1, vcc
	global_load_dwordx4 v[0:3], v[0:1], off
	v_mov_b32_e32 v8, 0x207
	s_load_dwordx2 s[10:11], s[4:5], 0x40
	v_lshlrev_b32_e32 v22, 3, v21
	s_waitcnt lgkmcnt(0)
	s_cmp_eq_u64 s[10:11], 0
	s_waitcnt vmcnt(0)
	v_cvt_f32_f16_e32 v4, v0
	v_cvt_f32_f16_sdwa v0, v0 dst_sel:DWORD dst_unused:UNUSED_PAD src0_sel:WORD_1
	v_cvt_f32_f16_e32 v5, v1
	v_cvt_f32_f16_sdwa v1, v1 dst_sel:DWORD dst_unused:UNUSED_PAD src0_sel:WORD_1
	v_mul_f32_e32 v4, 0xbfb8aa3b, v4
	v_mul_f32_e32 v9, 0xbfb8aa3b, v0
	v_cvt_f32_f16_e32 v6, v2
	v_cvt_f32_f16_sdwa v2, v2 dst_sel:DWORD dst_unused:UNUSED_PAD src0_sel:WORD_1
	v_cvt_f32_f16_e32 v7, v3
	v_cvt_f32_f16_sdwa v3, v3 dst_sel:DWORD dst_unused:UNUSED_PAD src0_sel:WORD_1
	v_mul_f32_e32 v10, 0xbfb8aa3b, v1
	v_exp_f32_e32 v0, v4
	v_exp_f32_e32 v1, v9
	v_mul_f32_e32 v5, 0xbfb8aa3b, v5
	v_mul_f32_e32 v11, 0xbfb8aa3b, v2
	;; [unrolled: 1-line block ×3, first 2 shown]
	v_exp_f32_e32 v2, v5
	v_exp_f32_e32 v3, v10
	v_pk_add_f32 v[0:1], v[0:1], 1.0 op_sel_hi:[1,0]
	v_div_scale_f32 v9, s[0:1], v1, v1, 1.0
	v_rcp_f32_e32 v19, v9
	v_exp_f32_e32 v5, v11
	v_div_scale_f32 v11, s[0:1], v0, v0, 1.0
	v_pk_add_f32 v[2:3], v[2:3], 1.0 op_sel_hi:[1,0]
	v_rcp_f32_e32 v20, v11
	v_div_scale_f32 v13, s[2:3], v3, v3, 1.0
	v_rcp_f32_e32 v23, v13
	v_fma_f32 v26, -v9, v19, 1.0
	v_div_scale_f32 v10, vcc, 1.0, v1, 1.0
	v_div_scale_f32 v15, s[6:7], v2, v2, 1.0
	v_fmac_f32_e32 v19, v26, v19
	v_mul_f32_e32 v6, 0xbfb8aa3b, v6
	v_mul_f32_e32 v7, 0xbfb8aa3b, v7
	v_rcp_f32_e32 v24, v15
	v_fma_f32 v27, -v11, v20, 1.0
	v_mul_f32_e32 v26, v10, v19
	v_exp_f32_e32 v4, v6
	v_exp_f32_e32 v6, v7
	v_exp_f32_e32 v7, v12
	v_div_scale_f32 v12, s[0:1], 1.0, v0, 1.0
	v_fmac_f32_e32 v20, v27, v20
	v_fma_f32 v30, -v9, v26, v10
	v_fma_f32 v28, -v13, v23, 1.0
	v_mul_f32_e32 v27, v12, v20
	v_fmac_f32_e32 v26, v30, v19
	v_div_scale_f32 v14, s[2:3], 1.0, v3, 1.0
	v_fmac_f32_e32 v23, v28, v23
	v_fma_f32 v31, -v11, v27, v12
	v_fma_f32 v9, -v9, v26, v10
	v_fma_f32 v29, -v15, v24, 1.0
	v_mul_f32_e32 v28, v14, v23
	v_fmac_f32_e32 v27, v31, v20
	v_div_fmas_f32 v9, v9, v19, v26
	v_div_scale_f32 v16, s[6:7], 1.0, v2, 1.0
	v_fmac_f32_e32 v24, v29, v24
	v_fma_f32 v32, -v13, v28, v14
	v_fma_f32 v10, -v11, v27, v12
	v_div_fixup_f32 v1, v9, v1, 1.0
	s_mov_b64 vcc, s[0:1]
	v_pk_add_f32 v[4:5], v[4:5], 1.0 op_sel_hi:[1,0]
	v_mul_f32_e32 v29, v16, v24
	v_fmac_f32_e32 v28, v32, v23
	v_div_fmas_f32 v9, v10, v20, v27
	v_cmp_class_f32_e32 vcc, v1, v8
	v_div_scale_f32 v18, s[12:13], v5, v5, 1.0
	v_fma_f32 v33, -v15, v29, v16
	v_fma_f32 v11, -v13, v28, v14
	v_div_fixup_f32 v0, v9, v0, 1.0
	v_cndmask_b32_e64 v1, v1, 0, vcc
	s_mov_b64 vcc, s[2:3]
	v_rcp_f32_e32 v25, v18
	v_fmac_f32_e32 v29, v33, v24
	v_div_fmas_f32 v9, v11, v23, v28
	v_cmp_class_f32_e32 vcc, v0, v8
	v_fma_f32 v12, -v15, v29, v16
	v_cndmask_b32_e64 v0, v0, 0, vcc
	s_mov_b64 vcc, s[6:7]
	v_div_fixup_f32 v3, v9, v3, 1.0
	v_div_fmas_f32 v9, v12, v24, v29
	v_div_fixup_f32 v2, v9, v2, 1.0
	v_cmp_class_f32_e32 vcc, v3, v8
	v_cndmask_b32_e64 v3, v3, 0, vcc
	v_cmp_class_f32_e32 vcc, v2, v8
	v_fma_f32 v9, -v18, v25, 1.0
	v_cndmask_b32_e64 v2, v2, 0, vcc
	v_fmac_f32_e32 v25, v9, v25
	v_div_scale_f32 v9, vcc, 1.0, v5, 1.0
	v_mul_f32_e32 v10, v9, v25
	v_fma_f32 v11, -v18, v10, v9
	v_fmac_f32_e32 v10, v11, v25
	v_div_scale_f32 v11, s[0:1], v4, v4, 1.0
	v_rcp_f32_e32 v12, v11
	v_fma_f32 v9, -v18, v10, v9
	v_div_fmas_f32 v9, v9, v25, v10
	v_div_fixup_f32 v5, v9, v5, 1.0
	v_fma_f32 v9, -v11, v12, 1.0
	v_fmac_f32_e32 v12, v9, v12
	v_div_scale_f32 v9, vcc, 1.0, v4, 1.0
	v_mul_f32_e32 v10, v9, v12
	v_fma_f32 v13, -v11, v10, v9
	v_fmac_f32_e32 v10, v13, v12
	v_fma_f32 v9, -v11, v10, v9
	v_div_fmas_f32 v9, v9, v12, v10
	v_pk_add_f32 v[6:7], v[6:7], 1.0 op_sel_hi:[1,0]
	v_div_fixup_f32 v4, v9, v4, 1.0
	v_div_scale_f32 v9, s[0:1], v7, v7, 1.0
	v_rcp_f32_e32 v10, v9
	v_cmp_class_f32_e32 vcc, v5, v8
	v_cndmask_b32_e64 v5, v5, 0, vcc
	v_cmp_class_f32_e32 vcc, v4, v8
	v_fma_f32 v11, -v9, v10, 1.0
	v_cndmask_b32_e64 v4, v4, 0, vcc
	v_fmac_f32_e32 v10, v11, v10
	v_div_scale_f32 v11, vcc, 1.0, v7, 1.0
	v_mul_f32_e32 v12, v11, v10
	v_fma_f32 v13, -v9, v12, v11
	v_fmac_f32_e32 v12, v13, v10
	v_fma_f32 v9, -v9, v12, v11
	v_div_scale_f32 v11, s[0:1], v6, v6, 1.0
	v_rcp_f32_e32 v13, v11
	v_div_fmas_f32 v9, v9, v10, v12
	v_div_fixup_f32 v7, v9, v7, 1.0
	v_fma_f32 v9, -v11, v13, 1.0
	v_fmac_f32_e32 v13, v9, v13
	v_div_scale_f32 v9, vcc, 1.0, v6, 1.0
	v_mul_f32_e32 v10, v9, v13
	v_fma_f32 v12, -v11, v10, v9
	v_fmac_f32_e32 v10, v12, v13
	v_fma_f32 v9, -v11, v10, v9
	v_div_fmas_f32 v9, v9, v13, v10
	v_div_fixup_f32 v6, v9, v6, 1.0
	v_cmp_class_f32_e32 vcc, v7, v8
	v_cndmask_b32_e64 v7, v7, 0, vcc
	v_cmp_class_f32_e32 vcc, v6, v8
	v_cndmask_b32_e64 v6, v6, 0, vcc
	s_cbranch_scc1 .LBB304_27
; %bb.4:
	v_lshlrev_b32_e32 v16, 2, v22
	global_load_dwordx4 v[8:11], v16, s[10:11]
	global_load_dwordx4 v[12:15], v16, s[10:11] offset:16
	s_waitcnt vmcnt(1)
	v_pk_add_f32 v[8:9], v[8:9], v[0:1]
	v_pk_add_f32 v[10:11], v[10:11], v[2:3]
	s_waitcnt vmcnt(0)
	v_pk_add_f32 v[12:13], v[12:13], v[4:5]
	v_pk_add_f32 v[14:15], v[14:15], v[6:7]
	s_cbranch_execnz .LBB304_6
.LBB304_5:
	v_pk_mov_b32 v[14:15], v[6:7], v[6:7] op_sel:[0,1]
	v_pk_mov_b32 v[12:13], v[4:5], v[4:5] op_sel:[0,1]
	;; [unrolled: 1-line block ×4, first 2 shown]
.LBB304_6:
	s_load_dwordx4 s[8:11], s[4:5], 0x30
	s_mov_b32 s25, 0
	v_cmp_eq_u32_e64 s[0:1], 0, v21
	s_waitcnt lgkmcnt(0)
	s_bitcmp1_b32 s11, 0
	s_cselect_b64 vcc, -1, 0
	s_cmp_gt_i32 s8, 0
	s_cselect_b64 s[20:21], -1, 0
	s_cmp_lt_i32 s8, 1
	s_cbranch_scc1 .LBB304_28
; %bb.7:
	v_mbcnt_lo_u32_b32 v16, -1, 0
	v_mbcnt_hi_u32_b32 v16, -1, v16
	v_and_b32_e32 v18, 0x70, v16
	v_add_u32_e32 v18, 16, v18
	v_xor_b32_e32 v19, 8, v16
	v_cmp_lt_i32_e64 s[2:3], v19, v18
	v_cndmask_b32_e64 v19, v16, v19, s[2:3]
	v_lshlrev_b32_e32 v25, 2, v19
	v_xor_b32_e32 v19, 4, v16
	v_cmp_lt_i32_e64 s[2:3], v19, v18
	v_cndmask_b32_e64 v19, v16, v19, s[2:3]
	v_lshlrev_b32_e32 v26, 2, v19
	v_xor_b32_e32 v19, 2, v16
	v_cmp_lt_i32_e64 s[2:3], v19, v18
	s_load_dwordx4 s[12:15], s[4:5], 0x20
	v_cndmask_b32_e64 v19, v16, v19, s[2:3]
	v_lshlrev_b32_e32 v27, 2, v19
	v_xor_b32_e32 v19, 1, v16
	v_cmp_lt_i32_e64 s[2:3], v19, v18
	v_cndmask_b32_e64 v16, v16, v19, s[2:3]
	v_mul_lo_u32 v24, v17, s8
	v_lshlrev_b32_e32 v28, 2, v16
	v_mov_b32_e32 v23, 0
	v_mov_b32_e32 v29, 0x80
	;; [unrolled: 1-line block ×4, first 2 shown]
	s_branch .LBB304_10
.LBB304_8:                              ;   in Loop: Header=BB304_10 Depth=1
	s_or_b64 exec, exec, s[4:5]
.LBB304_9:                              ;   in Loop: Header=BB304_10 Depth=1
	s_cmp_eq_u32 s8, s25
	v_add_u32_e32 v31, s24, v31
	s_cbranch_scc1 .LBB304_29
.LBB304_10:                             ; =>This Inner Loop Header: Depth=1
	v_cmp_gt_f32_e64 s[2:3], v9, v8
	s_waitcnt lgkmcnt(0)
	v_cndmask_b32_e64 v19, v8, v9, s[2:3]
	v_cndmask_b32_e64 v16, 0, 1, s[2:3]
	v_cndmask_b32_e64 v18, v0, v1, s[2:3]
	v_cmp_gt_f32_e64 s[2:3], v10, v19
	v_cndmask_b32_e64 v19, v19, v10, s[2:3]
	v_cndmask_b32_e64 v16, v16, 2, s[2:3]
	v_cndmask_b32_e64 v18, v18, v2, s[2:3]
	v_cmp_gt_f32_e64 s[2:3], v11, v19
	;; [unrolled: 4-line block ×6, first 2 shown]
	v_cndmask_b32_e64 v16, v16, 7, s[2:3]
	v_cndmask_b32_e64 v32, v19, v15, s[2:3]
	v_or_b32_e32 v33, v22, v16
	v_cndmask_b32_e64 v16, v18, v7, s[2:3]
	ds_bpermute_b32 v35, v25, v32
	ds_bpermute_b32 v20, v25, v16
	;; [unrolled: 1-line block ×3, first 2 shown]
                                        ; implicit-def: $vgpr18_vgpr19
	s_waitcnt lgkmcnt(0)
	v_cmp_lt_f32_e64 s[6:7], v32, v35
	v_cmp_nlt_f32_e64 s[2:3], v32, v35
	s_and_saveexec_b64 s[22:23], s[2:3]
; %bb.11:                               ;   in Loop: Header=BB304_10 Depth=1
	v_cmp_eq_f32_e64 s[2:3], v32, v35
	v_cmp_lt_i32_e64 s[4:5], v34, v33
	s_and_b64 s[2:3], s[2:3], s[4:5]
	s_andn2_b64 s[4:5], s[6:7], exec
	s_and_b64 s[2:3], s[2:3], exec
	s_or_b64 s[6:7], s[4:5], s[2:3]
	v_pk_mov_b32 v[18:19], v[16:17], v[16:17] op_sel:[0,1]
; %bb.12:                               ;   in Loop: Header=BB304_10 Depth=1
	s_or_b64 exec, exec, s[22:23]
	s_and_saveexec_b64 s[2:3], s[6:7]
; %bb.13:                               ;   in Loop: Header=BB304_10 Depth=1
	v_mov_b32_e32 v32, v35
	v_mov_b32_e32 v16, v20
	;; [unrolled: 1-line block ×3, first 2 shown]
	v_pk_mov_b32 v[18:19], v[20:21], v[20:21] op_sel:[0,1]
; %bb.14:                               ;   in Loop: Header=BB304_10 Depth=1
	s_or_b64 exec, exec, s[2:3]
	ds_bpermute_b32 v34, v26, v32
	ds_bpermute_b32 v20, v26, v16
	;; [unrolled: 1-line block ×3, first 2 shown]
	s_waitcnt lgkmcnt(2)
	v_cmp_lt_f32_e64 s[6:7], v32, v34
	v_cmp_nlt_f32_e64 s[2:3], v32, v34
	s_and_saveexec_b64 s[22:23], s[2:3]
	s_cbranch_execz .LBB304_16
; %bb.15:                               ;   in Loop: Header=BB304_10 Depth=1
	v_cmp_eq_f32_e64 s[2:3], v32, v34
	s_waitcnt lgkmcnt(0)
	v_cmp_lt_i32_e64 s[4:5], v19, v33
	s_and_b64 s[2:3], s[2:3], s[4:5]
	s_andn2_b64 s[4:5], s[6:7], exec
	s_and_b64 s[2:3], s[2:3], exec
	s_or_b64 s[6:7], s[4:5], s[2:3]
.LBB304_16:                             ;   in Loop: Header=BB304_10 Depth=1
	s_or_b64 exec, exec, s[22:23]
	s_and_saveexec_b64 s[2:3], s[6:7]
	s_cbranch_execz .LBB304_18
; %bb.17:                               ;   in Loop: Header=BB304_10 Depth=1
	v_mov_b32_e32 v32, v34
	s_waitcnt lgkmcnt(1)
	v_mov_b32_e32 v16, v20
	s_waitcnt lgkmcnt(0)
	v_mov_b32_e32 v33, v19
	v_pk_mov_b32 v[18:19], v[20:21], v[20:21] op_sel:[0,1]
.LBB304_18:                             ;   in Loop: Header=BB304_10 Depth=1
	s_or_b64 exec, exec, s[2:3]
	ds_bpermute_b32 v34, v27, v32
	s_waitcnt lgkmcnt(2)
	ds_bpermute_b32 v20, v27, v16
	s_waitcnt lgkmcnt(2)
	;; [unrolled: 2-line block ×3, first 2 shown]
	v_cmp_lt_f32_e64 s[6:7], v32, v34
	v_cmp_nlt_f32_e64 s[2:3], v32, v34
	s_and_saveexec_b64 s[22:23], s[2:3]
	s_cbranch_execz .LBB304_20
; %bb.19:                               ;   in Loop: Header=BB304_10 Depth=1
	v_cmp_eq_f32_e64 s[2:3], v32, v34
	s_waitcnt lgkmcnt(0)
	v_cmp_lt_i32_e64 s[4:5], v19, v33
	s_and_b64 s[2:3], s[2:3], s[4:5]
	s_andn2_b64 s[4:5], s[6:7], exec
	s_and_b64 s[2:3], s[2:3], exec
	s_or_b64 s[6:7], s[4:5], s[2:3]
.LBB304_20:                             ;   in Loop: Header=BB304_10 Depth=1
	s_or_b64 exec, exec, s[22:23]
	s_and_saveexec_b64 s[2:3], s[6:7]
	s_cbranch_execz .LBB304_22
; %bb.21:                               ;   in Loop: Header=BB304_10 Depth=1
	v_mov_b32_e32 v32, v34
	s_waitcnt lgkmcnt(1)
	v_mov_b32_e32 v16, v20
	s_waitcnt lgkmcnt(0)
	v_mov_b32_e32 v33, v19
	v_pk_mov_b32 v[18:19], v[20:21], v[20:21] op_sel:[0,1]
.LBB304_22:                             ;   in Loop: Header=BB304_10 Depth=1
	s_or_b64 exec, exec, s[2:3]
	s_waitcnt lgkmcnt(1)
	ds_bpermute_b32 v20, v28, v32
	ds_bpermute_b32 v34, v28, v33
	s_waitcnt lgkmcnt(2)
	ds_bpermute_b32 v19, v28, v16
	s_waitcnt lgkmcnt(2)
	v_cmp_eq_f32_e64 s[4:5], v32, v20
	s_waitcnt lgkmcnt(1)
	v_cmp_lt_i32_e64 s[6:7], v34, v33
	v_cmp_lt_f32_e64 s[2:3], v32, v20
	s_and_b64 s[4:5], s[4:5], s[6:7]
	s_or_b64 s[2:3], s[2:3], s[4:5]
	v_cndmask_b32_e64 v16, v33, v34, s[2:3]
	s_and_saveexec_b64 s[6:7], s[0:1]
	s_cbranch_execnz .LBB304_24
; %bb.23:                               ;   in Loop: Header=BB304_10 Depth=1
	s_or_b64 exec, exec, s[6:7]
	s_add_i32 s25, s25, 1
	s_cmp_ge_i32 s25, s8
	s_cbranch_scc1 .LBB304_9
	s_branch .LBB304_25
.LBB304_24:                             ;   in Loop: Header=BB304_10 Depth=1
	s_waitcnt lgkmcnt(0)
	v_cndmask_b32_e64 v20, v18, v19, s[2:3]
	v_add_u32_e32 v18, s25, v24
	v_ashrrev_i32_e32 v19, 31, v18
	v_cmp_le_i32_e64 s[2:3], s9, v16
	v_cmp_gt_i32_e64 s[4:5], s10, v16
	v_lshlrev_b64 v[32:33], 2, v[18:19]
	s_and_b64 s[4:5], s[2:3], s[4:5]
	v_mov_b32_e32 v35, s17
	v_add_co_u32_e64 v34, s[2:3], s16, v32
	v_addc_co_u32_e64 v35, s[2:3], v35, v33, s[2:3]
	global_store_dword v[34:35], v20, off
	v_subrev_u32_e32 v34, s9, v16
	v_ashrrev_i32_e32 v35, 31, v34
	s_and_b64 s[2:3], s[18:19], s[4:5]
	v_lshlrev_b64 v[18:19], 3, v[18:19]
	v_cndmask_b32_e64 v35, 0, v35, s[2:3]
	v_cndmask_b32_e64 v34, v29, v34, s[2:3]
	v_mov_b32_e32 v36, s13
	v_add_co_u32_e64 v18, s[2:3], s12, v18
	v_addc_co_u32_e64 v19, s[2:3], v36, v19, s[2:3]
	global_store_dwordx2 v[18:19], v[34:35], off
	v_mov_b32_e32 v19, s15
	v_add_co_u32_e64 v18, s[2:3], s14, v32
	v_addc_co_u32_e64 v19, s[2:3], v19, v33, s[2:3]
	global_store_dword v[18:19], v31, off
	v_add_f32_e32 v18, v23, v20
	v_cndmask_b32_e32 v23, v23, v18, vcc
	s_or_b64 exec, exec, s[6:7]
	s_add_i32 s25, s25, 1
	s_cmp_ge_i32 s25, s8
	s_cbranch_scc1 .LBB304_9
.LBB304_25:                             ;   in Loop: Header=BB304_10 Depth=1
	s_waitcnt lgkmcnt(0)
	v_ashrrev_i32_e32 v19, 31, v16
	v_lshrrev_b32_e32 v18, 29, v19
	v_add_u32_e32 v18, v16, v18
	v_ashrrev_i32_e32 v18, 3, v18
	v_lshrrev_b32_e32 v20, 28, v18
	v_add_u32_e32 v20, v18, v20
	v_and_b32_e32 v20, -16, v20
	v_sub_u32_e32 v20, v18, v20
	v_cmp_eq_u32_e64 s[2:3], v21, v20
	s_and_saveexec_b64 s[4:5], s[2:3]
	s_cbranch_execz .LBB304_8
; %bb.26:                               ;   in Loop: Header=BB304_10 Depth=1
	v_lshrrev_b32_e32 v19, 25, v19
	v_add_u32_e32 v19, v16, v19
	v_lshlrev_b32_e32 v18, 3, v18
	v_ashrrev_i32_e32 v19, 7, v19
	v_sub_u32_e32 v16, v16, v18
	v_lshl_add_u32 v16, v19, 3, v16
	v_cmp_ne_u32_e64 s[2:3], 7, v16
	v_cndmask_b32_e64 v15, v30, v15, s[2:3]
	v_cmp_ne_u32_e64 s[2:3], 6, v16
	v_cndmask_b32_e64 v14, v30, v14, s[2:3]
	;; [unrolled: 2-line block ×8, first 2 shown]
	s_branch .LBB304_8
.LBB304_27:
                                        ; implicit-def: $vgpr8_vgpr9_vgpr10_vgpr11_vgpr12_vgpr13_vgpr14_vgpr15
	s_andn2_b64 vcc, exec, s[8:9]
	s_cbranch_vccz .LBB304_5
	s_branch .LBB304_6
.LBB304_28:
	v_mov_b32_e32 v23, 0
.LBB304_29:
	v_cmp_eq_u32_e64 s[0:1], 0, v21
	s_and_b64 s[0:1], s[0:1], vcc
	s_and_b64 exec, exec, s[0:1]
	s_cbranch_execz .LBB304_38
; %bb.30:
	s_andn2_b64 vcc, exec, s[20:21]
	s_cbranch_vccnz .LBB304_38
; %bb.31:
	v_cmp_lt_f32_e32 vcc, 0, v23
	s_mov_b32 s2, 0
	v_cndmask_b32_e32 v0, 1.0, v23, vcc
	v_mul_lo_u32 v4, v17, s8
	s_cmp_eq_u32 s8, 1
	s_mov_b64 s[0:1], -1
	s_cbranch_scc1 .LBB304_35
; %bb.32:
	s_and_b32 s2, s8, 0x7ffffffe
	v_mov_b32_e32 v1, v0
	v_mov_b32_e32 v5, s17
	s_mov_b32 s3, s2
	v_mov_b32_e32 v2, v4
.LBB304_33:                             ; =>This Inner Loop Header: Depth=1
	v_ashrrev_i32_e32 v3, 31, v2
	v_lshlrev_b64 v[6:7], 2, v[2:3]
	v_add_co_u32_e32 v6, vcc, s16, v6
	v_addc_co_u32_e32 v7, vcc, v5, v7, vcc
	global_load_dwordx2 v[8:9], v[6:7], off
	s_add_i32 s3, s3, -2
	s_cmp_lg_u32 s3, 0
	v_add_u32_e32 v2, 2, v2
	s_waitcnt vmcnt(0)
	v_div_scale_f32 v3, s[0:1], v1, v1, v9
	v_div_scale_f32 v11, s[0:1], v0, v0, v8
	v_rcp_f32_e32 v12, v3
	v_rcp_f32_e32 v13, v11
	v_div_scale_f32 v10, vcc, v9, v1, v9
	v_fma_f32 v15, -v3, v12, 1.0
	v_fma_f32 v16, -v11, v13, 1.0
	v_fmac_f32_e32 v12, v15, v12
	v_div_scale_f32 v14, s[0:1], v8, v0, v8
	v_fmac_f32_e32 v13, v16, v13
	v_mul_f32_e32 v15, v10, v12
	v_mul_f32_e32 v16, v14, v13
	v_fma_f32 v17, -v3, v15, v10
	v_fma_f32 v18, -v11, v16, v14
	v_fmac_f32_e32 v15, v17, v12
	v_fmac_f32_e32 v16, v18, v13
	v_fma_f32 v3, -v3, v15, v10
	v_fma_f32 v10, -v11, v16, v14
	v_div_fmas_f32 v3, v3, v12, v15
	s_mov_b64 vcc, s[0:1]
	v_div_fixup_f32 v9, v3, v1, v9
	v_div_fmas_f32 v3, v10, v13, v16
	v_div_fixup_f32 v8, v3, v0, v8
	global_store_dwordx2 v[6:7], v[8:9], off
	s_cbranch_scc1 .LBB304_33
; %bb.34:
	s_cmp_lg_u32 s2, s8
	s_cselect_b64 s[0:1], -1, 0
.LBB304_35:
	s_and_b64 vcc, exec, s[0:1]
	s_cbranch_vccz .LBB304_38
; %bb.36:
	v_ashrrev_i32_e32 v1, 31, v4
	v_add_co_u32_e32 v2, vcc, s2, v4
	v_addc_co_u32_e32 v3, vcc, 0, v1, vcc
	v_lshlrev_b64 v[2:3], 2, v[2:3]
	v_mov_b32_e32 v1, s17
	v_add_co_u32_e32 v2, vcc, s16, v2
	s_sub_i32 s0, s8, s2
	v_addc_co_u32_e32 v3, vcc, v1, v3, vcc
.LBB304_37:                             ; =>This Inner Loop Header: Depth=1
	global_load_dword v1, v[2:3], off
	s_add_i32 s0, s0, -1
	s_cmp_lg_u32 s0, 0
	s_waitcnt vmcnt(0)
	v_div_scale_f32 v4, s[2:3], v0, v0, v1
	v_rcp_f32_e32 v5, v4
	v_div_scale_f32 v6, vcc, v1, v0, v1
	v_fma_f32 v7, -v4, v5, 1.0
	v_fmac_f32_e32 v5, v7, v5
	v_mul_f32_e32 v7, v6, v5
	v_fma_f32 v8, -v4, v7, v6
	v_fmac_f32_e32 v7, v8, v5
	v_fma_f32 v4, -v4, v7, v6
	v_div_fmas_f32 v4, v4, v5, v7
	v_div_fixup_f32 v1, v4, v0, v1
	global_store_dword v[2:3], v1, off
	v_add_co_u32_e32 v2, vcc, 4, v2
	v_addc_co_u32_e32 v3, vcc, 0, v3, vcc
	s_cbranch_scc1 .LBB304_37
.LBB304_38:
	s_endpgm
	.section	.rodata,"a",@progbits
	.p2align	6, 0x0
	.amdhsa_kernel _ZN4vllm3moe10topkGatingILi8ELi128ELi4ELi16ELi64El6__halfLNS0_11ScoringFuncE1EEEvPKT5_PKbPfiPT4_PiiiibPKf
		.amdhsa_group_segment_fixed_size 0
		.amdhsa_private_segment_fixed_size 0
		.amdhsa_kernarg_size 72
		.amdhsa_user_sgpr_count 6
		.amdhsa_user_sgpr_private_segment_buffer 1
		.amdhsa_user_sgpr_dispatch_ptr 0
		.amdhsa_user_sgpr_queue_ptr 0
		.amdhsa_user_sgpr_kernarg_segment_ptr 1
		.amdhsa_user_sgpr_dispatch_id 0
		.amdhsa_user_sgpr_flat_scratch_init 0
		.amdhsa_user_sgpr_kernarg_preload_length 0
		.amdhsa_user_sgpr_kernarg_preload_offset 0
		.amdhsa_user_sgpr_private_segment_size 0
		.amdhsa_uses_dynamic_stack 0
		.amdhsa_system_sgpr_private_segment_wavefront_offset 0
		.amdhsa_system_sgpr_workgroup_id_x 1
		.amdhsa_system_sgpr_workgroup_id_y 0
		.amdhsa_system_sgpr_workgroup_id_z 0
		.amdhsa_system_sgpr_workgroup_info 0
		.amdhsa_system_vgpr_workitem_id 1
		.amdhsa_next_free_vgpr 37
		.amdhsa_next_free_sgpr 26
		.amdhsa_accum_offset 40
		.amdhsa_reserve_vcc 1
		.amdhsa_reserve_flat_scratch 0
		.amdhsa_float_round_mode_32 0
		.amdhsa_float_round_mode_16_64 0
		.amdhsa_float_denorm_mode_32 3
		.amdhsa_float_denorm_mode_16_64 3
		.amdhsa_dx10_clamp 1
		.amdhsa_ieee_mode 1
		.amdhsa_fp16_overflow 0
		.amdhsa_tg_split 0
		.amdhsa_exception_fp_ieee_invalid_op 0
		.amdhsa_exception_fp_denorm_src 0
		.amdhsa_exception_fp_ieee_div_zero 0
		.amdhsa_exception_fp_ieee_overflow 0
		.amdhsa_exception_fp_ieee_underflow 0
		.amdhsa_exception_fp_ieee_inexact 0
		.amdhsa_exception_int_div_zero 0
	.end_amdhsa_kernel
	.section	.text._ZN4vllm3moe10topkGatingILi8ELi128ELi4ELi16ELi64El6__halfLNS0_11ScoringFuncE1EEEvPKT5_PKbPfiPT4_PiiiibPKf,"axG",@progbits,_ZN4vllm3moe10topkGatingILi8ELi128ELi4ELi16ELi64El6__halfLNS0_11ScoringFuncE1EEEvPKT5_PKbPfiPT4_PiiiibPKf,comdat
.Lfunc_end304:
	.size	_ZN4vllm3moe10topkGatingILi8ELi128ELi4ELi16ELi64El6__halfLNS0_11ScoringFuncE1EEEvPKT5_PKbPfiPT4_PiiiibPKf, .Lfunc_end304-_ZN4vllm3moe10topkGatingILi8ELi128ELi4ELi16ELi64El6__halfLNS0_11ScoringFuncE1EEEvPKT5_PKbPfiPT4_PiiiibPKf
                                        ; -- End function
	.section	.AMDGPU.csdata,"",@progbits
; Kernel info:
; codeLenInByte = 3024
; NumSgprs: 30
; NumVgprs: 37
; NumAgprs: 0
; TotalNumVgprs: 37
; ScratchSize: 0
; MemoryBound: 0
; FloatMode: 240
; IeeeMode: 1
; LDSByteSize: 0 bytes/workgroup (compile time only)
; SGPRBlocks: 3
; VGPRBlocks: 4
; NumSGPRsForWavesPerEU: 30
; NumVGPRsForWavesPerEU: 37
; AccumOffset: 40
; Occupancy: 8
; WaveLimiterHint : 0
; COMPUTE_PGM_RSRC2:SCRATCH_EN: 0
; COMPUTE_PGM_RSRC2:USER_SGPR: 6
; COMPUTE_PGM_RSRC2:TRAP_HANDLER: 0
; COMPUTE_PGM_RSRC2:TGID_X_EN: 1
; COMPUTE_PGM_RSRC2:TGID_Y_EN: 0
; COMPUTE_PGM_RSRC2:TGID_Z_EN: 0
; COMPUTE_PGM_RSRC2:TIDIG_COMP_CNT: 1
; COMPUTE_PGM_RSRC3_GFX90A:ACCUM_OFFSET: 9
; COMPUTE_PGM_RSRC3_GFX90A:TG_SPLIT: 0
	.section	.text._ZN4vllm3moe10topkGatingILi8ELi128ELi4ELi16ELi32El6__halfLNS0_11ScoringFuncE1EEEvPKT5_PKbPfiPT4_PiiiibPKf,"axG",@progbits,_ZN4vllm3moe10topkGatingILi8ELi128ELi4ELi16ELi32El6__halfLNS0_11ScoringFuncE1EEEvPKT5_PKbPfiPT4_PiiiibPKf,comdat
	.protected	_ZN4vllm3moe10topkGatingILi8ELi128ELi4ELi16ELi32El6__halfLNS0_11ScoringFuncE1EEEvPKT5_PKbPfiPT4_PiiiibPKf ; -- Begin function _ZN4vllm3moe10topkGatingILi8ELi128ELi4ELi16ELi32El6__halfLNS0_11ScoringFuncE1EEEvPKT5_PKbPfiPT4_PiiiibPKf
	.globl	_ZN4vllm3moe10topkGatingILi8ELi128ELi4ELi16ELi32El6__halfLNS0_11ScoringFuncE1EEEvPKT5_PKbPfiPT4_PiiiibPKf
	.p2align	8
	.type	_ZN4vllm3moe10topkGatingILi8ELi128ELi4ELi16ELi32El6__halfLNS0_11ScoringFuncE1EEEvPKT5_PKbPfiPT4_PiiiibPKf,@function
_ZN4vllm3moe10topkGatingILi8ELi128ELi4ELi16ELi32El6__halfLNS0_11ScoringFuncE1EEEvPKT5_PKbPfiPT4_PiiiibPKf: ; @_ZN4vllm3moe10topkGatingILi8ELi128ELi4ELi16ELi32El6__halfLNS0_11ScoringFuncE1EEEvPKT5_PKbPfiPT4_PiiiibPKf
; %bb.0:
	s_load_dword s24, s[4:5], 0x18
	v_bfe_u32 v1, v0, 10, 10
	v_and_b32_e32 v0, 0x3ff, v0
	s_lshl_b32 s0, s6, 3
	v_lshlrev_b32_e32 v1, 1, v1
	v_lshrrev_b32_e32 v2, 4, v0
	v_add3_u32 v17, s0, v1, v2
	s_waitcnt lgkmcnt(0)
	v_cmp_gt_i32_e32 vcc, s24, v17
	s_and_saveexec_b64 s[0:1], vcc
	s_cbranch_execz .LBB305_38
; %bb.1:
	s_load_dwordx4 s[0:3], s[4:5], 0x0
	s_load_dwordx2 s[16:17], s[4:5], 0x10
	s_mov_b64 s[8:9], -1
	s_mov_b64 s[18:19], -1
	s_waitcnt lgkmcnt(0)
	s_cmp_eq_u64 s[2:3], 0
	s_cbranch_scc1 .LBB305_3
; %bb.2:
	v_ashrrev_i32_e32 v1, 31, v17
	v_mov_b32_e32 v3, s3
	v_add_co_u32_e32 v2, vcc, s2, v17
	v_addc_co_u32_e32 v3, vcc, v3, v1, vcc
	global_load_ubyte v1, v[2:3], off
	s_waitcnt vmcnt(0)
	v_and_b32_e32 v1, 1, v1
	v_cmp_eq_u32_e32 vcc, 1, v1
	s_xor_b64 s[2:3], vcc, -1
	s_orn2_b64 s[18:19], s[2:3], exec
.LBB305_3:
	v_lshlrev_b32_e32 v2, 7, v17
	v_ashrrev_i32_e32 v3, 31, v2
	v_lshlrev_b64 v[2:3], 1, v[2:3]
	v_mov_b32_e32 v1, s1
	v_add_co_u32_e32 v2, vcc, s0, v2
	v_and_b32_e32 v21, 15, v0
	v_addc_co_u32_e32 v1, vcc, v1, v3, vcc
	v_lshlrev_b32_e32 v0, 4, v21
	v_add_co_u32_e32 v0, vcc, v2, v0
	v_addc_co_u32_e32 v1, vcc, 0, v1, vcc
	global_load_dwordx4 v[0:3], v[0:1], off
	v_mov_b32_e32 v8, 0x207
	s_load_dwordx2 s[10:11], s[4:5], 0x40
	v_lshlrev_b32_e32 v22, 3, v21
	s_waitcnt lgkmcnt(0)
	s_cmp_eq_u64 s[10:11], 0
	s_waitcnt vmcnt(0)
	v_cvt_f32_f16_e32 v4, v0
	v_cvt_f32_f16_sdwa v0, v0 dst_sel:DWORD dst_unused:UNUSED_PAD src0_sel:WORD_1
	v_cvt_f32_f16_e32 v5, v1
	v_cvt_f32_f16_sdwa v1, v1 dst_sel:DWORD dst_unused:UNUSED_PAD src0_sel:WORD_1
	v_mul_f32_e32 v4, 0xbfb8aa3b, v4
	v_mul_f32_e32 v9, 0xbfb8aa3b, v0
	v_cvt_f32_f16_e32 v6, v2
	v_cvt_f32_f16_sdwa v2, v2 dst_sel:DWORD dst_unused:UNUSED_PAD src0_sel:WORD_1
	v_cvt_f32_f16_e32 v7, v3
	v_cvt_f32_f16_sdwa v3, v3 dst_sel:DWORD dst_unused:UNUSED_PAD src0_sel:WORD_1
	v_mul_f32_e32 v10, 0xbfb8aa3b, v1
	v_exp_f32_e32 v0, v4
	v_exp_f32_e32 v1, v9
	v_mul_f32_e32 v5, 0xbfb8aa3b, v5
	v_mul_f32_e32 v11, 0xbfb8aa3b, v2
	;; [unrolled: 1-line block ×3, first 2 shown]
	v_exp_f32_e32 v2, v5
	v_exp_f32_e32 v3, v10
	v_pk_add_f32 v[0:1], v[0:1], 1.0 op_sel_hi:[1,0]
	v_div_scale_f32 v9, s[0:1], v1, v1, 1.0
	v_rcp_f32_e32 v19, v9
	v_exp_f32_e32 v5, v11
	v_div_scale_f32 v11, s[0:1], v0, v0, 1.0
	v_pk_add_f32 v[2:3], v[2:3], 1.0 op_sel_hi:[1,0]
	v_rcp_f32_e32 v20, v11
	v_div_scale_f32 v13, s[2:3], v3, v3, 1.0
	v_rcp_f32_e32 v23, v13
	v_fma_f32 v26, -v9, v19, 1.0
	v_div_scale_f32 v10, vcc, 1.0, v1, 1.0
	v_div_scale_f32 v15, s[6:7], v2, v2, 1.0
	v_fmac_f32_e32 v19, v26, v19
	v_mul_f32_e32 v6, 0xbfb8aa3b, v6
	v_mul_f32_e32 v7, 0xbfb8aa3b, v7
	v_rcp_f32_e32 v24, v15
	v_fma_f32 v27, -v11, v20, 1.0
	v_mul_f32_e32 v26, v10, v19
	v_exp_f32_e32 v4, v6
	v_exp_f32_e32 v6, v7
	v_exp_f32_e32 v7, v12
	v_div_scale_f32 v12, s[0:1], 1.0, v0, 1.0
	v_fmac_f32_e32 v20, v27, v20
	v_fma_f32 v30, -v9, v26, v10
	v_fma_f32 v28, -v13, v23, 1.0
	v_mul_f32_e32 v27, v12, v20
	v_fmac_f32_e32 v26, v30, v19
	v_div_scale_f32 v14, s[2:3], 1.0, v3, 1.0
	v_fmac_f32_e32 v23, v28, v23
	v_fma_f32 v31, -v11, v27, v12
	v_fma_f32 v9, -v9, v26, v10
	v_fma_f32 v29, -v15, v24, 1.0
	v_mul_f32_e32 v28, v14, v23
	v_fmac_f32_e32 v27, v31, v20
	v_div_fmas_f32 v9, v9, v19, v26
	v_div_scale_f32 v16, s[6:7], 1.0, v2, 1.0
	v_fmac_f32_e32 v24, v29, v24
	v_fma_f32 v32, -v13, v28, v14
	v_fma_f32 v10, -v11, v27, v12
	v_div_fixup_f32 v1, v9, v1, 1.0
	s_mov_b64 vcc, s[0:1]
	v_pk_add_f32 v[4:5], v[4:5], 1.0 op_sel_hi:[1,0]
	v_mul_f32_e32 v29, v16, v24
	v_fmac_f32_e32 v28, v32, v23
	v_div_fmas_f32 v9, v10, v20, v27
	v_cmp_class_f32_e32 vcc, v1, v8
	v_div_scale_f32 v18, s[12:13], v5, v5, 1.0
	v_fma_f32 v33, -v15, v29, v16
	v_fma_f32 v11, -v13, v28, v14
	v_div_fixup_f32 v0, v9, v0, 1.0
	v_cndmask_b32_e64 v1, v1, 0, vcc
	s_mov_b64 vcc, s[2:3]
	v_rcp_f32_e32 v25, v18
	v_fmac_f32_e32 v29, v33, v24
	v_div_fmas_f32 v9, v11, v23, v28
	v_cmp_class_f32_e32 vcc, v0, v8
	v_fma_f32 v12, -v15, v29, v16
	v_cndmask_b32_e64 v0, v0, 0, vcc
	s_mov_b64 vcc, s[6:7]
	v_div_fixup_f32 v3, v9, v3, 1.0
	v_div_fmas_f32 v9, v12, v24, v29
	v_div_fixup_f32 v2, v9, v2, 1.0
	v_cmp_class_f32_e32 vcc, v3, v8
	v_cndmask_b32_e64 v3, v3, 0, vcc
	v_cmp_class_f32_e32 vcc, v2, v8
	v_fma_f32 v9, -v18, v25, 1.0
	v_cndmask_b32_e64 v2, v2, 0, vcc
	v_fmac_f32_e32 v25, v9, v25
	v_div_scale_f32 v9, vcc, 1.0, v5, 1.0
	v_mul_f32_e32 v10, v9, v25
	v_fma_f32 v11, -v18, v10, v9
	v_fmac_f32_e32 v10, v11, v25
	v_div_scale_f32 v11, s[0:1], v4, v4, 1.0
	v_rcp_f32_e32 v12, v11
	v_fma_f32 v9, -v18, v10, v9
	v_div_fmas_f32 v9, v9, v25, v10
	v_div_fixup_f32 v5, v9, v5, 1.0
	v_fma_f32 v9, -v11, v12, 1.0
	v_fmac_f32_e32 v12, v9, v12
	v_div_scale_f32 v9, vcc, 1.0, v4, 1.0
	v_mul_f32_e32 v10, v9, v12
	v_fma_f32 v13, -v11, v10, v9
	v_fmac_f32_e32 v10, v13, v12
	v_fma_f32 v9, -v11, v10, v9
	v_div_fmas_f32 v9, v9, v12, v10
	v_pk_add_f32 v[6:7], v[6:7], 1.0 op_sel_hi:[1,0]
	v_div_fixup_f32 v4, v9, v4, 1.0
	v_div_scale_f32 v9, s[0:1], v7, v7, 1.0
	v_rcp_f32_e32 v10, v9
	v_cmp_class_f32_e32 vcc, v5, v8
	v_cndmask_b32_e64 v5, v5, 0, vcc
	v_cmp_class_f32_e32 vcc, v4, v8
	v_fma_f32 v11, -v9, v10, 1.0
	v_cndmask_b32_e64 v4, v4, 0, vcc
	v_fmac_f32_e32 v10, v11, v10
	v_div_scale_f32 v11, vcc, 1.0, v7, 1.0
	v_mul_f32_e32 v12, v11, v10
	v_fma_f32 v13, -v9, v12, v11
	v_fmac_f32_e32 v12, v13, v10
	v_fma_f32 v9, -v9, v12, v11
	v_div_scale_f32 v11, s[0:1], v6, v6, 1.0
	v_rcp_f32_e32 v13, v11
	v_div_fmas_f32 v9, v9, v10, v12
	v_div_fixup_f32 v7, v9, v7, 1.0
	v_fma_f32 v9, -v11, v13, 1.0
	v_fmac_f32_e32 v13, v9, v13
	v_div_scale_f32 v9, vcc, 1.0, v6, 1.0
	v_mul_f32_e32 v10, v9, v13
	v_fma_f32 v12, -v11, v10, v9
	v_fmac_f32_e32 v10, v12, v13
	v_fma_f32 v9, -v11, v10, v9
	v_div_fmas_f32 v9, v9, v13, v10
	v_div_fixup_f32 v6, v9, v6, 1.0
	v_cmp_class_f32_e32 vcc, v7, v8
	v_cndmask_b32_e64 v7, v7, 0, vcc
	v_cmp_class_f32_e32 vcc, v6, v8
	v_cndmask_b32_e64 v6, v6, 0, vcc
	s_cbranch_scc1 .LBB305_27
; %bb.4:
	v_lshlrev_b32_e32 v16, 2, v22
	global_load_dwordx4 v[8:11], v16, s[10:11]
	global_load_dwordx4 v[12:15], v16, s[10:11] offset:16
	s_waitcnt vmcnt(1)
	v_pk_add_f32 v[8:9], v[8:9], v[0:1]
	v_pk_add_f32 v[10:11], v[10:11], v[2:3]
	s_waitcnt vmcnt(0)
	v_pk_add_f32 v[12:13], v[12:13], v[4:5]
	v_pk_add_f32 v[14:15], v[14:15], v[6:7]
	s_cbranch_execnz .LBB305_6
.LBB305_5:
	v_pk_mov_b32 v[14:15], v[6:7], v[6:7] op_sel:[0,1]
	v_pk_mov_b32 v[12:13], v[4:5], v[4:5] op_sel:[0,1]
	v_pk_mov_b32 v[10:11], v[2:3], v[2:3] op_sel:[0,1]
	v_pk_mov_b32 v[8:9], v[0:1], v[0:1] op_sel:[0,1]
.LBB305_6:
	s_load_dwordx4 s[8:11], s[4:5], 0x30
	s_mov_b32 s25, 0
	v_cmp_eq_u32_e64 s[0:1], 0, v21
	s_waitcnt lgkmcnt(0)
	s_bitcmp1_b32 s11, 0
	s_cselect_b64 vcc, -1, 0
	s_cmp_gt_i32 s8, 0
	s_cselect_b64 s[20:21], -1, 0
	s_cmp_lt_i32 s8, 1
	s_cbranch_scc1 .LBB305_28
; %bb.7:
	v_mbcnt_lo_u32_b32 v16, -1, 0
	v_mbcnt_hi_u32_b32 v16, -1, v16
	v_and_b32_e32 v18, 0x70, v16
	v_add_u32_e32 v18, 16, v18
	v_xor_b32_e32 v19, 8, v16
	v_cmp_lt_i32_e64 s[2:3], v19, v18
	v_cndmask_b32_e64 v19, v16, v19, s[2:3]
	v_lshlrev_b32_e32 v25, 2, v19
	v_xor_b32_e32 v19, 4, v16
	v_cmp_lt_i32_e64 s[2:3], v19, v18
	v_cndmask_b32_e64 v19, v16, v19, s[2:3]
	v_lshlrev_b32_e32 v26, 2, v19
	v_xor_b32_e32 v19, 2, v16
	v_cmp_lt_i32_e64 s[2:3], v19, v18
	s_load_dwordx4 s[12:15], s[4:5], 0x20
	v_cndmask_b32_e64 v19, v16, v19, s[2:3]
	v_lshlrev_b32_e32 v27, 2, v19
	v_xor_b32_e32 v19, 1, v16
	v_cmp_lt_i32_e64 s[2:3], v19, v18
	v_cndmask_b32_e64 v16, v16, v19, s[2:3]
	v_mul_lo_u32 v24, v17, s8
	v_lshlrev_b32_e32 v28, 2, v16
	v_mov_b32_e32 v23, 0
	v_mov_b32_e32 v29, 0x80
	;; [unrolled: 1-line block ×4, first 2 shown]
	s_branch .LBB305_10
.LBB305_8:                              ;   in Loop: Header=BB305_10 Depth=1
	s_or_b64 exec, exec, s[4:5]
.LBB305_9:                              ;   in Loop: Header=BB305_10 Depth=1
	s_cmp_eq_u32 s8, s25
	v_add_u32_e32 v31, s24, v31
	s_cbranch_scc1 .LBB305_29
.LBB305_10:                             ; =>This Inner Loop Header: Depth=1
	v_cmp_gt_f32_e64 s[2:3], v9, v8
	s_waitcnt lgkmcnt(0)
	v_cndmask_b32_e64 v19, v8, v9, s[2:3]
	v_cndmask_b32_e64 v16, 0, 1, s[2:3]
	v_cndmask_b32_e64 v18, v0, v1, s[2:3]
	v_cmp_gt_f32_e64 s[2:3], v10, v19
	v_cndmask_b32_e64 v19, v19, v10, s[2:3]
	v_cndmask_b32_e64 v16, v16, 2, s[2:3]
	v_cndmask_b32_e64 v18, v18, v2, s[2:3]
	v_cmp_gt_f32_e64 s[2:3], v11, v19
	;; [unrolled: 4-line block ×6, first 2 shown]
	v_cndmask_b32_e64 v16, v16, 7, s[2:3]
	v_cndmask_b32_e64 v32, v19, v15, s[2:3]
	v_or_b32_e32 v33, v22, v16
	v_cndmask_b32_e64 v16, v18, v7, s[2:3]
	ds_bpermute_b32 v35, v25, v32
	ds_bpermute_b32 v20, v25, v16
	ds_bpermute_b32 v34, v25, v33
                                        ; implicit-def: $vgpr18_vgpr19
	s_waitcnt lgkmcnt(0)
	v_cmp_lt_f32_e64 s[6:7], v32, v35
	v_cmp_nlt_f32_e64 s[2:3], v32, v35
	s_and_saveexec_b64 s[22:23], s[2:3]
; %bb.11:                               ;   in Loop: Header=BB305_10 Depth=1
	v_cmp_eq_f32_e64 s[2:3], v32, v35
	v_cmp_lt_i32_e64 s[4:5], v34, v33
	s_and_b64 s[2:3], s[2:3], s[4:5]
	s_andn2_b64 s[4:5], s[6:7], exec
	s_and_b64 s[2:3], s[2:3], exec
	s_or_b64 s[6:7], s[4:5], s[2:3]
	v_pk_mov_b32 v[18:19], v[16:17], v[16:17] op_sel:[0,1]
; %bb.12:                               ;   in Loop: Header=BB305_10 Depth=1
	s_or_b64 exec, exec, s[22:23]
	s_and_saveexec_b64 s[2:3], s[6:7]
; %bb.13:                               ;   in Loop: Header=BB305_10 Depth=1
	v_mov_b32_e32 v32, v35
	v_mov_b32_e32 v16, v20
	;; [unrolled: 1-line block ×3, first 2 shown]
	v_pk_mov_b32 v[18:19], v[20:21], v[20:21] op_sel:[0,1]
; %bb.14:                               ;   in Loop: Header=BB305_10 Depth=1
	s_or_b64 exec, exec, s[2:3]
	ds_bpermute_b32 v34, v26, v32
	ds_bpermute_b32 v20, v26, v16
	;; [unrolled: 1-line block ×3, first 2 shown]
	s_waitcnt lgkmcnt(2)
	v_cmp_lt_f32_e64 s[6:7], v32, v34
	v_cmp_nlt_f32_e64 s[2:3], v32, v34
	s_and_saveexec_b64 s[22:23], s[2:3]
	s_cbranch_execz .LBB305_16
; %bb.15:                               ;   in Loop: Header=BB305_10 Depth=1
	v_cmp_eq_f32_e64 s[2:3], v32, v34
	s_waitcnt lgkmcnt(0)
	v_cmp_lt_i32_e64 s[4:5], v19, v33
	s_and_b64 s[2:3], s[2:3], s[4:5]
	s_andn2_b64 s[4:5], s[6:7], exec
	s_and_b64 s[2:3], s[2:3], exec
	s_or_b64 s[6:7], s[4:5], s[2:3]
.LBB305_16:                             ;   in Loop: Header=BB305_10 Depth=1
	s_or_b64 exec, exec, s[22:23]
	s_and_saveexec_b64 s[2:3], s[6:7]
	s_cbranch_execz .LBB305_18
; %bb.17:                               ;   in Loop: Header=BB305_10 Depth=1
	v_mov_b32_e32 v32, v34
	s_waitcnt lgkmcnt(1)
	v_mov_b32_e32 v16, v20
	s_waitcnt lgkmcnt(0)
	v_mov_b32_e32 v33, v19
	v_pk_mov_b32 v[18:19], v[20:21], v[20:21] op_sel:[0,1]
.LBB305_18:                             ;   in Loop: Header=BB305_10 Depth=1
	s_or_b64 exec, exec, s[2:3]
	ds_bpermute_b32 v34, v27, v32
	s_waitcnt lgkmcnt(2)
	ds_bpermute_b32 v20, v27, v16
	s_waitcnt lgkmcnt(2)
	;; [unrolled: 2-line block ×3, first 2 shown]
	v_cmp_lt_f32_e64 s[6:7], v32, v34
	v_cmp_nlt_f32_e64 s[2:3], v32, v34
	s_and_saveexec_b64 s[22:23], s[2:3]
	s_cbranch_execz .LBB305_20
; %bb.19:                               ;   in Loop: Header=BB305_10 Depth=1
	v_cmp_eq_f32_e64 s[2:3], v32, v34
	s_waitcnt lgkmcnt(0)
	v_cmp_lt_i32_e64 s[4:5], v19, v33
	s_and_b64 s[2:3], s[2:3], s[4:5]
	s_andn2_b64 s[4:5], s[6:7], exec
	s_and_b64 s[2:3], s[2:3], exec
	s_or_b64 s[6:7], s[4:5], s[2:3]
.LBB305_20:                             ;   in Loop: Header=BB305_10 Depth=1
	s_or_b64 exec, exec, s[22:23]
	s_and_saveexec_b64 s[2:3], s[6:7]
	s_cbranch_execz .LBB305_22
; %bb.21:                               ;   in Loop: Header=BB305_10 Depth=1
	v_mov_b32_e32 v32, v34
	s_waitcnt lgkmcnt(1)
	v_mov_b32_e32 v16, v20
	s_waitcnt lgkmcnt(0)
	v_mov_b32_e32 v33, v19
	v_pk_mov_b32 v[18:19], v[20:21], v[20:21] op_sel:[0,1]
.LBB305_22:                             ;   in Loop: Header=BB305_10 Depth=1
	s_or_b64 exec, exec, s[2:3]
	s_waitcnt lgkmcnt(1)
	ds_bpermute_b32 v20, v28, v32
	ds_bpermute_b32 v34, v28, v33
	s_waitcnt lgkmcnt(2)
	ds_bpermute_b32 v19, v28, v16
	s_waitcnt lgkmcnt(2)
	v_cmp_eq_f32_e64 s[4:5], v32, v20
	s_waitcnt lgkmcnt(1)
	v_cmp_lt_i32_e64 s[6:7], v34, v33
	v_cmp_lt_f32_e64 s[2:3], v32, v20
	s_and_b64 s[4:5], s[4:5], s[6:7]
	s_or_b64 s[2:3], s[2:3], s[4:5]
	v_cndmask_b32_e64 v16, v33, v34, s[2:3]
	s_and_saveexec_b64 s[6:7], s[0:1]
	s_cbranch_execnz .LBB305_24
; %bb.23:                               ;   in Loop: Header=BB305_10 Depth=1
	s_or_b64 exec, exec, s[6:7]
	s_add_i32 s25, s25, 1
	s_cmp_ge_i32 s25, s8
	s_cbranch_scc1 .LBB305_9
	s_branch .LBB305_25
.LBB305_24:                             ;   in Loop: Header=BB305_10 Depth=1
	s_waitcnt lgkmcnt(0)
	v_cndmask_b32_e64 v20, v18, v19, s[2:3]
	v_add_u32_e32 v18, s25, v24
	v_ashrrev_i32_e32 v19, 31, v18
	v_cmp_le_i32_e64 s[2:3], s9, v16
	v_cmp_gt_i32_e64 s[4:5], s10, v16
	v_lshlrev_b64 v[32:33], 2, v[18:19]
	s_and_b64 s[4:5], s[2:3], s[4:5]
	v_mov_b32_e32 v35, s17
	v_add_co_u32_e64 v34, s[2:3], s16, v32
	v_addc_co_u32_e64 v35, s[2:3], v35, v33, s[2:3]
	global_store_dword v[34:35], v20, off
	v_subrev_u32_e32 v34, s9, v16
	v_ashrrev_i32_e32 v35, 31, v34
	s_and_b64 s[2:3], s[18:19], s[4:5]
	v_lshlrev_b64 v[18:19], 3, v[18:19]
	v_cndmask_b32_e64 v35, 0, v35, s[2:3]
	v_cndmask_b32_e64 v34, v29, v34, s[2:3]
	v_mov_b32_e32 v36, s13
	v_add_co_u32_e64 v18, s[2:3], s12, v18
	v_addc_co_u32_e64 v19, s[2:3], v36, v19, s[2:3]
	global_store_dwordx2 v[18:19], v[34:35], off
	v_mov_b32_e32 v19, s15
	v_add_co_u32_e64 v18, s[2:3], s14, v32
	v_addc_co_u32_e64 v19, s[2:3], v19, v33, s[2:3]
	global_store_dword v[18:19], v31, off
	v_add_f32_e32 v18, v23, v20
	v_cndmask_b32_e32 v23, v23, v18, vcc
	s_or_b64 exec, exec, s[6:7]
	s_add_i32 s25, s25, 1
	s_cmp_ge_i32 s25, s8
	s_cbranch_scc1 .LBB305_9
.LBB305_25:                             ;   in Loop: Header=BB305_10 Depth=1
	s_waitcnt lgkmcnt(0)
	v_ashrrev_i32_e32 v19, 31, v16
	v_lshrrev_b32_e32 v18, 29, v19
	v_add_u32_e32 v18, v16, v18
	v_ashrrev_i32_e32 v18, 3, v18
	v_lshrrev_b32_e32 v20, 28, v18
	v_add_u32_e32 v20, v18, v20
	v_and_b32_e32 v20, -16, v20
	v_sub_u32_e32 v20, v18, v20
	v_cmp_eq_u32_e64 s[2:3], v21, v20
	s_and_saveexec_b64 s[4:5], s[2:3]
	s_cbranch_execz .LBB305_8
; %bb.26:                               ;   in Loop: Header=BB305_10 Depth=1
	v_lshrrev_b32_e32 v19, 25, v19
	v_add_u32_e32 v19, v16, v19
	v_lshlrev_b32_e32 v18, 3, v18
	v_ashrrev_i32_e32 v19, 7, v19
	v_sub_u32_e32 v16, v16, v18
	v_lshl_add_u32 v16, v19, 3, v16
	v_cmp_ne_u32_e64 s[2:3], 7, v16
	v_cndmask_b32_e64 v15, v30, v15, s[2:3]
	v_cmp_ne_u32_e64 s[2:3], 6, v16
	v_cndmask_b32_e64 v14, v30, v14, s[2:3]
	;; [unrolled: 2-line block ×8, first 2 shown]
	s_branch .LBB305_8
.LBB305_27:
                                        ; implicit-def: $vgpr8_vgpr9_vgpr10_vgpr11_vgpr12_vgpr13_vgpr14_vgpr15
	s_andn2_b64 vcc, exec, s[8:9]
	s_cbranch_vccz .LBB305_5
	s_branch .LBB305_6
.LBB305_28:
	v_mov_b32_e32 v23, 0
.LBB305_29:
	v_cmp_eq_u32_e64 s[0:1], 0, v21
	s_and_b64 s[0:1], s[0:1], vcc
	s_and_b64 exec, exec, s[0:1]
	s_cbranch_execz .LBB305_38
; %bb.30:
	s_andn2_b64 vcc, exec, s[20:21]
	s_cbranch_vccnz .LBB305_38
; %bb.31:
	v_cmp_lt_f32_e32 vcc, 0, v23
	s_mov_b32 s2, 0
	v_cndmask_b32_e32 v0, 1.0, v23, vcc
	v_mul_lo_u32 v4, v17, s8
	s_cmp_eq_u32 s8, 1
	s_mov_b64 s[0:1], -1
	s_cbranch_scc1 .LBB305_35
; %bb.32:
	s_and_b32 s2, s8, 0x7ffffffe
	v_mov_b32_e32 v1, v0
	v_mov_b32_e32 v5, s17
	s_mov_b32 s3, s2
	v_mov_b32_e32 v2, v4
.LBB305_33:                             ; =>This Inner Loop Header: Depth=1
	v_ashrrev_i32_e32 v3, 31, v2
	v_lshlrev_b64 v[6:7], 2, v[2:3]
	v_add_co_u32_e32 v6, vcc, s16, v6
	v_addc_co_u32_e32 v7, vcc, v5, v7, vcc
	global_load_dwordx2 v[8:9], v[6:7], off
	s_add_i32 s3, s3, -2
	s_cmp_lg_u32 s3, 0
	v_add_u32_e32 v2, 2, v2
	s_waitcnt vmcnt(0)
	v_div_scale_f32 v3, s[0:1], v1, v1, v9
	v_div_scale_f32 v11, s[0:1], v0, v0, v8
	v_rcp_f32_e32 v12, v3
	v_rcp_f32_e32 v13, v11
	v_div_scale_f32 v10, vcc, v9, v1, v9
	v_fma_f32 v15, -v3, v12, 1.0
	v_fma_f32 v16, -v11, v13, 1.0
	v_fmac_f32_e32 v12, v15, v12
	v_div_scale_f32 v14, s[0:1], v8, v0, v8
	v_fmac_f32_e32 v13, v16, v13
	v_mul_f32_e32 v15, v10, v12
	v_mul_f32_e32 v16, v14, v13
	v_fma_f32 v17, -v3, v15, v10
	v_fma_f32 v18, -v11, v16, v14
	v_fmac_f32_e32 v15, v17, v12
	v_fmac_f32_e32 v16, v18, v13
	v_fma_f32 v3, -v3, v15, v10
	v_fma_f32 v10, -v11, v16, v14
	v_div_fmas_f32 v3, v3, v12, v15
	s_mov_b64 vcc, s[0:1]
	v_div_fixup_f32 v9, v3, v1, v9
	v_div_fmas_f32 v3, v10, v13, v16
	v_div_fixup_f32 v8, v3, v0, v8
	global_store_dwordx2 v[6:7], v[8:9], off
	s_cbranch_scc1 .LBB305_33
; %bb.34:
	s_cmp_lg_u32 s2, s8
	s_cselect_b64 s[0:1], -1, 0
.LBB305_35:
	s_and_b64 vcc, exec, s[0:1]
	s_cbranch_vccz .LBB305_38
; %bb.36:
	v_ashrrev_i32_e32 v1, 31, v4
	v_add_co_u32_e32 v2, vcc, s2, v4
	v_addc_co_u32_e32 v3, vcc, 0, v1, vcc
	v_lshlrev_b64 v[2:3], 2, v[2:3]
	v_mov_b32_e32 v1, s17
	v_add_co_u32_e32 v2, vcc, s16, v2
	s_sub_i32 s0, s8, s2
	v_addc_co_u32_e32 v3, vcc, v1, v3, vcc
.LBB305_37:                             ; =>This Inner Loop Header: Depth=1
	global_load_dword v1, v[2:3], off
	s_add_i32 s0, s0, -1
	s_cmp_lg_u32 s0, 0
	s_waitcnt vmcnt(0)
	v_div_scale_f32 v4, s[2:3], v0, v0, v1
	v_rcp_f32_e32 v5, v4
	v_div_scale_f32 v6, vcc, v1, v0, v1
	v_fma_f32 v7, -v4, v5, 1.0
	v_fmac_f32_e32 v5, v7, v5
	v_mul_f32_e32 v7, v6, v5
	v_fma_f32 v8, -v4, v7, v6
	v_fmac_f32_e32 v7, v8, v5
	v_fma_f32 v4, -v4, v7, v6
	v_div_fmas_f32 v4, v4, v5, v7
	v_div_fixup_f32 v1, v4, v0, v1
	global_store_dword v[2:3], v1, off
	v_add_co_u32_e32 v2, vcc, 4, v2
	v_addc_co_u32_e32 v3, vcc, 0, v3, vcc
	s_cbranch_scc1 .LBB305_37
.LBB305_38:
	s_endpgm
	.section	.rodata,"a",@progbits
	.p2align	6, 0x0
	.amdhsa_kernel _ZN4vllm3moe10topkGatingILi8ELi128ELi4ELi16ELi32El6__halfLNS0_11ScoringFuncE1EEEvPKT5_PKbPfiPT4_PiiiibPKf
		.amdhsa_group_segment_fixed_size 0
		.amdhsa_private_segment_fixed_size 0
		.amdhsa_kernarg_size 72
		.amdhsa_user_sgpr_count 6
		.amdhsa_user_sgpr_private_segment_buffer 1
		.amdhsa_user_sgpr_dispatch_ptr 0
		.amdhsa_user_sgpr_queue_ptr 0
		.amdhsa_user_sgpr_kernarg_segment_ptr 1
		.amdhsa_user_sgpr_dispatch_id 0
		.amdhsa_user_sgpr_flat_scratch_init 0
		.amdhsa_user_sgpr_kernarg_preload_length 0
		.amdhsa_user_sgpr_kernarg_preload_offset 0
		.amdhsa_user_sgpr_private_segment_size 0
		.amdhsa_uses_dynamic_stack 0
		.amdhsa_system_sgpr_private_segment_wavefront_offset 0
		.amdhsa_system_sgpr_workgroup_id_x 1
		.amdhsa_system_sgpr_workgroup_id_y 0
		.amdhsa_system_sgpr_workgroup_id_z 0
		.amdhsa_system_sgpr_workgroup_info 0
		.amdhsa_system_vgpr_workitem_id 1
		.amdhsa_next_free_vgpr 37
		.amdhsa_next_free_sgpr 26
		.amdhsa_accum_offset 40
		.amdhsa_reserve_vcc 1
		.amdhsa_reserve_flat_scratch 0
		.amdhsa_float_round_mode_32 0
		.amdhsa_float_round_mode_16_64 0
		.amdhsa_float_denorm_mode_32 3
		.amdhsa_float_denorm_mode_16_64 3
		.amdhsa_dx10_clamp 1
		.amdhsa_ieee_mode 1
		.amdhsa_fp16_overflow 0
		.amdhsa_tg_split 0
		.amdhsa_exception_fp_ieee_invalid_op 0
		.amdhsa_exception_fp_denorm_src 0
		.amdhsa_exception_fp_ieee_div_zero 0
		.amdhsa_exception_fp_ieee_overflow 0
		.amdhsa_exception_fp_ieee_underflow 0
		.amdhsa_exception_fp_ieee_inexact 0
		.amdhsa_exception_int_div_zero 0
	.end_amdhsa_kernel
	.section	.text._ZN4vllm3moe10topkGatingILi8ELi128ELi4ELi16ELi32El6__halfLNS0_11ScoringFuncE1EEEvPKT5_PKbPfiPT4_PiiiibPKf,"axG",@progbits,_ZN4vllm3moe10topkGatingILi8ELi128ELi4ELi16ELi32El6__halfLNS0_11ScoringFuncE1EEEvPKT5_PKbPfiPT4_PiiiibPKf,comdat
.Lfunc_end305:
	.size	_ZN4vllm3moe10topkGatingILi8ELi128ELi4ELi16ELi32El6__halfLNS0_11ScoringFuncE1EEEvPKT5_PKbPfiPT4_PiiiibPKf, .Lfunc_end305-_ZN4vllm3moe10topkGatingILi8ELi128ELi4ELi16ELi32El6__halfLNS0_11ScoringFuncE1EEEvPKT5_PKbPfiPT4_PiiiibPKf
                                        ; -- End function
	.section	.AMDGPU.csdata,"",@progbits
; Kernel info:
; codeLenInByte = 3024
; NumSgprs: 30
; NumVgprs: 37
; NumAgprs: 0
; TotalNumVgprs: 37
; ScratchSize: 0
; MemoryBound: 0
; FloatMode: 240
; IeeeMode: 1
; LDSByteSize: 0 bytes/workgroup (compile time only)
; SGPRBlocks: 3
; VGPRBlocks: 4
; NumSGPRsForWavesPerEU: 30
; NumVGPRsForWavesPerEU: 37
; AccumOffset: 40
; Occupancy: 8
; WaveLimiterHint : 0
; COMPUTE_PGM_RSRC2:SCRATCH_EN: 0
; COMPUTE_PGM_RSRC2:USER_SGPR: 6
; COMPUTE_PGM_RSRC2:TRAP_HANDLER: 0
; COMPUTE_PGM_RSRC2:TGID_X_EN: 1
; COMPUTE_PGM_RSRC2:TGID_Y_EN: 0
; COMPUTE_PGM_RSRC2:TGID_Z_EN: 0
; COMPUTE_PGM_RSRC2:TIDIG_COMP_CNT: 1
; COMPUTE_PGM_RSRC3_GFX90A:ACCUM_OFFSET: 9
; COMPUTE_PGM_RSRC3_GFX90A:TG_SPLIT: 0
	.section	.text._ZN4vllm3moe10topkGatingILi8ELi256ELi4ELi16ELi64El6__halfLNS0_11ScoringFuncE1EEEvPKT5_PKbPfiPT4_PiiiibPKf,"axG",@progbits,_ZN4vllm3moe10topkGatingILi8ELi256ELi4ELi16ELi64El6__halfLNS0_11ScoringFuncE1EEEvPKT5_PKbPfiPT4_PiiiibPKf,comdat
	.protected	_ZN4vllm3moe10topkGatingILi8ELi256ELi4ELi16ELi64El6__halfLNS0_11ScoringFuncE1EEEvPKT5_PKbPfiPT4_PiiiibPKf ; -- Begin function _ZN4vllm3moe10topkGatingILi8ELi256ELi4ELi16ELi64El6__halfLNS0_11ScoringFuncE1EEEvPKT5_PKbPfiPT4_PiiiibPKf
	.globl	_ZN4vllm3moe10topkGatingILi8ELi256ELi4ELi16ELi64El6__halfLNS0_11ScoringFuncE1EEEvPKT5_PKbPfiPT4_PiiiibPKf
	.p2align	8
	.type	_ZN4vllm3moe10topkGatingILi8ELi256ELi4ELi16ELi64El6__halfLNS0_11ScoringFuncE1EEEvPKT5_PKbPfiPT4_PiiiibPKf,@function
_ZN4vllm3moe10topkGatingILi8ELi256ELi4ELi16ELi64El6__halfLNS0_11ScoringFuncE1EEEvPKT5_PKbPfiPT4_PiiiibPKf: ; @_ZN4vllm3moe10topkGatingILi8ELi256ELi4ELi16ELi64El6__halfLNS0_11ScoringFuncE1EEEvPKT5_PKbPfiPT4_PiiiibPKf
; %bb.0:
	s_load_dword s24, s[4:5], 0x18
	v_bfe_u32 v1, v0, 10, 10
	v_and_b32_e32 v0, 0x3ff, v0
	s_lshl_b32 s0, s6, 3
	v_lshlrev_b32_e32 v1, 1, v1
	v_lshrrev_b32_e32 v2, 5, v0
	v_add3_u32 v17, s0, v1, v2
	s_waitcnt lgkmcnt(0)
	v_cmp_gt_i32_e32 vcc, s24, v17
	s_and_saveexec_b64 s[0:1], vcc
	s_cbranch_execz .LBB306_42
; %bb.1:
	s_load_dwordx4 s[0:3], s[4:5], 0x0
	s_load_dwordx2 s[16:17], s[4:5], 0x10
	s_mov_b64 s[8:9], -1
	s_mov_b64 s[18:19], -1
	s_waitcnt lgkmcnt(0)
	s_cmp_eq_u64 s[2:3], 0
	s_cbranch_scc1 .LBB306_3
; %bb.2:
	v_ashrrev_i32_e32 v1, 31, v17
	v_mov_b32_e32 v3, s3
	v_add_co_u32_e32 v2, vcc, s2, v17
	v_addc_co_u32_e32 v3, vcc, v3, v1, vcc
	global_load_ubyte v1, v[2:3], off
	s_waitcnt vmcnt(0)
	v_and_b32_e32 v1, 1, v1
	v_cmp_eq_u32_e32 vcc, 1, v1
	s_xor_b64 s[2:3], vcc, -1
	s_orn2_b64 s[18:19], s[2:3], exec
.LBB306_3:
	v_lshlrev_b32_e32 v2, 8, v17
	v_ashrrev_i32_e32 v3, 31, v2
	v_lshlrev_b64 v[2:3], 1, v[2:3]
	v_mov_b32_e32 v1, s1
	v_add_co_u32_e32 v2, vcc, s0, v2
	v_and_b32_e32 v21, 31, v0
	v_addc_co_u32_e32 v1, vcc, v1, v3, vcc
	v_lshlrev_b32_e32 v0, 4, v21
	v_add_co_u32_e32 v0, vcc, v2, v0
	v_addc_co_u32_e32 v1, vcc, 0, v1, vcc
	global_load_dwordx4 v[0:3], v[0:1], off
	v_mov_b32_e32 v8, 0x207
	s_load_dwordx2 s[10:11], s[4:5], 0x40
	v_lshlrev_b32_e32 v22, 3, v21
	s_waitcnt lgkmcnt(0)
	s_cmp_eq_u64 s[10:11], 0
	s_waitcnt vmcnt(0)
	v_cvt_f32_f16_e32 v4, v0
	v_cvt_f32_f16_sdwa v0, v0 dst_sel:DWORD dst_unused:UNUSED_PAD src0_sel:WORD_1
	v_cvt_f32_f16_e32 v5, v1
	v_cvt_f32_f16_sdwa v1, v1 dst_sel:DWORD dst_unused:UNUSED_PAD src0_sel:WORD_1
	v_mul_f32_e32 v4, 0xbfb8aa3b, v4
	v_mul_f32_e32 v9, 0xbfb8aa3b, v0
	v_cvt_f32_f16_e32 v6, v2
	v_cvt_f32_f16_sdwa v2, v2 dst_sel:DWORD dst_unused:UNUSED_PAD src0_sel:WORD_1
	v_cvt_f32_f16_e32 v7, v3
	v_cvt_f32_f16_sdwa v3, v3 dst_sel:DWORD dst_unused:UNUSED_PAD src0_sel:WORD_1
	v_mul_f32_e32 v10, 0xbfb8aa3b, v1
	v_exp_f32_e32 v0, v4
	v_exp_f32_e32 v1, v9
	v_mul_f32_e32 v5, 0xbfb8aa3b, v5
	v_mul_f32_e32 v11, 0xbfb8aa3b, v2
	;; [unrolled: 1-line block ×3, first 2 shown]
	v_exp_f32_e32 v2, v5
	v_exp_f32_e32 v3, v10
	v_pk_add_f32 v[0:1], v[0:1], 1.0 op_sel_hi:[1,0]
	v_div_scale_f32 v9, s[0:1], v1, v1, 1.0
	v_rcp_f32_e32 v19, v9
	v_exp_f32_e32 v5, v11
	v_div_scale_f32 v11, s[0:1], v0, v0, 1.0
	v_pk_add_f32 v[2:3], v[2:3], 1.0 op_sel_hi:[1,0]
	v_rcp_f32_e32 v20, v11
	v_div_scale_f32 v13, s[2:3], v3, v3, 1.0
	v_rcp_f32_e32 v23, v13
	v_fma_f32 v26, -v9, v19, 1.0
	v_div_scale_f32 v10, vcc, 1.0, v1, 1.0
	v_div_scale_f32 v15, s[6:7], v2, v2, 1.0
	v_fmac_f32_e32 v19, v26, v19
	v_mul_f32_e32 v6, 0xbfb8aa3b, v6
	v_mul_f32_e32 v7, 0xbfb8aa3b, v7
	v_rcp_f32_e32 v24, v15
	v_fma_f32 v27, -v11, v20, 1.0
	v_mul_f32_e32 v26, v10, v19
	v_exp_f32_e32 v4, v6
	v_exp_f32_e32 v6, v7
	;; [unrolled: 1-line block ×3, first 2 shown]
	v_div_scale_f32 v12, s[0:1], 1.0, v0, 1.0
	v_fmac_f32_e32 v20, v27, v20
	v_fma_f32 v30, -v9, v26, v10
	v_fma_f32 v28, -v13, v23, 1.0
	v_mul_f32_e32 v27, v12, v20
	v_fmac_f32_e32 v26, v30, v19
	v_div_scale_f32 v14, s[2:3], 1.0, v3, 1.0
	v_fmac_f32_e32 v23, v28, v23
	v_fma_f32 v31, -v11, v27, v12
	v_fma_f32 v9, -v9, v26, v10
	v_fma_f32 v29, -v15, v24, 1.0
	v_mul_f32_e32 v28, v14, v23
	v_fmac_f32_e32 v27, v31, v20
	v_div_fmas_f32 v9, v9, v19, v26
	v_div_scale_f32 v16, s[6:7], 1.0, v2, 1.0
	v_fmac_f32_e32 v24, v29, v24
	v_fma_f32 v32, -v13, v28, v14
	v_fma_f32 v10, -v11, v27, v12
	v_div_fixup_f32 v1, v9, v1, 1.0
	s_mov_b64 vcc, s[0:1]
	v_pk_add_f32 v[4:5], v[4:5], 1.0 op_sel_hi:[1,0]
	v_mul_f32_e32 v29, v16, v24
	v_fmac_f32_e32 v28, v32, v23
	v_div_fmas_f32 v9, v10, v20, v27
	v_cmp_class_f32_e32 vcc, v1, v8
	v_div_scale_f32 v18, s[12:13], v5, v5, 1.0
	v_fma_f32 v33, -v15, v29, v16
	v_fma_f32 v11, -v13, v28, v14
	v_div_fixup_f32 v0, v9, v0, 1.0
	v_cndmask_b32_e64 v1, v1, 0, vcc
	s_mov_b64 vcc, s[2:3]
	v_rcp_f32_e32 v25, v18
	v_fmac_f32_e32 v29, v33, v24
	v_div_fmas_f32 v9, v11, v23, v28
	v_cmp_class_f32_e32 vcc, v0, v8
	v_fma_f32 v12, -v15, v29, v16
	v_cndmask_b32_e64 v0, v0, 0, vcc
	s_mov_b64 vcc, s[6:7]
	v_div_fixup_f32 v3, v9, v3, 1.0
	v_div_fmas_f32 v9, v12, v24, v29
	v_div_fixup_f32 v2, v9, v2, 1.0
	v_cmp_class_f32_e32 vcc, v3, v8
	v_cndmask_b32_e64 v3, v3, 0, vcc
	v_cmp_class_f32_e32 vcc, v2, v8
	v_fma_f32 v9, -v18, v25, 1.0
	v_cndmask_b32_e64 v2, v2, 0, vcc
	v_fmac_f32_e32 v25, v9, v25
	v_div_scale_f32 v9, vcc, 1.0, v5, 1.0
	v_mul_f32_e32 v10, v9, v25
	v_fma_f32 v11, -v18, v10, v9
	v_fmac_f32_e32 v10, v11, v25
	v_div_scale_f32 v11, s[0:1], v4, v4, 1.0
	v_rcp_f32_e32 v12, v11
	v_fma_f32 v9, -v18, v10, v9
	v_div_fmas_f32 v9, v9, v25, v10
	v_div_fixup_f32 v5, v9, v5, 1.0
	v_fma_f32 v9, -v11, v12, 1.0
	v_fmac_f32_e32 v12, v9, v12
	v_div_scale_f32 v9, vcc, 1.0, v4, 1.0
	v_mul_f32_e32 v10, v9, v12
	v_fma_f32 v13, -v11, v10, v9
	v_fmac_f32_e32 v10, v13, v12
	v_fma_f32 v9, -v11, v10, v9
	v_div_fmas_f32 v9, v9, v12, v10
	v_pk_add_f32 v[6:7], v[6:7], 1.0 op_sel_hi:[1,0]
	v_div_fixup_f32 v4, v9, v4, 1.0
	v_div_scale_f32 v9, s[0:1], v7, v7, 1.0
	v_rcp_f32_e32 v10, v9
	v_cmp_class_f32_e32 vcc, v5, v8
	v_cndmask_b32_e64 v5, v5, 0, vcc
	v_cmp_class_f32_e32 vcc, v4, v8
	v_fma_f32 v11, -v9, v10, 1.0
	v_cndmask_b32_e64 v4, v4, 0, vcc
	v_fmac_f32_e32 v10, v11, v10
	v_div_scale_f32 v11, vcc, 1.0, v7, 1.0
	v_mul_f32_e32 v12, v11, v10
	v_fma_f32 v13, -v9, v12, v11
	v_fmac_f32_e32 v12, v13, v10
	v_fma_f32 v9, -v9, v12, v11
	v_div_scale_f32 v11, s[0:1], v6, v6, 1.0
	v_rcp_f32_e32 v13, v11
	v_div_fmas_f32 v9, v9, v10, v12
	v_div_fixup_f32 v7, v9, v7, 1.0
	v_fma_f32 v9, -v11, v13, 1.0
	v_fmac_f32_e32 v13, v9, v13
	v_div_scale_f32 v9, vcc, 1.0, v6, 1.0
	v_mul_f32_e32 v10, v9, v13
	v_fma_f32 v12, -v11, v10, v9
	v_fmac_f32_e32 v10, v12, v13
	v_fma_f32 v9, -v11, v10, v9
	v_div_fmas_f32 v9, v9, v13, v10
	v_div_fixup_f32 v6, v9, v6, 1.0
	v_cmp_class_f32_e32 vcc, v7, v8
	v_cndmask_b32_e64 v7, v7, 0, vcc
	v_cmp_class_f32_e32 vcc, v6, v8
	v_cndmask_b32_e64 v6, v6, 0, vcc
	s_cbranch_scc1 .LBB306_31
; %bb.4:
	v_lshlrev_b32_e32 v16, 2, v22
	global_load_dwordx4 v[8:11], v16, s[10:11]
	global_load_dwordx4 v[12:15], v16, s[10:11] offset:16
	s_waitcnt vmcnt(1)
	v_pk_add_f32 v[8:9], v[8:9], v[0:1]
	v_pk_add_f32 v[10:11], v[10:11], v[2:3]
	s_waitcnt vmcnt(0)
	v_pk_add_f32 v[12:13], v[12:13], v[4:5]
	v_pk_add_f32 v[14:15], v[14:15], v[6:7]
	s_cbranch_execnz .LBB306_6
.LBB306_5:
	v_pk_mov_b32 v[14:15], v[6:7], v[6:7] op_sel:[0,1]
	v_pk_mov_b32 v[12:13], v[4:5], v[4:5] op_sel:[0,1]
	;; [unrolled: 1-line block ×4, first 2 shown]
.LBB306_6:
	s_load_dwordx4 s[8:11], s[4:5], 0x30
	s_mov_b32 s25, 0
	v_cmp_eq_u32_e64 s[0:1], 0, v21
	s_waitcnt lgkmcnt(0)
	s_bitcmp1_b32 s11, 0
	s_cselect_b64 vcc, -1, 0
	s_cmp_gt_i32 s8, 0
	s_cselect_b64 s[20:21], -1, 0
	s_cmp_lt_i32 s8, 1
	s_cbranch_scc1 .LBB306_32
; %bb.7:
	v_mbcnt_lo_u32_b32 v16, -1, 0
	v_mbcnt_hi_u32_b32 v16, -1, v16
	v_and_b32_e32 v18, 0x60, v16
	v_add_u32_e32 v18, 32, v18
	v_xor_b32_e32 v19, 16, v16
	v_cmp_lt_i32_e64 s[2:3], v19, v18
	v_cndmask_b32_e64 v19, v16, v19, s[2:3]
	v_lshlrev_b32_e32 v25, 2, v19
	v_xor_b32_e32 v19, 8, v16
	v_cmp_lt_i32_e64 s[2:3], v19, v18
	v_cndmask_b32_e64 v19, v16, v19, s[2:3]
	v_lshlrev_b32_e32 v26, 2, v19
	;; [unrolled: 4-line block ×3, first 2 shown]
	v_xor_b32_e32 v19, 2, v16
	v_cmp_lt_i32_e64 s[2:3], v19, v18
	s_load_dwordx4 s[12:15], s[4:5], 0x20
	v_cndmask_b32_e64 v19, v16, v19, s[2:3]
	v_lshlrev_b32_e32 v28, 2, v19
	v_xor_b32_e32 v19, 1, v16
	v_cmp_lt_i32_e64 s[2:3], v19, v18
	v_cndmask_b32_e64 v16, v16, v19, s[2:3]
	v_mul_lo_u32 v24, v17, s8
	v_lshlrev_b32_e32 v29, 2, v16
	v_mov_b32_e32 v23, 0
	v_mov_b32_e32 v30, 0x100
	;; [unrolled: 1-line block ×4, first 2 shown]
	s_branch .LBB306_10
.LBB306_8:                              ;   in Loop: Header=BB306_10 Depth=1
	s_or_b64 exec, exec, s[4:5]
.LBB306_9:                              ;   in Loop: Header=BB306_10 Depth=1
	s_cmp_eq_u32 s8, s25
	v_add_u32_e32 v32, s24, v32
	s_cbranch_scc1 .LBB306_33
.LBB306_10:                             ; =>This Inner Loop Header: Depth=1
	v_cmp_gt_f32_e64 s[2:3], v9, v8
	s_waitcnt lgkmcnt(0)
	v_cndmask_b32_e64 v19, v8, v9, s[2:3]
	v_cndmask_b32_e64 v16, 0, 1, s[2:3]
	v_cndmask_b32_e64 v18, v0, v1, s[2:3]
	v_cmp_gt_f32_e64 s[2:3], v10, v19
	v_cndmask_b32_e64 v19, v19, v10, s[2:3]
	v_cndmask_b32_e64 v16, v16, 2, s[2:3]
	v_cndmask_b32_e64 v18, v18, v2, s[2:3]
	v_cmp_gt_f32_e64 s[2:3], v11, v19
	;; [unrolled: 4-line block ×6, first 2 shown]
	v_cndmask_b32_e64 v16, v16, 7, s[2:3]
	v_cndmask_b32_e64 v33, v19, v15, s[2:3]
	v_or_b32_e32 v34, v22, v16
	v_cndmask_b32_e64 v16, v18, v7, s[2:3]
	ds_bpermute_b32 v36, v25, v33
	ds_bpermute_b32 v20, v25, v16
	;; [unrolled: 1-line block ×3, first 2 shown]
                                        ; implicit-def: $vgpr18_vgpr19
	s_waitcnt lgkmcnt(0)
	v_cmp_lt_f32_e64 s[6:7], v33, v36
	v_cmp_nlt_f32_e64 s[2:3], v33, v36
	s_and_saveexec_b64 s[22:23], s[2:3]
; %bb.11:                               ;   in Loop: Header=BB306_10 Depth=1
	v_cmp_eq_f32_e64 s[2:3], v33, v36
	v_cmp_lt_i32_e64 s[4:5], v35, v34
	s_and_b64 s[2:3], s[2:3], s[4:5]
	s_andn2_b64 s[4:5], s[6:7], exec
	s_and_b64 s[2:3], s[2:3], exec
	s_or_b64 s[6:7], s[4:5], s[2:3]
	v_pk_mov_b32 v[18:19], v[16:17], v[16:17] op_sel:[0,1]
; %bb.12:                               ;   in Loop: Header=BB306_10 Depth=1
	s_or_b64 exec, exec, s[22:23]
	s_and_saveexec_b64 s[2:3], s[6:7]
; %bb.13:                               ;   in Loop: Header=BB306_10 Depth=1
	v_mov_b32_e32 v33, v36
	v_mov_b32_e32 v16, v20
	;; [unrolled: 1-line block ×3, first 2 shown]
	v_pk_mov_b32 v[18:19], v[20:21], v[20:21] op_sel:[0,1]
; %bb.14:                               ;   in Loop: Header=BB306_10 Depth=1
	s_or_b64 exec, exec, s[2:3]
	ds_bpermute_b32 v35, v26, v33
	ds_bpermute_b32 v20, v26, v16
	;; [unrolled: 1-line block ×3, first 2 shown]
	s_waitcnt lgkmcnt(2)
	v_cmp_lt_f32_e64 s[6:7], v33, v35
	v_cmp_nlt_f32_e64 s[2:3], v33, v35
	s_and_saveexec_b64 s[22:23], s[2:3]
	s_cbranch_execz .LBB306_16
; %bb.15:                               ;   in Loop: Header=BB306_10 Depth=1
	v_cmp_eq_f32_e64 s[2:3], v33, v35
	s_waitcnt lgkmcnt(0)
	v_cmp_lt_i32_e64 s[4:5], v19, v34
	s_and_b64 s[2:3], s[2:3], s[4:5]
	s_andn2_b64 s[4:5], s[6:7], exec
	s_and_b64 s[2:3], s[2:3], exec
	s_or_b64 s[6:7], s[4:5], s[2:3]
.LBB306_16:                             ;   in Loop: Header=BB306_10 Depth=1
	s_or_b64 exec, exec, s[22:23]
	s_and_saveexec_b64 s[2:3], s[6:7]
	s_cbranch_execz .LBB306_18
; %bb.17:                               ;   in Loop: Header=BB306_10 Depth=1
	v_mov_b32_e32 v33, v35
	s_waitcnt lgkmcnt(1)
	v_mov_b32_e32 v16, v20
	s_waitcnt lgkmcnt(0)
	v_mov_b32_e32 v34, v19
	v_pk_mov_b32 v[18:19], v[20:21], v[20:21] op_sel:[0,1]
.LBB306_18:                             ;   in Loop: Header=BB306_10 Depth=1
	s_or_b64 exec, exec, s[2:3]
	ds_bpermute_b32 v35, v27, v33
	s_waitcnt lgkmcnt(2)
	ds_bpermute_b32 v20, v27, v16
	s_waitcnt lgkmcnt(2)
	;; [unrolled: 2-line block ×3, first 2 shown]
	v_cmp_lt_f32_e64 s[6:7], v33, v35
	v_cmp_nlt_f32_e64 s[2:3], v33, v35
	s_and_saveexec_b64 s[22:23], s[2:3]
	s_cbranch_execz .LBB306_20
; %bb.19:                               ;   in Loop: Header=BB306_10 Depth=1
	v_cmp_eq_f32_e64 s[2:3], v33, v35
	s_waitcnt lgkmcnt(0)
	v_cmp_lt_i32_e64 s[4:5], v19, v34
	s_and_b64 s[2:3], s[2:3], s[4:5]
	s_andn2_b64 s[4:5], s[6:7], exec
	s_and_b64 s[2:3], s[2:3], exec
	s_or_b64 s[6:7], s[4:5], s[2:3]
.LBB306_20:                             ;   in Loop: Header=BB306_10 Depth=1
	s_or_b64 exec, exec, s[22:23]
	s_and_saveexec_b64 s[2:3], s[6:7]
	s_cbranch_execz .LBB306_22
; %bb.21:                               ;   in Loop: Header=BB306_10 Depth=1
	v_mov_b32_e32 v33, v35
	s_waitcnt lgkmcnt(1)
	v_mov_b32_e32 v16, v20
	s_waitcnt lgkmcnt(0)
	v_mov_b32_e32 v34, v19
	v_pk_mov_b32 v[18:19], v[20:21], v[20:21] op_sel:[0,1]
.LBB306_22:                             ;   in Loop: Header=BB306_10 Depth=1
	s_or_b64 exec, exec, s[2:3]
	ds_bpermute_b32 v35, v28, v33
	s_waitcnt lgkmcnt(2)
	ds_bpermute_b32 v20, v28, v16
	s_waitcnt lgkmcnt(2)
	ds_bpermute_b32 v19, v28, v34
	s_waitcnt lgkmcnt(2)
	v_cmp_lt_f32_e64 s[6:7], v33, v35
	v_cmp_nlt_f32_e64 s[2:3], v33, v35
	s_and_saveexec_b64 s[22:23], s[2:3]
	s_cbranch_execz .LBB306_24
; %bb.23:                               ;   in Loop: Header=BB306_10 Depth=1
	v_cmp_eq_f32_e64 s[2:3], v33, v35
	s_waitcnt lgkmcnt(0)
	v_cmp_lt_i32_e64 s[4:5], v19, v34
	s_and_b64 s[2:3], s[2:3], s[4:5]
	s_andn2_b64 s[4:5], s[6:7], exec
	s_and_b64 s[2:3], s[2:3], exec
	s_or_b64 s[6:7], s[4:5], s[2:3]
.LBB306_24:                             ;   in Loop: Header=BB306_10 Depth=1
	s_or_b64 exec, exec, s[22:23]
	s_and_saveexec_b64 s[2:3], s[6:7]
	s_cbranch_execz .LBB306_26
; %bb.25:                               ;   in Loop: Header=BB306_10 Depth=1
	v_mov_b32_e32 v33, v35
	s_waitcnt lgkmcnt(1)
	v_mov_b32_e32 v16, v20
	s_waitcnt lgkmcnt(0)
	v_mov_b32_e32 v34, v19
	v_pk_mov_b32 v[18:19], v[20:21], v[20:21] op_sel:[0,1]
.LBB306_26:                             ;   in Loop: Header=BB306_10 Depth=1
	s_or_b64 exec, exec, s[2:3]
	s_waitcnt lgkmcnt(1)
	ds_bpermute_b32 v20, v29, v33
	ds_bpermute_b32 v35, v29, v34
	s_waitcnt lgkmcnt(2)
	ds_bpermute_b32 v19, v29, v16
	s_waitcnt lgkmcnt(2)
	v_cmp_eq_f32_e64 s[4:5], v33, v20
	s_waitcnt lgkmcnt(1)
	v_cmp_lt_i32_e64 s[6:7], v35, v34
	v_cmp_lt_f32_e64 s[2:3], v33, v20
	s_and_b64 s[4:5], s[4:5], s[6:7]
	s_or_b64 s[2:3], s[2:3], s[4:5]
	v_cndmask_b32_e64 v16, v34, v35, s[2:3]
	s_and_saveexec_b64 s[6:7], s[0:1]
	s_cbranch_execnz .LBB306_28
; %bb.27:                               ;   in Loop: Header=BB306_10 Depth=1
	s_or_b64 exec, exec, s[6:7]
	s_add_i32 s25, s25, 1
	s_cmp_ge_i32 s25, s8
	s_cbranch_scc1 .LBB306_9
	s_branch .LBB306_29
.LBB306_28:                             ;   in Loop: Header=BB306_10 Depth=1
	s_waitcnt lgkmcnt(0)
	v_cndmask_b32_e64 v20, v18, v19, s[2:3]
	v_add_u32_e32 v18, s25, v24
	v_ashrrev_i32_e32 v19, 31, v18
	v_cmp_le_i32_e64 s[2:3], s9, v16
	v_cmp_gt_i32_e64 s[4:5], s10, v16
	v_lshlrev_b64 v[34:35], 2, v[18:19]
	s_and_b64 s[4:5], s[2:3], s[4:5]
	v_mov_b32_e32 v33, s17
	v_add_co_u32_e64 v36, s[2:3], s16, v34
	v_addc_co_u32_e64 v37, s[2:3], v33, v35, s[2:3]
	v_subrev_u32_e32 v33, s9, v16
	global_store_dword v[36:37], v20, off
	v_ashrrev_i32_e32 v36, 31, v33
	s_and_b64 s[2:3], s[18:19], s[4:5]
	v_lshlrev_b64 v[18:19], 3, v[18:19]
	v_cndmask_b32_e64 v37, 0, v36, s[2:3]
	v_cndmask_b32_e64 v36, v30, v33, s[2:3]
	v_mov_b32_e32 v33, s13
	v_add_co_u32_e64 v18, s[2:3], s12, v18
	v_addc_co_u32_e64 v19, s[2:3], v33, v19, s[2:3]
	global_store_dwordx2 v[18:19], v[36:37], off
	v_mov_b32_e32 v19, s15
	v_add_co_u32_e64 v18, s[2:3], s14, v34
	v_addc_co_u32_e64 v19, s[2:3], v19, v35, s[2:3]
	global_store_dword v[18:19], v32, off
	v_add_f32_e32 v18, v23, v20
	v_cndmask_b32_e32 v23, v23, v18, vcc
	s_or_b64 exec, exec, s[6:7]
	s_add_i32 s25, s25, 1
	s_cmp_ge_i32 s25, s8
	s_cbranch_scc1 .LBB306_9
.LBB306_29:                             ;   in Loop: Header=BB306_10 Depth=1
	v_ashrrev_i32_e32 v18, 31, v16
	s_waitcnt lgkmcnt(0)
	v_lshrrev_b32_e32 v19, 29, v18
	v_add_u32_e32 v20, v16, v19
	v_ashrrev_i32_e32 v19, 3, v20
	v_ashrrev_i32_e32 v20, 31, v20
	v_lshrrev_b32_e32 v20, 27, v20
	v_add_u32_e32 v20, v19, v20
	v_and_b32_e32 v20, 0xffffffe0, v20
	v_sub_u32_e32 v20, v19, v20
	v_cmp_eq_u32_e64 s[2:3], v21, v20
	s_and_saveexec_b64 s[4:5], s[2:3]
	s_cbranch_execz .LBB306_8
; %bb.30:                               ;   in Loop: Header=BB306_10 Depth=1
	v_add_u32_sdwa v18, v16, v18 dst_sel:DWORD dst_unused:UNUSED_PAD src0_sel:DWORD src1_sel:BYTE_3
	v_lshlrev_b32_e32 v19, 3, v19
	v_ashrrev_i32_e32 v18, 8, v18
	v_sub_u32_e32 v16, v16, v19
	v_lshl_add_u32 v16, v18, 3, v16
	v_cmp_ne_u32_e64 s[2:3], 7, v16
	v_cndmask_b32_e64 v15, v31, v15, s[2:3]
	v_cmp_ne_u32_e64 s[2:3], 6, v16
	v_cndmask_b32_e64 v14, v31, v14, s[2:3]
	;; [unrolled: 2-line block ×8, first 2 shown]
	s_branch .LBB306_8
.LBB306_31:
                                        ; implicit-def: $vgpr8_vgpr9_vgpr10_vgpr11_vgpr12_vgpr13_vgpr14_vgpr15
	s_andn2_b64 vcc, exec, s[8:9]
	s_cbranch_vccz .LBB306_5
	s_branch .LBB306_6
.LBB306_32:
	v_mov_b32_e32 v23, 0
.LBB306_33:
	v_cmp_eq_u32_e64 s[0:1], 0, v21
	s_and_b64 s[0:1], s[0:1], vcc
	s_and_b64 exec, exec, s[0:1]
	s_cbranch_execz .LBB306_42
; %bb.34:
	s_andn2_b64 vcc, exec, s[20:21]
	s_cbranch_vccnz .LBB306_42
; %bb.35:
	v_cmp_lt_f32_e32 vcc, 0, v23
	s_mov_b32 s2, 0
	v_cndmask_b32_e32 v0, 1.0, v23, vcc
	v_mul_lo_u32 v4, v17, s8
	s_cmp_eq_u32 s8, 1
	s_mov_b64 s[0:1], -1
	s_cbranch_scc1 .LBB306_39
; %bb.36:
	s_and_b32 s2, s8, 0x7ffffffe
	v_mov_b32_e32 v1, v0
	v_mov_b32_e32 v5, s17
	s_mov_b32 s3, s2
	v_mov_b32_e32 v2, v4
.LBB306_37:                             ; =>This Inner Loop Header: Depth=1
	v_ashrrev_i32_e32 v3, 31, v2
	v_lshlrev_b64 v[6:7], 2, v[2:3]
	v_add_co_u32_e32 v6, vcc, s16, v6
	v_addc_co_u32_e32 v7, vcc, v5, v7, vcc
	global_load_dwordx2 v[8:9], v[6:7], off
	s_add_i32 s3, s3, -2
	s_cmp_lg_u32 s3, 0
	v_add_u32_e32 v2, 2, v2
	s_waitcnt vmcnt(0)
	v_div_scale_f32 v3, s[0:1], v1, v1, v9
	v_div_scale_f32 v11, s[0:1], v0, v0, v8
	v_rcp_f32_e32 v12, v3
	v_rcp_f32_e32 v13, v11
	v_div_scale_f32 v10, vcc, v9, v1, v9
	v_fma_f32 v15, -v3, v12, 1.0
	v_fma_f32 v16, -v11, v13, 1.0
	v_fmac_f32_e32 v12, v15, v12
	v_div_scale_f32 v14, s[0:1], v8, v0, v8
	v_fmac_f32_e32 v13, v16, v13
	v_mul_f32_e32 v15, v10, v12
	v_mul_f32_e32 v16, v14, v13
	v_fma_f32 v17, -v3, v15, v10
	v_fma_f32 v18, -v11, v16, v14
	v_fmac_f32_e32 v15, v17, v12
	v_fmac_f32_e32 v16, v18, v13
	v_fma_f32 v3, -v3, v15, v10
	v_fma_f32 v10, -v11, v16, v14
	v_div_fmas_f32 v3, v3, v12, v15
	s_mov_b64 vcc, s[0:1]
	v_div_fixup_f32 v9, v3, v1, v9
	v_div_fmas_f32 v3, v10, v13, v16
	v_div_fixup_f32 v8, v3, v0, v8
	global_store_dwordx2 v[6:7], v[8:9], off
	s_cbranch_scc1 .LBB306_37
; %bb.38:
	s_cmp_lg_u32 s2, s8
	s_cselect_b64 s[0:1], -1, 0
.LBB306_39:
	s_and_b64 vcc, exec, s[0:1]
	s_cbranch_vccz .LBB306_42
; %bb.40:
	v_ashrrev_i32_e32 v1, 31, v4
	v_add_co_u32_e32 v2, vcc, s2, v4
	v_addc_co_u32_e32 v3, vcc, 0, v1, vcc
	v_lshlrev_b64 v[2:3], 2, v[2:3]
	v_mov_b32_e32 v1, s17
	v_add_co_u32_e32 v2, vcc, s16, v2
	s_sub_i32 s0, s8, s2
	v_addc_co_u32_e32 v3, vcc, v1, v3, vcc
.LBB306_41:                             ; =>This Inner Loop Header: Depth=1
	global_load_dword v1, v[2:3], off
	s_add_i32 s0, s0, -1
	s_cmp_lg_u32 s0, 0
	s_waitcnt vmcnt(0)
	v_div_scale_f32 v4, s[2:3], v0, v0, v1
	v_rcp_f32_e32 v5, v4
	v_div_scale_f32 v6, vcc, v1, v0, v1
	v_fma_f32 v7, -v4, v5, 1.0
	v_fmac_f32_e32 v5, v7, v5
	v_mul_f32_e32 v7, v6, v5
	v_fma_f32 v8, -v4, v7, v6
	v_fmac_f32_e32 v7, v8, v5
	v_fma_f32 v4, -v4, v7, v6
	v_div_fmas_f32 v4, v4, v5, v7
	v_div_fixup_f32 v1, v4, v0, v1
	global_store_dword v[2:3], v1, off
	v_add_co_u32_e32 v2, vcc, 4, v2
	v_addc_co_u32_e32 v3, vcc, 0, v3, vcc
	s_cbranch_scc1 .LBB306_41
.LBB306_42:
	s_endpgm
	.section	.rodata,"a",@progbits
	.p2align	6, 0x0
	.amdhsa_kernel _ZN4vllm3moe10topkGatingILi8ELi256ELi4ELi16ELi64El6__halfLNS0_11ScoringFuncE1EEEvPKT5_PKbPfiPT4_PiiiibPKf
		.amdhsa_group_segment_fixed_size 0
		.amdhsa_private_segment_fixed_size 0
		.amdhsa_kernarg_size 72
		.amdhsa_user_sgpr_count 6
		.amdhsa_user_sgpr_private_segment_buffer 1
		.amdhsa_user_sgpr_dispatch_ptr 0
		.amdhsa_user_sgpr_queue_ptr 0
		.amdhsa_user_sgpr_kernarg_segment_ptr 1
		.amdhsa_user_sgpr_dispatch_id 0
		.amdhsa_user_sgpr_flat_scratch_init 0
		.amdhsa_user_sgpr_kernarg_preload_length 0
		.amdhsa_user_sgpr_kernarg_preload_offset 0
		.amdhsa_user_sgpr_private_segment_size 0
		.amdhsa_uses_dynamic_stack 0
		.amdhsa_system_sgpr_private_segment_wavefront_offset 0
		.amdhsa_system_sgpr_workgroup_id_x 1
		.amdhsa_system_sgpr_workgroup_id_y 0
		.amdhsa_system_sgpr_workgroup_id_z 0
		.amdhsa_system_sgpr_workgroup_info 0
		.amdhsa_system_vgpr_workitem_id 1
		.amdhsa_next_free_vgpr 38
		.amdhsa_next_free_sgpr 26
		.amdhsa_accum_offset 40
		.amdhsa_reserve_vcc 1
		.amdhsa_reserve_flat_scratch 0
		.amdhsa_float_round_mode_32 0
		.amdhsa_float_round_mode_16_64 0
		.amdhsa_float_denorm_mode_32 3
		.amdhsa_float_denorm_mode_16_64 3
		.amdhsa_dx10_clamp 1
		.amdhsa_ieee_mode 1
		.amdhsa_fp16_overflow 0
		.amdhsa_tg_split 0
		.amdhsa_exception_fp_ieee_invalid_op 0
		.amdhsa_exception_fp_denorm_src 0
		.amdhsa_exception_fp_ieee_div_zero 0
		.amdhsa_exception_fp_ieee_overflow 0
		.amdhsa_exception_fp_ieee_underflow 0
		.amdhsa_exception_fp_ieee_inexact 0
		.amdhsa_exception_int_div_zero 0
	.end_amdhsa_kernel
	.section	.text._ZN4vllm3moe10topkGatingILi8ELi256ELi4ELi16ELi64El6__halfLNS0_11ScoringFuncE1EEEvPKT5_PKbPfiPT4_PiiiibPKf,"axG",@progbits,_ZN4vllm3moe10topkGatingILi8ELi256ELi4ELi16ELi64El6__halfLNS0_11ScoringFuncE1EEEvPKT5_PKbPfiPT4_PiiiibPKf,comdat
.Lfunc_end306:
	.size	_ZN4vllm3moe10topkGatingILi8ELi256ELi4ELi16ELi64El6__halfLNS0_11ScoringFuncE1EEEvPKT5_PKbPfiPT4_PiiiibPKf, .Lfunc_end306-_ZN4vllm3moe10topkGatingILi8ELi256ELi4ELi16ELi64El6__halfLNS0_11ScoringFuncE1EEEvPKT5_PKbPfiPT4_PiiiibPKf
                                        ; -- End function
	.section	.AMDGPU.csdata,"",@progbits
; Kernel info:
; codeLenInByte = 3196
; NumSgprs: 30
; NumVgprs: 38
; NumAgprs: 0
; TotalNumVgprs: 38
; ScratchSize: 0
; MemoryBound: 0
; FloatMode: 240
; IeeeMode: 1
; LDSByteSize: 0 bytes/workgroup (compile time only)
; SGPRBlocks: 3
; VGPRBlocks: 4
; NumSGPRsForWavesPerEU: 30
; NumVGPRsForWavesPerEU: 38
; AccumOffset: 40
; Occupancy: 8
; WaveLimiterHint : 0
; COMPUTE_PGM_RSRC2:SCRATCH_EN: 0
; COMPUTE_PGM_RSRC2:USER_SGPR: 6
; COMPUTE_PGM_RSRC2:TRAP_HANDLER: 0
; COMPUTE_PGM_RSRC2:TGID_X_EN: 1
; COMPUTE_PGM_RSRC2:TGID_Y_EN: 0
; COMPUTE_PGM_RSRC2:TGID_Z_EN: 0
; COMPUTE_PGM_RSRC2:TIDIG_COMP_CNT: 1
; COMPUTE_PGM_RSRC3_GFX90A:ACCUM_OFFSET: 9
; COMPUTE_PGM_RSRC3_GFX90A:TG_SPLIT: 0
	.section	.text._ZN4vllm3moe10topkGatingILi8ELi256ELi4ELi16ELi32El6__halfLNS0_11ScoringFuncE1EEEvPKT5_PKbPfiPT4_PiiiibPKf,"axG",@progbits,_ZN4vllm3moe10topkGatingILi8ELi256ELi4ELi16ELi32El6__halfLNS0_11ScoringFuncE1EEEvPKT5_PKbPfiPT4_PiiiibPKf,comdat
	.protected	_ZN4vllm3moe10topkGatingILi8ELi256ELi4ELi16ELi32El6__halfLNS0_11ScoringFuncE1EEEvPKT5_PKbPfiPT4_PiiiibPKf ; -- Begin function _ZN4vllm3moe10topkGatingILi8ELi256ELi4ELi16ELi32El6__halfLNS0_11ScoringFuncE1EEEvPKT5_PKbPfiPT4_PiiiibPKf
	.globl	_ZN4vllm3moe10topkGatingILi8ELi256ELi4ELi16ELi32El6__halfLNS0_11ScoringFuncE1EEEvPKT5_PKbPfiPT4_PiiiibPKf
	.p2align	8
	.type	_ZN4vllm3moe10topkGatingILi8ELi256ELi4ELi16ELi32El6__halfLNS0_11ScoringFuncE1EEEvPKT5_PKbPfiPT4_PiiiibPKf,@function
_ZN4vllm3moe10topkGatingILi8ELi256ELi4ELi16ELi32El6__halfLNS0_11ScoringFuncE1EEEvPKT5_PKbPfiPT4_PiiiibPKf: ; @_ZN4vllm3moe10topkGatingILi8ELi256ELi4ELi16ELi32El6__halfLNS0_11ScoringFuncE1EEEvPKT5_PKbPfiPT4_PiiiibPKf
; %bb.0:
	s_load_dword s24, s[4:5], 0x18
	v_and_b32_e32 v1, 0x3ff, v0
	s_lshl_b32 s0, s6, 2
	v_lshrrev_b32_e32 v2, 5, v1
	v_bfe_u32 v0, v0, 10, 10
	v_add3_u32 v17, s0, v0, v2
	s_waitcnt lgkmcnt(0)
	v_cmp_gt_i32_e32 vcc, s24, v17
	s_and_saveexec_b64 s[0:1], vcc
	s_cbranch_execz .LBB307_42
; %bb.1:
	s_load_dwordx4 s[0:3], s[4:5], 0x0
	s_load_dwordx2 s[16:17], s[4:5], 0x10
	s_mov_b64 s[8:9], -1
	s_mov_b64 s[18:19], -1
	s_waitcnt lgkmcnt(0)
	s_cmp_eq_u64 s[2:3], 0
	s_cbranch_scc1 .LBB307_3
; %bb.2:
	v_ashrrev_i32_e32 v0, 31, v17
	v_mov_b32_e32 v3, s3
	v_add_co_u32_e32 v2, vcc, s2, v17
	v_addc_co_u32_e32 v3, vcc, v3, v0, vcc
	global_load_ubyte v0, v[2:3], off
	s_waitcnt vmcnt(0)
	v_and_b32_e32 v0, 1, v0
	v_cmp_eq_u32_e32 vcc, 1, v0
	s_xor_b64 s[2:3], vcc, -1
	s_orn2_b64 s[18:19], s[2:3], exec
.LBB307_3:
	v_lshlrev_b32_e32 v2, 8, v17
	v_ashrrev_i32_e32 v3, 31, v2
	v_lshlrev_b64 v[2:3], 1, v[2:3]
	v_mov_b32_e32 v0, s1
	v_add_co_u32_e32 v2, vcc, s0, v2
	v_and_b32_e32 v21, 31, v1
	v_addc_co_u32_e32 v3, vcc, v0, v3, vcc
	v_lshlrev_b32_e32 v0, 4, v21
	v_add_co_u32_e32 v0, vcc, v2, v0
	v_addc_co_u32_e32 v1, vcc, 0, v3, vcc
	global_load_dwordx4 v[0:3], v[0:1], off
	v_mov_b32_e32 v8, 0x207
	s_load_dwordx2 s[10:11], s[4:5], 0x40
	v_lshlrev_b32_e32 v22, 3, v21
	s_waitcnt lgkmcnt(0)
	s_cmp_eq_u64 s[10:11], 0
	s_waitcnt vmcnt(0)
	v_cvt_f32_f16_e32 v4, v0
	v_cvt_f32_f16_sdwa v0, v0 dst_sel:DWORD dst_unused:UNUSED_PAD src0_sel:WORD_1
	v_cvt_f32_f16_e32 v5, v1
	v_cvt_f32_f16_sdwa v1, v1 dst_sel:DWORD dst_unused:UNUSED_PAD src0_sel:WORD_1
	v_mul_f32_e32 v4, 0xbfb8aa3b, v4
	v_mul_f32_e32 v9, 0xbfb8aa3b, v0
	v_cvt_f32_f16_e32 v6, v2
	v_cvt_f32_f16_sdwa v2, v2 dst_sel:DWORD dst_unused:UNUSED_PAD src0_sel:WORD_1
	v_cvt_f32_f16_e32 v7, v3
	v_cvt_f32_f16_sdwa v3, v3 dst_sel:DWORD dst_unused:UNUSED_PAD src0_sel:WORD_1
	v_mul_f32_e32 v10, 0xbfb8aa3b, v1
	v_exp_f32_e32 v0, v4
	v_exp_f32_e32 v1, v9
	v_mul_f32_e32 v5, 0xbfb8aa3b, v5
	v_mul_f32_e32 v11, 0xbfb8aa3b, v2
	;; [unrolled: 1-line block ×3, first 2 shown]
	v_exp_f32_e32 v2, v5
	v_exp_f32_e32 v3, v10
	v_pk_add_f32 v[0:1], v[0:1], 1.0 op_sel_hi:[1,0]
	v_div_scale_f32 v9, s[0:1], v1, v1, 1.0
	v_rcp_f32_e32 v19, v9
	v_exp_f32_e32 v5, v11
	v_div_scale_f32 v11, s[0:1], v0, v0, 1.0
	v_pk_add_f32 v[2:3], v[2:3], 1.0 op_sel_hi:[1,0]
	v_rcp_f32_e32 v20, v11
	v_div_scale_f32 v13, s[2:3], v3, v3, 1.0
	v_rcp_f32_e32 v23, v13
	v_fma_f32 v26, -v9, v19, 1.0
	v_div_scale_f32 v10, vcc, 1.0, v1, 1.0
	v_div_scale_f32 v15, s[6:7], v2, v2, 1.0
	v_fmac_f32_e32 v19, v26, v19
	v_mul_f32_e32 v6, 0xbfb8aa3b, v6
	v_mul_f32_e32 v7, 0xbfb8aa3b, v7
	v_rcp_f32_e32 v24, v15
	v_fma_f32 v27, -v11, v20, 1.0
	v_mul_f32_e32 v26, v10, v19
	v_exp_f32_e32 v4, v6
	v_exp_f32_e32 v6, v7
	;; [unrolled: 1-line block ×3, first 2 shown]
	v_div_scale_f32 v12, s[0:1], 1.0, v0, 1.0
	v_fmac_f32_e32 v20, v27, v20
	v_fma_f32 v30, -v9, v26, v10
	v_fma_f32 v28, -v13, v23, 1.0
	v_mul_f32_e32 v27, v12, v20
	v_fmac_f32_e32 v26, v30, v19
	v_div_scale_f32 v14, s[2:3], 1.0, v3, 1.0
	v_fmac_f32_e32 v23, v28, v23
	v_fma_f32 v31, -v11, v27, v12
	v_fma_f32 v9, -v9, v26, v10
	v_fma_f32 v29, -v15, v24, 1.0
	v_mul_f32_e32 v28, v14, v23
	v_fmac_f32_e32 v27, v31, v20
	v_div_fmas_f32 v9, v9, v19, v26
	v_div_scale_f32 v16, s[6:7], 1.0, v2, 1.0
	v_fmac_f32_e32 v24, v29, v24
	v_fma_f32 v32, -v13, v28, v14
	v_fma_f32 v10, -v11, v27, v12
	v_div_fixup_f32 v1, v9, v1, 1.0
	s_mov_b64 vcc, s[0:1]
	v_pk_add_f32 v[4:5], v[4:5], 1.0 op_sel_hi:[1,0]
	v_mul_f32_e32 v29, v16, v24
	v_fmac_f32_e32 v28, v32, v23
	v_div_fmas_f32 v9, v10, v20, v27
	v_cmp_class_f32_e32 vcc, v1, v8
	v_div_scale_f32 v18, s[12:13], v5, v5, 1.0
	v_fma_f32 v33, -v15, v29, v16
	v_fma_f32 v11, -v13, v28, v14
	v_div_fixup_f32 v0, v9, v0, 1.0
	v_cndmask_b32_e64 v1, v1, 0, vcc
	s_mov_b64 vcc, s[2:3]
	v_rcp_f32_e32 v25, v18
	v_fmac_f32_e32 v29, v33, v24
	v_div_fmas_f32 v9, v11, v23, v28
	v_cmp_class_f32_e32 vcc, v0, v8
	v_fma_f32 v12, -v15, v29, v16
	v_cndmask_b32_e64 v0, v0, 0, vcc
	s_mov_b64 vcc, s[6:7]
	v_div_fixup_f32 v3, v9, v3, 1.0
	v_div_fmas_f32 v9, v12, v24, v29
	v_div_fixup_f32 v2, v9, v2, 1.0
	v_cmp_class_f32_e32 vcc, v3, v8
	v_cndmask_b32_e64 v3, v3, 0, vcc
	v_cmp_class_f32_e32 vcc, v2, v8
	v_fma_f32 v9, -v18, v25, 1.0
	v_cndmask_b32_e64 v2, v2, 0, vcc
	v_fmac_f32_e32 v25, v9, v25
	v_div_scale_f32 v9, vcc, 1.0, v5, 1.0
	v_mul_f32_e32 v10, v9, v25
	v_fma_f32 v11, -v18, v10, v9
	v_fmac_f32_e32 v10, v11, v25
	v_div_scale_f32 v11, s[0:1], v4, v4, 1.0
	v_rcp_f32_e32 v12, v11
	v_fma_f32 v9, -v18, v10, v9
	v_div_fmas_f32 v9, v9, v25, v10
	v_div_fixup_f32 v5, v9, v5, 1.0
	v_fma_f32 v9, -v11, v12, 1.0
	v_fmac_f32_e32 v12, v9, v12
	v_div_scale_f32 v9, vcc, 1.0, v4, 1.0
	v_mul_f32_e32 v10, v9, v12
	v_fma_f32 v13, -v11, v10, v9
	v_fmac_f32_e32 v10, v13, v12
	v_fma_f32 v9, -v11, v10, v9
	v_div_fmas_f32 v9, v9, v12, v10
	v_pk_add_f32 v[6:7], v[6:7], 1.0 op_sel_hi:[1,0]
	v_div_fixup_f32 v4, v9, v4, 1.0
	v_div_scale_f32 v9, s[0:1], v7, v7, 1.0
	v_rcp_f32_e32 v10, v9
	v_cmp_class_f32_e32 vcc, v5, v8
	v_cndmask_b32_e64 v5, v5, 0, vcc
	v_cmp_class_f32_e32 vcc, v4, v8
	v_fma_f32 v11, -v9, v10, 1.0
	v_cndmask_b32_e64 v4, v4, 0, vcc
	v_fmac_f32_e32 v10, v11, v10
	v_div_scale_f32 v11, vcc, 1.0, v7, 1.0
	v_mul_f32_e32 v12, v11, v10
	v_fma_f32 v13, -v9, v12, v11
	v_fmac_f32_e32 v12, v13, v10
	v_fma_f32 v9, -v9, v12, v11
	v_div_scale_f32 v11, s[0:1], v6, v6, 1.0
	v_rcp_f32_e32 v13, v11
	v_div_fmas_f32 v9, v9, v10, v12
	v_div_fixup_f32 v7, v9, v7, 1.0
	v_fma_f32 v9, -v11, v13, 1.0
	v_fmac_f32_e32 v13, v9, v13
	v_div_scale_f32 v9, vcc, 1.0, v6, 1.0
	v_mul_f32_e32 v10, v9, v13
	v_fma_f32 v12, -v11, v10, v9
	v_fmac_f32_e32 v10, v12, v13
	v_fma_f32 v9, -v11, v10, v9
	v_div_fmas_f32 v9, v9, v13, v10
	v_div_fixup_f32 v6, v9, v6, 1.0
	v_cmp_class_f32_e32 vcc, v7, v8
	v_cndmask_b32_e64 v7, v7, 0, vcc
	v_cmp_class_f32_e32 vcc, v6, v8
	v_cndmask_b32_e64 v6, v6, 0, vcc
	s_cbranch_scc1 .LBB307_31
; %bb.4:
	v_lshlrev_b32_e32 v16, 2, v22
	global_load_dwordx4 v[8:11], v16, s[10:11]
	global_load_dwordx4 v[12:15], v16, s[10:11] offset:16
	s_waitcnt vmcnt(1)
	v_pk_add_f32 v[8:9], v[8:9], v[0:1]
	v_pk_add_f32 v[10:11], v[10:11], v[2:3]
	s_waitcnt vmcnt(0)
	v_pk_add_f32 v[12:13], v[12:13], v[4:5]
	v_pk_add_f32 v[14:15], v[14:15], v[6:7]
	s_cbranch_execnz .LBB307_6
.LBB307_5:
	v_pk_mov_b32 v[14:15], v[6:7], v[6:7] op_sel:[0,1]
	v_pk_mov_b32 v[12:13], v[4:5], v[4:5] op_sel:[0,1]
	;; [unrolled: 1-line block ×4, first 2 shown]
.LBB307_6:
	s_load_dwordx4 s[8:11], s[4:5], 0x30
	s_mov_b32 s25, 0
	v_cmp_eq_u32_e64 s[0:1], 0, v21
	s_waitcnt lgkmcnt(0)
	s_bitcmp1_b32 s11, 0
	s_cselect_b64 vcc, -1, 0
	s_cmp_gt_i32 s8, 0
	s_cselect_b64 s[20:21], -1, 0
	s_cmp_lt_i32 s8, 1
	s_cbranch_scc1 .LBB307_32
; %bb.7:
	v_mbcnt_lo_u32_b32 v16, -1, 0
	v_mbcnt_hi_u32_b32 v16, -1, v16
	v_and_b32_e32 v18, 0x60, v16
	v_add_u32_e32 v18, 32, v18
	v_xor_b32_e32 v19, 16, v16
	v_cmp_lt_i32_e64 s[2:3], v19, v18
	v_cndmask_b32_e64 v19, v16, v19, s[2:3]
	v_lshlrev_b32_e32 v25, 2, v19
	v_xor_b32_e32 v19, 8, v16
	v_cmp_lt_i32_e64 s[2:3], v19, v18
	v_cndmask_b32_e64 v19, v16, v19, s[2:3]
	v_lshlrev_b32_e32 v26, 2, v19
	;; [unrolled: 4-line block ×3, first 2 shown]
	v_xor_b32_e32 v19, 2, v16
	v_cmp_lt_i32_e64 s[2:3], v19, v18
	s_load_dwordx4 s[12:15], s[4:5], 0x20
	v_cndmask_b32_e64 v19, v16, v19, s[2:3]
	v_lshlrev_b32_e32 v28, 2, v19
	v_xor_b32_e32 v19, 1, v16
	v_cmp_lt_i32_e64 s[2:3], v19, v18
	v_cndmask_b32_e64 v16, v16, v19, s[2:3]
	v_mul_lo_u32 v24, v17, s8
	v_lshlrev_b32_e32 v29, 2, v16
	v_mov_b32_e32 v23, 0
	v_mov_b32_e32 v30, 0x100
	;; [unrolled: 1-line block ×4, first 2 shown]
	s_branch .LBB307_10
.LBB307_8:                              ;   in Loop: Header=BB307_10 Depth=1
	s_or_b64 exec, exec, s[4:5]
.LBB307_9:                              ;   in Loop: Header=BB307_10 Depth=1
	s_cmp_eq_u32 s8, s25
	v_add_u32_e32 v32, s24, v32
	s_cbranch_scc1 .LBB307_33
.LBB307_10:                             ; =>This Inner Loop Header: Depth=1
	v_cmp_gt_f32_e64 s[2:3], v9, v8
	s_waitcnt lgkmcnt(0)
	v_cndmask_b32_e64 v19, v8, v9, s[2:3]
	v_cndmask_b32_e64 v16, 0, 1, s[2:3]
	v_cndmask_b32_e64 v18, v0, v1, s[2:3]
	v_cmp_gt_f32_e64 s[2:3], v10, v19
	v_cndmask_b32_e64 v19, v19, v10, s[2:3]
	v_cndmask_b32_e64 v16, v16, 2, s[2:3]
	v_cndmask_b32_e64 v18, v18, v2, s[2:3]
	v_cmp_gt_f32_e64 s[2:3], v11, v19
	;; [unrolled: 4-line block ×6, first 2 shown]
	v_cndmask_b32_e64 v16, v16, 7, s[2:3]
	v_cndmask_b32_e64 v33, v19, v15, s[2:3]
	v_or_b32_e32 v34, v22, v16
	v_cndmask_b32_e64 v16, v18, v7, s[2:3]
	ds_bpermute_b32 v36, v25, v33
	ds_bpermute_b32 v20, v25, v16
	;; [unrolled: 1-line block ×3, first 2 shown]
                                        ; implicit-def: $vgpr18_vgpr19
	s_waitcnt lgkmcnt(0)
	v_cmp_lt_f32_e64 s[6:7], v33, v36
	v_cmp_nlt_f32_e64 s[2:3], v33, v36
	s_and_saveexec_b64 s[22:23], s[2:3]
; %bb.11:                               ;   in Loop: Header=BB307_10 Depth=1
	v_cmp_eq_f32_e64 s[2:3], v33, v36
	v_cmp_lt_i32_e64 s[4:5], v35, v34
	s_and_b64 s[2:3], s[2:3], s[4:5]
	s_andn2_b64 s[4:5], s[6:7], exec
	s_and_b64 s[2:3], s[2:3], exec
	s_or_b64 s[6:7], s[4:5], s[2:3]
	v_pk_mov_b32 v[18:19], v[16:17], v[16:17] op_sel:[0,1]
; %bb.12:                               ;   in Loop: Header=BB307_10 Depth=1
	s_or_b64 exec, exec, s[22:23]
	s_and_saveexec_b64 s[2:3], s[6:7]
; %bb.13:                               ;   in Loop: Header=BB307_10 Depth=1
	v_mov_b32_e32 v33, v36
	v_mov_b32_e32 v16, v20
	;; [unrolled: 1-line block ×3, first 2 shown]
	v_pk_mov_b32 v[18:19], v[20:21], v[20:21] op_sel:[0,1]
; %bb.14:                               ;   in Loop: Header=BB307_10 Depth=1
	s_or_b64 exec, exec, s[2:3]
	ds_bpermute_b32 v35, v26, v33
	ds_bpermute_b32 v20, v26, v16
	;; [unrolled: 1-line block ×3, first 2 shown]
	s_waitcnt lgkmcnt(2)
	v_cmp_lt_f32_e64 s[6:7], v33, v35
	v_cmp_nlt_f32_e64 s[2:3], v33, v35
	s_and_saveexec_b64 s[22:23], s[2:3]
	s_cbranch_execz .LBB307_16
; %bb.15:                               ;   in Loop: Header=BB307_10 Depth=1
	v_cmp_eq_f32_e64 s[2:3], v33, v35
	s_waitcnt lgkmcnt(0)
	v_cmp_lt_i32_e64 s[4:5], v19, v34
	s_and_b64 s[2:3], s[2:3], s[4:5]
	s_andn2_b64 s[4:5], s[6:7], exec
	s_and_b64 s[2:3], s[2:3], exec
	s_or_b64 s[6:7], s[4:5], s[2:3]
.LBB307_16:                             ;   in Loop: Header=BB307_10 Depth=1
	s_or_b64 exec, exec, s[22:23]
	s_and_saveexec_b64 s[2:3], s[6:7]
	s_cbranch_execz .LBB307_18
; %bb.17:                               ;   in Loop: Header=BB307_10 Depth=1
	v_mov_b32_e32 v33, v35
	s_waitcnt lgkmcnt(1)
	v_mov_b32_e32 v16, v20
	s_waitcnt lgkmcnt(0)
	v_mov_b32_e32 v34, v19
	v_pk_mov_b32 v[18:19], v[20:21], v[20:21] op_sel:[0,1]
.LBB307_18:                             ;   in Loop: Header=BB307_10 Depth=1
	s_or_b64 exec, exec, s[2:3]
	ds_bpermute_b32 v35, v27, v33
	s_waitcnt lgkmcnt(2)
	ds_bpermute_b32 v20, v27, v16
	s_waitcnt lgkmcnt(2)
	;; [unrolled: 2-line block ×3, first 2 shown]
	v_cmp_lt_f32_e64 s[6:7], v33, v35
	v_cmp_nlt_f32_e64 s[2:3], v33, v35
	s_and_saveexec_b64 s[22:23], s[2:3]
	s_cbranch_execz .LBB307_20
; %bb.19:                               ;   in Loop: Header=BB307_10 Depth=1
	v_cmp_eq_f32_e64 s[2:3], v33, v35
	s_waitcnt lgkmcnt(0)
	v_cmp_lt_i32_e64 s[4:5], v19, v34
	s_and_b64 s[2:3], s[2:3], s[4:5]
	s_andn2_b64 s[4:5], s[6:7], exec
	s_and_b64 s[2:3], s[2:3], exec
	s_or_b64 s[6:7], s[4:5], s[2:3]
.LBB307_20:                             ;   in Loop: Header=BB307_10 Depth=1
	s_or_b64 exec, exec, s[22:23]
	s_and_saveexec_b64 s[2:3], s[6:7]
	s_cbranch_execz .LBB307_22
; %bb.21:                               ;   in Loop: Header=BB307_10 Depth=1
	v_mov_b32_e32 v33, v35
	s_waitcnt lgkmcnt(1)
	v_mov_b32_e32 v16, v20
	s_waitcnt lgkmcnt(0)
	v_mov_b32_e32 v34, v19
	v_pk_mov_b32 v[18:19], v[20:21], v[20:21] op_sel:[0,1]
.LBB307_22:                             ;   in Loop: Header=BB307_10 Depth=1
	s_or_b64 exec, exec, s[2:3]
	ds_bpermute_b32 v35, v28, v33
	s_waitcnt lgkmcnt(2)
	ds_bpermute_b32 v20, v28, v16
	s_waitcnt lgkmcnt(2)
	;; [unrolled: 2-line block ×3, first 2 shown]
	v_cmp_lt_f32_e64 s[6:7], v33, v35
	v_cmp_nlt_f32_e64 s[2:3], v33, v35
	s_and_saveexec_b64 s[22:23], s[2:3]
	s_cbranch_execz .LBB307_24
; %bb.23:                               ;   in Loop: Header=BB307_10 Depth=1
	v_cmp_eq_f32_e64 s[2:3], v33, v35
	s_waitcnt lgkmcnt(0)
	v_cmp_lt_i32_e64 s[4:5], v19, v34
	s_and_b64 s[2:3], s[2:3], s[4:5]
	s_andn2_b64 s[4:5], s[6:7], exec
	s_and_b64 s[2:3], s[2:3], exec
	s_or_b64 s[6:7], s[4:5], s[2:3]
.LBB307_24:                             ;   in Loop: Header=BB307_10 Depth=1
	s_or_b64 exec, exec, s[22:23]
	s_and_saveexec_b64 s[2:3], s[6:7]
	s_cbranch_execz .LBB307_26
; %bb.25:                               ;   in Loop: Header=BB307_10 Depth=1
	v_mov_b32_e32 v33, v35
	s_waitcnt lgkmcnt(1)
	v_mov_b32_e32 v16, v20
	s_waitcnt lgkmcnt(0)
	v_mov_b32_e32 v34, v19
	v_pk_mov_b32 v[18:19], v[20:21], v[20:21] op_sel:[0,1]
.LBB307_26:                             ;   in Loop: Header=BB307_10 Depth=1
	s_or_b64 exec, exec, s[2:3]
	s_waitcnt lgkmcnt(1)
	ds_bpermute_b32 v20, v29, v33
	ds_bpermute_b32 v35, v29, v34
	s_waitcnt lgkmcnt(2)
	ds_bpermute_b32 v19, v29, v16
	s_waitcnt lgkmcnt(2)
	v_cmp_eq_f32_e64 s[4:5], v33, v20
	s_waitcnt lgkmcnt(1)
	v_cmp_lt_i32_e64 s[6:7], v35, v34
	v_cmp_lt_f32_e64 s[2:3], v33, v20
	s_and_b64 s[4:5], s[4:5], s[6:7]
	s_or_b64 s[2:3], s[2:3], s[4:5]
	v_cndmask_b32_e64 v16, v34, v35, s[2:3]
	s_and_saveexec_b64 s[6:7], s[0:1]
	s_cbranch_execnz .LBB307_28
; %bb.27:                               ;   in Loop: Header=BB307_10 Depth=1
	s_or_b64 exec, exec, s[6:7]
	s_add_i32 s25, s25, 1
	s_cmp_ge_i32 s25, s8
	s_cbranch_scc1 .LBB307_9
	s_branch .LBB307_29
.LBB307_28:                             ;   in Loop: Header=BB307_10 Depth=1
	s_waitcnt lgkmcnt(0)
	v_cndmask_b32_e64 v20, v18, v19, s[2:3]
	v_add_u32_e32 v18, s25, v24
	v_ashrrev_i32_e32 v19, 31, v18
	v_cmp_le_i32_e64 s[2:3], s9, v16
	v_cmp_gt_i32_e64 s[4:5], s10, v16
	v_lshlrev_b64 v[34:35], 2, v[18:19]
	s_and_b64 s[4:5], s[2:3], s[4:5]
	v_mov_b32_e32 v33, s17
	v_add_co_u32_e64 v36, s[2:3], s16, v34
	v_addc_co_u32_e64 v37, s[2:3], v33, v35, s[2:3]
	v_subrev_u32_e32 v33, s9, v16
	global_store_dword v[36:37], v20, off
	v_ashrrev_i32_e32 v36, 31, v33
	s_and_b64 s[2:3], s[18:19], s[4:5]
	v_lshlrev_b64 v[18:19], 3, v[18:19]
	v_cndmask_b32_e64 v37, 0, v36, s[2:3]
	v_cndmask_b32_e64 v36, v30, v33, s[2:3]
	v_mov_b32_e32 v33, s13
	v_add_co_u32_e64 v18, s[2:3], s12, v18
	v_addc_co_u32_e64 v19, s[2:3], v33, v19, s[2:3]
	global_store_dwordx2 v[18:19], v[36:37], off
	v_mov_b32_e32 v19, s15
	v_add_co_u32_e64 v18, s[2:3], s14, v34
	v_addc_co_u32_e64 v19, s[2:3], v19, v35, s[2:3]
	global_store_dword v[18:19], v32, off
	v_add_f32_e32 v18, v23, v20
	v_cndmask_b32_e32 v23, v23, v18, vcc
	s_or_b64 exec, exec, s[6:7]
	s_add_i32 s25, s25, 1
	s_cmp_ge_i32 s25, s8
	s_cbranch_scc1 .LBB307_9
.LBB307_29:                             ;   in Loop: Header=BB307_10 Depth=1
	v_ashrrev_i32_e32 v18, 31, v16
	s_waitcnt lgkmcnt(0)
	v_lshrrev_b32_e32 v19, 29, v18
	v_add_u32_e32 v20, v16, v19
	v_ashrrev_i32_e32 v19, 3, v20
	v_ashrrev_i32_e32 v20, 31, v20
	v_lshrrev_b32_e32 v20, 27, v20
	v_add_u32_e32 v20, v19, v20
	v_and_b32_e32 v20, 0xffffffe0, v20
	v_sub_u32_e32 v20, v19, v20
	v_cmp_eq_u32_e64 s[2:3], v21, v20
	s_and_saveexec_b64 s[4:5], s[2:3]
	s_cbranch_execz .LBB307_8
; %bb.30:                               ;   in Loop: Header=BB307_10 Depth=1
	v_add_u32_sdwa v18, v16, v18 dst_sel:DWORD dst_unused:UNUSED_PAD src0_sel:DWORD src1_sel:BYTE_3
	v_lshlrev_b32_e32 v19, 3, v19
	v_ashrrev_i32_e32 v18, 8, v18
	v_sub_u32_e32 v16, v16, v19
	v_lshl_add_u32 v16, v18, 3, v16
	v_cmp_ne_u32_e64 s[2:3], 7, v16
	v_cndmask_b32_e64 v15, v31, v15, s[2:3]
	v_cmp_ne_u32_e64 s[2:3], 6, v16
	v_cndmask_b32_e64 v14, v31, v14, s[2:3]
	;; [unrolled: 2-line block ×8, first 2 shown]
	s_branch .LBB307_8
.LBB307_31:
                                        ; implicit-def: $vgpr8_vgpr9_vgpr10_vgpr11_vgpr12_vgpr13_vgpr14_vgpr15
	s_andn2_b64 vcc, exec, s[8:9]
	s_cbranch_vccz .LBB307_5
	s_branch .LBB307_6
.LBB307_32:
	v_mov_b32_e32 v23, 0
.LBB307_33:
	v_cmp_eq_u32_e64 s[0:1], 0, v21
	s_and_b64 s[0:1], s[0:1], vcc
	s_and_b64 exec, exec, s[0:1]
	s_cbranch_execz .LBB307_42
; %bb.34:
	s_andn2_b64 vcc, exec, s[20:21]
	s_cbranch_vccnz .LBB307_42
; %bb.35:
	v_cmp_lt_f32_e32 vcc, 0, v23
	s_mov_b32 s2, 0
	v_cndmask_b32_e32 v0, 1.0, v23, vcc
	v_mul_lo_u32 v4, v17, s8
	s_cmp_eq_u32 s8, 1
	s_mov_b64 s[0:1], -1
	s_cbranch_scc1 .LBB307_39
; %bb.36:
	s_and_b32 s2, s8, 0x7ffffffe
	v_mov_b32_e32 v1, v0
	v_mov_b32_e32 v5, s17
	s_mov_b32 s3, s2
	v_mov_b32_e32 v2, v4
.LBB307_37:                             ; =>This Inner Loop Header: Depth=1
	v_ashrrev_i32_e32 v3, 31, v2
	v_lshlrev_b64 v[6:7], 2, v[2:3]
	v_add_co_u32_e32 v6, vcc, s16, v6
	v_addc_co_u32_e32 v7, vcc, v5, v7, vcc
	global_load_dwordx2 v[8:9], v[6:7], off
	s_add_i32 s3, s3, -2
	s_cmp_lg_u32 s3, 0
	v_add_u32_e32 v2, 2, v2
	s_waitcnt vmcnt(0)
	v_div_scale_f32 v3, s[0:1], v1, v1, v9
	v_div_scale_f32 v11, s[0:1], v0, v0, v8
	v_rcp_f32_e32 v12, v3
	v_rcp_f32_e32 v13, v11
	v_div_scale_f32 v10, vcc, v9, v1, v9
	v_fma_f32 v15, -v3, v12, 1.0
	v_fma_f32 v16, -v11, v13, 1.0
	v_fmac_f32_e32 v12, v15, v12
	v_div_scale_f32 v14, s[0:1], v8, v0, v8
	v_fmac_f32_e32 v13, v16, v13
	v_mul_f32_e32 v15, v10, v12
	v_mul_f32_e32 v16, v14, v13
	v_fma_f32 v17, -v3, v15, v10
	v_fma_f32 v18, -v11, v16, v14
	v_fmac_f32_e32 v15, v17, v12
	v_fmac_f32_e32 v16, v18, v13
	v_fma_f32 v3, -v3, v15, v10
	v_fma_f32 v10, -v11, v16, v14
	v_div_fmas_f32 v3, v3, v12, v15
	s_mov_b64 vcc, s[0:1]
	v_div_fixup_f32 v9, v3, v1, v9
	v_div_fmas_f32 v3, v10, v13, v16
	v_div_fixup_f32 v8, v3, v0, v8
	global_store_dwordx2 v[6:7], v[8:9], off
	s_cbranch_scc1 .LBB307_37
; %bb.38:
	s_cmp_lg_u32 s2, s8
	s_cselect_b64 s[0:1], -1, 0
.LBB307_39:
	s_and_b64 vcc, exec, s[0:1]
	s_cbranch_vccz .LBB307_42
; %bb.40:
	v_ashrrev_i32_e32 v1, 31, v4
	v_add_co_u32_e32 v2, vcc, s2, v4
	v_addc_co_u32_e32 v3, vcc, 0, v1, vcc
	v_lshlrev_b64 v[2:3], 2, v[2:3]
	v_mov_b32_e32 v1, s17
	v_add_co_u32_e32 v2, vcc, s16, v2
	s_sub_i32 s0, s8, s2
	v_addc_co_u32_e32 v3, vcc, v1, v3, vcc
.LBB307_41:                             ; =>This Inner Loop Header: Depth=1
	global_load_dword v1, v[2:3], off
	s_add_i32 s0, s0, -1
	s_cmp_lg_u32 s0, 0
	s_waitcnt vmcnt(0)
	v_div_scale_f32 v4, s[2:3], v0, v0, v1
	v_rcp_f32_e32 v5, v4
	v_div_scale_f32 v6, vcc, v1, v0, v1
	v_fma_f32 v7, -v4, v5, 1.0
	v_fmac_f32_e32 v5, v7, v5
	v_mul_f32_e32 v7, v6, v5
	v_fma_f32 v8, -v4, v7, v6
	v_fmac_f32_e32 v7, v8, v5
	v_fma_f32 v4, -v4, v7, v6
	v_div_fmas_f32 v4, v4, v5, v7
	v_div_fixup_f32 v1, v4, v0, v1
	global_store_dword v[2:3], v1, off
	v_add_co_u32_e32 v2, vcc, 4, v2
	v_addc_co_u32_e32 v3, vcc, 0, v3, vcc
	s_cbranch_scc1 .LBB307_41
.LBB307_42:
	s_endpgm
	.section	.rodata,"a",@progbits
	.p2align	6, 0x0
	.amdhsa_kernel _ZN4vllm3moe10topkGatingILi8ELi256ELi4ELi16ELi32El6__halfLNS0_11ScoringFuncE1EEEvPKT5_PKbPfiPT4_PiiiibPKf
		.amdhsa_group_segment_fixed_size 0
		.amdhsa_private_segment_fixed_size 0
		.amdhsa_kernarg_size 72
		.amdhsa_user_sgpr_count 6
		.amdhsa_user_sgpr_private_segment_buffer 1
		.amdhsa_user_sgpr_dispatch_ptr 0
		.amdhsa_user_sgpr_queue_ptr 0
		.amdhsa_user_sgpr_kernarg_segment_ptr 1
		.amdhsa_user_sgpr_dispatch_id 0
		.amdhsa_user_sgpr_flat_scratch_init 0
		.amdhsa_user_sgpr_kernarg_preload_length 0
		.amdhsa_user_sgpr_kernarg_preload_offset 0
		.amdhsa_user_sgpr_private_segment_size 0
		.amdhsa_uses_dynamic_stack 0
		.amdhsa_system_sgpr_private_segment_wavefront_offset 0
		.amdhsa_system_sgpr_workgroup_id_x 1
		.amdhsa_system_sgpr_workgroup_id_y 0
		.amdhsa_system_sgpr_workgroup_id_z 0
		.amdhsa_system_sgpr_workgroup_info 0
		.amdhsa_system_vgpr_workitem_id 1
		.amdhsa_next_free_vgpr 38
		.amdhsa_next_free_sgpr 26
		.amdhsa_accum_offset 40
		.amdhsa_reserve_vcc 1
		.amdhsa_reserve_flat_scratch 0
		.amdhsa_float_round_mode_32 0
		.amdhsa_float_round_mode_16_64 0
		.amdhsa_float_denorm_mode_32 3
		.amdhsa_float_denorm_mode_16_64 3
		.amdhsa_dx10_clamp 1
		.amdhsa_ieee_mode 1
		.amdhsa_fp16_overflow 0
		.amdhsa_tg_split 0
		.amdhsa_exception_fp_ieee_invalid_op 0
		.amdhsa_exception_fp_denorm_src 0
		.amdhsa_exception_fp_ieee_div_zero 0
		.amdhsa_exception_fp_ieee_overflow 0
		.amdhsa_exception_fp_ieee_underflow 0
		.amdhsa_exception_fp_ieee_inexact 0
		.amdhsa_exception_int_div_zero 0
	.end_amdhsa_kernel
	.section	.text._ZN4vllm3moe10topkGatingILi8ELi256ELi4ELi16ELi32El6__halfLNS0_11ScoringFuncE1EEEvPKT5_PKbPfiPT4_PiiiibPKf,"axG",@progbits,_ZN4vllm3moe10topkGatingILi8ELi256ELi4ELi16ELi32El6__halfLNS0_11ScoringFuncE1EEEvPKT5_PKbPfiPT4_PiiiibPKf,comdat
.Lfunc_end307:
	.size	_ZN4vllm3moe10topkGatingILi8ELi256ELi4ELi16ELi32El6__halfLNS0_11ScoringFuncE1EEEvPKT5_PKbPfiPT4_PiiiibPKf, .Lfunc_end307-_ZN4vllm3moe10topkGatingILi8ELi256ELi4ELi16ELi32El6__halfLNS0_11ScoringFuncE1EEEvPKT5_PKbPfiPT4_PiiiibPKf
                                        ; -- End function
	.section	.AMDGPU.csdata,"",@progbits
; Kernel info:
; codeLenInByte = 3192
; NumSgprs: 30
; NumVgprs: 38
; NumAgprs: 0
; TotalNumVgprs: 38
; ScratchSize: 0
; MemoryBound: 0
; FloatMode: 240
; IeeeMode: 1
; LDSByteSize: 0 bytes/workgroup (compile time only)
; SGPRBlocks: 3
; VGPRBlocks: 4
; NumSGPRsForWavesPerEU: 30
; NumVGPRsForWavesPerEU: 38
; AccumOffset: 40
; Occupancy: 8
; WaveLimiterHint : 0
; COMPUTE_PGM_RSRC2:SCRATCH_EN: 0
; COMPUTE_PGM_RSRC2:USER_SGPR: 6
; COMPUTE_PGM_RSRC2:TRAP_HANDLER: 0
; COMPUTE_PGM_RSRC2:TGID_X_EN: 1
; COMPUTE_PGM_RSRC2:TGID_Y_EN: 0
; COMPUTE_PGM_RSRC2:TGID_Z_EN: 0
; COMPUTE_PGM_RSRC2:TIDIG_COMP_CNT: 1
; COMPUTE_PGM_RSRC3_GFX90A:ACCUM_OFFSET: 9
; COMPUTE_PGM_RSRC3_GFX90A:TG_SPLIT: 0
	.section	.text._ZN4vllm3moe10topkGatingILi8ELi512ELi4ELi16ELi64El6__halfLNS0_11ScoringFuncE1EEEvPKT5_PKbPfiPT4_PiiiibPKf,"axG",@progbits,_ZN4vllm3moe10topkGatingILi8ELi512ELi4ELi16ELi64El6__halfLNS0_11ScoringFuncE1EEEvPKT5_PKbPfiPT4_PiiiibPKf,comdat
	.protected	_ZN4vllm3moe10topkGatingILi8ELi512ELi4ELi16ELi64El6__halfLNS0_11ScoringFuncE1EEEvPKT5_PKbPfiPT4_PiiiibPKf ; -- Begin function _ZN4vllm3moe10topkGatingILi8ELi512ELi4ELi16ELi64El6__halfLNS0_11ScoringFuncE1EEEvPKT5_PKbPfiPT4_PiiiibPKf
	.globl	_ZN4vllm3moe10topkGatingILi8ELi512ELi4ELi16ELi64El6__halfLNS0_11ScoringFuncE1EEEvPKT5_PKbPfiPT4_PiiiibPKf
	.p2align	8
	.type	_ZN4vllm3moe10topkGatingILi8ELi512ELi4ELi16ELi64El6__halfLNS0_11ScoringFuncE1EEEvPKT5_PKbPfiPT4_PiiiibPKf,@function
_ZN4vllm3moe10topkGatingILi8ELi512ELi4ELi16ELi64El6__halfLNS0_11ScoringFuncE1EEEvPKT5_PKbPfiPT4_PiiiibPKf: ; @_ZN4vllm3moe10topkGatingILi8ELi512ELi4ELi16ELi64El6__halfLNS0_11ScoringFuncE1EEEvPKT5_PKbPfiPT4_PiiiibPKf
; %bb.0:
	s_load_dword s24, s[4:5], 0x18
	v_and_b32_e32 v1, 0x3ff, v0
	s_lshl_b32 s0, s6, 2
	v_lshrrev_b32_e32 v2, 6, v1
	v_bfe_u32 v0, v0, 10, 10
	v_add3_u32 v17, s0, v0, v2
	s_waitcnt lgkmcnt(0)
	v_cmp_gt_i32_e32 vcc, s24, v17
	s_and_saveexec_b64 s[0:1], vcc
	s_cbranch_execz .LBB308_46
; %bb.1:
	s_load_dwordx4 s[0:3], s[4:5], 0x0
	s_load_dwordx2 s[16:17], s[4:5], 0x10
	s_mov_b64 s[8:9], -1
	s_mov_b64 s[18:19], -1
	s_waitcnt lgkmcnt(0)
	s_cmp_eq_u64 s[2:3], 0
	s_cbranch_scc1 .LBB308_3
; %bb.2:
	v_ashrrev_i32_e32 v0, 31, v17
	v_mov_b32_e32 v3, s3
	v_add_co_u32_e32 v2, vcc, s2, v17
	v_addc_co_u32_e32 v3, vcc, v3, v0, vcc
	global_load_ubyte v0, v[2:3], off
	s_waitcnt vmcnt(0)
	v_and_b32_e32 v0, 1, v0
	v_cmp_eq_u32_e32 vcc, 1, v0
	s_xor_b64 s[2:3], vcc, -1
	s_orn2_b64 s[18:19], s[2:3], exec
.LBB308_3:
	v_lshlrev_b32_e32 v2, 9, v17
	v_ashrrev_i32_e32 v3, 31, v2
	v_lshlrev_b64 v[2:3], 1, v[2:3]
	v_mov_b32_e32 v0, s1
	v_add_co_u32_e32 v2, vcc, s0, v2
	v_and_b32_e32 v21, 63, v1
	v_addc_co_u32_e32 v3, vcc, v0, v3, vcc
	v_lshlrev_b32_e32 v0, 4, v21
	v_add_co_u32_e32 v0, vcc, v2, v0
	v_addc_co_u32_e32 v1, vcc, 0, v3, vcc
	global_load_dwordx4 v[0:3], v[0:1], off
	v_mov_b32_e32 v8, 0x207
	s_load_dwordx2 s[10:11], s[4:5], 0x40
	v_lshlrev_b32_e32 v22, 3, v21
	s_waitcnt lgkmcnt(0)
	s_cmp_eq_u64 s[10:11], 0
	s_waitcnt vmcnt(0)
	v_cvt_f32_f16_e32 v4, v0
	v_cvt_f32_f16_sdwa v0, v0 dst_sel:DWORD dst_unused:UNUSED_PAD src0_sel:WORD_1
	v_cvt_f32_f16_e32 v5, v1
	v_cvt_f32_f16_sdwa v1, v1 dst_sel:DWORD dst_unused:UNUSED_PAD src0_sel:WORD_1
	v_mul_f32_e32 v4, 0xbfb8aa3b, v4
	v_mul_f32_e32 v9, 0xbfb8aa3b, v0
	v_cvt_f32_f16_e32 v6, v2
	v_cvt_f32_f16_sdwa v2, v2 dst_sel:DWORD dst_unused:UNUSED_PAD src0_sel:WORD_1
	v_cvt_f32_f16_e32 v7, v3
	v_cvt_f32_f16_sdwa v3, v3 dst_sel:DWORD dst_unused:UNUSED_PAD src0_sel:WORD_1
	v_mul_f32_e32 v10, 0xbfb8aa3b, v1
	v_exp_f32_e32 v0, v4
	v_exp_f32_e32 v1, v9
	v_mul_f32_e32 v5, 0xbfb8aa3b, v5
	v_mul_f32_e32 v11, 0xbfb8aa3b, v2
	;; [unrolled: 1-line block ×3, first 2 shown]
	v_exp_f32_e32 v2, v5
	v_exp_f32_e32 v3, v10
	v_pk_add_f32 v[0:1], v[0:1], 1.0 op_sel_hi:[1,0]
	v_div_scale_f32 v9, s[0:1], v1, v1, 1.0
	v_rcp_f32_e32 v19, v9
	v_exp_f32_e32 v5, v11
	v_div_scale_f32 v11, s[0:1], v0, v0, 1.0
	v_pk_add_f32 v[2:3], v[2:3], 1.0 op_sel_hi:[1,0]
	v_rcp_f32_e32 v20, v11
	v_div_scale_f32 v13, s[2:3], v3, v3, 1.0
	v_rcp_f32_e32 v23, v13
	v_fma_f32 v26, -v9, v19, 1.0
	v_div_scale_f32 v10, vcc, 1.0, v1, 1.0
	v_div_scale_f32 v15, s[6:7], v2, v2, 1.0
	v_fmac_f32_e32 v19, v26, v19
	v_mul_f32_e32 v6, 0xbfb8aa3b, v6
	v_mul_f32_e32 v7, 0xbfb8aa3b, v7
	v_rcp_f32_e32 v24, v15
	v_fma_f32 v27, -v11, v20, 1.0
	v_mul_f32_e32 v26, v10, v19
	v_exp_f32_e32 v4, v6
	v_exp_f32_e32 v6, v7
	;; [unrolled: 1-line block ×3, first 2 shown]
	v_div_scale_f32 v12, s[0:1], 1.0, v0, 1.0
	v_fmac_f32_e32 v20, v27, v20
	v_fma_f32 v30, -v9, v26, v10
	v_fma_f32 v28, -v13, v23, 1.0
	v_mul_f32_e32 v27, v12, v20
	v_fmac_f32_e32 v26, v30, v19
	v_div_scale_f32 v14, s[2:3], 1.0, v3, 1.0
	v_fmac_f32_e32 v23, v28, v23
	v_fma_f32 v31, -v11, v27, v12
	v_fma_f32 v9, -v9, v26, v10
	v_fma_f32 v29, -v15, v24, 1.0
	v_mul_f32_e32 v28, v14, v23
	v_fmac_f32_e32 v27, v31, v20
	v_div_fmas_f32 v9, v9, v19, v26
	v_div_scale_f32 v16, s[6:7], 1.0, v2, 1.0
	v_fmac_f32_e32 v24, v29, v24
	v_fma_f32 v32, -v13, v28, v14
	v_fma_f32 v10, -v11, v27, v12
	v_div_fixup_f32 v1, v9, v1, 1.0
	s_mov_b64 vcc, s[0:1]
	v_pk_add_f32 v[4:5], v[4:5], 1.0 op_sel_hi:[1,0]
	v_mul_f32_e32 v29, v16, v24
	v_fmac_f32_e32 v28, v32, v23
	v_div_fmas_f32 v9, v10, v20, v27
	v_cmp_class_f32_e32 vcc, v1, v8
	v_div_scale_f32 v18, s[12:13], v5, v5, 1.0
	v_fma_f32 v33, -v15, v29, v16
	v_fma_f32 v11, -v13, v28, v14
	v_div_fixup_f32 v0, v9, v0, 1.0
	v_cndmask_b32_e64 v1, v1, 0, vcc
	s_mov_b64 vcc, s[2:3]
	v_rcp_f32_e32 v25, v18
	v_fmac_f32_e32 v29, v33, v24
	v_div_fmas_f32 v9, v11, v23, v28
	v_cmp_class_f32_e32 vcc, v0, v8
	v_fma_f32 v12, -v15, v29, v16
	v_cndmask_b32_e64 v0, v0, 0, vcc
	s_mov_b64 vcc, s[6:7]
	v_div_fixup_f32 v3, v9, v3, 1.0
	v_div_fmas_f32 v9, v12, v24, v29
	v_div_fixup_f32 v2, v9, v2, 1.0
	v_cmp_class_f32_e32 vcc, v3, v8
	v_cndmask_b32_e64 v3, v3, 0, vcc
	v_cmp_class_f32_e32 vcc, v2, v8
	v_fma_f32 v9, -v18, v25, 1.0
	v_cndmask_b32_e64 v2, v2, 0, vcc
	v_fmac_f32_e32 v25, v9, v25
	v_div_scale_f32 v9, vcc, 1.0, v5, 1.0
	v_mul_f32_e32 v10, v9, v25
	v_fma_f32 v11, -v18, v10, v9
	v_fmac_f32_e32 v10, v11, v25
	v_div_scale_f32 v11, s[0:1], v4, v4, 1.0
	v_rcp_f32_e32 v12, v11
	v_fma_f32 v9, -v18, v10, v9
	v_div_fmas_f32 v9, v9, v25, v10
	v_div_fixup_f32 v5, v9, v5, 1.0
	v_fma_f32 v9, -v11, v12, 1.0
	v_fmac_f32_e32 v12, v9, v12
	v_div_scale_f32 v9, vcc, 1.0, v4, 1.0
	v_mul_f32_e32 v10, v9, v12
	v_fma_f32 v13, -v11, v10, v9
	v_fmac_f32_e32 v10, v13, v12
	v_fma_f32 v9, -v11, v10, v9
	v_div_fmas_f32 v9, v9, v12, v10
	v_pk_add_f32 v[6:7], v[6:7], 1.0 op_sel_hi:[1,0]
	v_div_fixup_f32 v4, v9, v4, 1.0
	v_div_scale_f32 v9, s[0:1], v7, v7, 1.0
	v_rcp_f32_e32 v10, v9
	v_cmp_class_f32_e32 vcc, v5, v8
	v_cndmask_b32_e64 v5, v5, 0, vcc
	v_cmp_class_f32_e32 vcc, v4, v8
	v_fma_f32 v11, -v9, v10, 1.0
	v_cndmask_b32_e64 v4, v4, 0, vcc
	v_fmac_f32_e32 v10, v11, v10
	v_div_scale_f32 v11, vcc, 1.0, v7, 1.0
	v_mul_f32_e32 v12, v11, v10
	v_fma_f32 v13, -v9, v12, v11
	v_fmac_f32_e32 v12, v13, v10
	v_fma_f32 v9, -v9, v12, v11
	v_div_scale_f32 v11, s[0:1], v6, v6, 1.0
	v_rcp_f32_e32 v13, v11
	v_div_fmas_f32 v9, v9, v10, v12
	v_div_fixup_f32 v7, v9, v7, 1.0
	v_fma_f32 v9, -v11, v13, 1.0
	v_fmac_f32_e32 v13, v9, v13
	v_div_scale_f32 v9, vcc, 1.0, v6, 1.0
	v_mul_f32_e32 v10, v9, v13
	v_fma_f32 v12, -v11, v10, v9
	v_fmac_f32_e32 v10, v12, v13
	v_fma_f32 v9, -v11, v10, v9
	v_div_fmas_f32 v9, v9, v13, v10
	v_div_fixup_f32 v6, v9, v6, 1.0
	v_cmp_class_f32_e32 vcc, v7, v8
	v_cndmask_b32_e64 v7, v7, 0, vcc
	v_cmp_class_f32_e32 vcc, v6, v8
	v_cndmask_b32_e64 v6, v6, 0, vcc
	s_cbranch_scc1 .LBB308_35
; %bb.4:
	v_lshlrev_b32_e32 v16, 2, v22
	global_load_dwordx4 v[8:11], v16, s[10:11]
	global_load_dwordx4 v[12:15], v16, s[10:11] offset:16
	s_waitcnt vmcnt(1)
	v_pk_add_f32 v[8:9], v[8:9], v[0:1]
	v_pk_add_f32 v[10:11], v[10:11], v[2:3]
	s_waitcnt vmcnt(0)
	v_pk_add_f32 v[12:13], v[12:13], v[4:5]
	v_pk_add_f32 v[14:15], v[14:15], v[6:7]
	s_cbranch_execnz .LBB308_6
.LBB308_5:
	v_pk_mov_b32 v[14:15], v[6:7], v[6:7] op_sel:[0,1]
	v_pk_mov_b32 v[12:13], v[4:5], v[4:5] op_sel:[0,1]
	;; [unrolled: 1-line block ×4, first 2 shown]
.LBB308_6:
	s_load_dwordx4 s[8:11], s[4:5], 0x30
	s_mov_b32 s25, 0
	v_cmp_eq_u32_e64 s[0:1], 0, v21
	s_waitcnt lgkmcnt(0)
	s_bitcmp1_b32 s11, 0
	s_cselect_b64 vcc, -1, 0
	s_cmp_gt_i32 s8, 0
	s_cselect_b64 s[20:21], -1, 0
	s_cmp_lt_i32 s8, 1
	s_cbranch_scc1 .LBB308_36
; %bb.7:
	v_mbcnt_lo_u32_b32 v16, -1, 0
	v_mbcnt_hi_u32_b32 v16, -1, v16
	v_and_b32_e32 v18, 64, v16
	v_add_u32_e32 v18, 64, v18
	v_xor_b32_e32 v19, 32, v16
	v_cmp_lt_i32_e64 s[2:3], v19, v18
	v_cndmask_b32_e64 v19, v16, v19, s[2:3]
	v_lshlrev_b32_e32 v25, 2, v19
	v_xor_b32_e32 v19, 16, v16
	v_cmp_lt_i32_e64 s[2:3], v19, v18
	v_cndmask_b32_e64 v19, v16, v19, s[2:3]
	v_lshlrev_b32_e32 v26, 2, v19
	;; [unrolled: 4-line block ×4, first 2 shown]
	v_xor_b32_e32 v19, 2, v16
	v_cmp_lt_i32_e64 s[2:3], v19, v18
	s_load_dwordx4 s[12:15], s[4:5], 0x20
	v_cndmask_b32_e64 v19, v16, v19, s[2:3]
	v_lshlrev_b32_e32 v29, 2, v19
	v_xor_b32_e32 v19, 1, v16
	v_cmp_lt_i32_e64 s[2:3], v19, v18
	v_cndmask_b32_e64 v16, v16, v19, s[2:3]
	v_mul_lo_u32 v24, v17, s8
	v_lshlrev_b32_e32 v30, 2, v16
	v_mov_b32_e32 v23, 0
	v_mov_b32_e32 v31, 0x200
	;; [unrolled: 1-line block ×4, first 2 shown]
	s_branch .LBB308_10
.LBB308_8:                              ;   in Loop: Header=BB308_10 Depth=1
	s_or_b64 exec, exec, s[4:5]
.LBB308_9:                              ;   in Loop: Header=BB308_10 Depth=1
	s_cmp_eq_u32 s8, s25
	v_add_u32_e32 v33, s24, v33
	s_cbranch_scc1 .LBB308_37
.LBB308_10:                             ; =>This Inner Loop Header: Depth=1
	v_cmp_gt_f32_e64 s[2:3], v9, v8
	s_waitcnt lgkmcnt(0)
	v_cndmask_b32_e64 v19, v8, v9, s[2:3]
	v_cndmask_b32_e64 v16, 0, 1, s[2:3]
	v_cndmask_b32_e64 v18, v0, v1, s[2:3]
	v_cmp_gt_f32_e64 s[2:3], v10, v19
	v_cndmask_b32_e64 v19, v19, v10, s[2:3]
	v_cndmask_b32_e64 v16, v16, 2, s[2:3]
	v_cndmask_b32_e64 v18, v18, v2, s[2:3]
	v_cmp_gt_f32_e64 s[2:3], v11, v19
	v_cndmask_b32_e64 v19, v19, v11, s[2:3]
	v_cndmask_b32_e64 v16, v16, 3, s[2:3]
	v_cndmask_b32_e64 v18, v18, v3, s[2:3]
	v_cmp_gt_f32_e64 s[2:3], v12, v19
	v_cndmask_b32_e64 v19, v19, v12, s[2:3]
	v_cndmask_b32_e64 v16, v16, 4, s[2:3]
	v_cndmask_b32_e64 v18, v18, v4, s[2:3]
	v_cmp_gt_f32_e64 s[2:3], v13, v19
	v_cndmask_b32_e64 v19, v19, v13, s[2:3]
	v_cndmask_b32_e64 v16, v16, 5, s[2:3]
	v_cndmask_b32_e64 v18, v18, v5, s[2:3]
	v_cmp_gt_f32_e64 s[2:3], v14, v19
	v_cndmask_b32_e64 v19, v19, v14, s[2:3]
	v_cndmask_b32_e64 v16, v16, 6, s[2:3]
	v_cndmask_b32_e64 v18, v18, v6, s[2:3]
	v_cmp_gt_f32_e64 s[2:3], v15, v19
	v_cndmask_b32_e64 v16, v16, 7, s[2:3]
	v_cndmask_b32_e64 v34, v19, v15, s[2:3]
	v_or_b32_e32 v35, v22, v16
	v_cndmask_b32_e64 v16, v18, v7, s[2:3]
	ds_bpermute_b32 v37, v25, v34
	ds_bpermute_b32 v20, v25, v16
	;; [unrolled: 1-line block ×3, first 2 shown]
                                        ; implicit-def: $vgpr18_vgpr19
	s_waitcnt lgkmcnt(0)
	v_cmp_lt_f32_e64 s[6:7], v34, v37
	v_cmp_nlt_f32_e64 s[2:3], v34, v37
	s_and_saveexec_b64 s[22:23], s[2:3]
; %bb.11:                               ;   in Loop: Header=BB308_10 Depth=1
	v_cmp_eq_f32_e64 s[2:3], v34, v37
	v_cmp_lt_i32_e64 s[4:5], v36, v35
	s_and_b64 s[2:3], s[2:3], s[4:5]
	s_andn2_b64 s[4:5], s[6:7], exec
	s_and_b64 s[2:3], s[2:3], exec
	s_or_b64 s[6:7], s[4:5], s[2:3]
	v_pk_mov_b32 v[18:19], v[16:17], v[16:17] op_sel:[0,1]
; %bb.12:                               ;   in Loop: Header=BB308_10 Depth=1
	s_or_b64 exec, exec, s[22:23]
	s_and_saveexec_b64 s[2:3], s[6:7]
; %bb.13:                               ;   in Loop: Header=BB308_10 Depth=1
	v_mov_b32_e32 v34, v37
	v_mov_b32_e32 v16, v20
	;; [unrolled: 1-line block ×3, first 2 shown]
	v_pk_mov_b32 v[18:19], v[20:21], v[20:21] op_sel:[0,1]
; %bb.14:                               ;   in Loop: Header=BB308_10 Depth=1
	s_or_b64 exec, exec, s[2:3]
	ds_bpermute_b32 v36, v26, v34
	ds_bpermute_b32 v20, v26, v16
	;; [unrolled: 1-line block ×3, first 2 shown]
	s_waitcnt lgkmcnt(2)
	v_cmp_lt_f32_e64 s[6:7], v34, v36
	v_cmp_nlt_f32_e64 s[2:3], v34, v36
	s_and_saveexec_b64 s[22:23], s[2:3]
	s_cbranch_execz .LBB308_16
; %bb.15:                               ;   in Loop: Header=BB308_10 Depth=1
	v_cmp_eq_f32_e64 s[2:3], v34, v36
	s_waitcnt lgkmcnt(0)
	v_cmp_lt_i32_e64 s[4:5], v19, v35
	s_and_b64 s[2:3], s[2:3], s[4:5]
	s_andn2_b64 s[4:5], s[6:7], exec
	s_and_b64 s[2:3], s[2:3], exec
	s_or_b64 s[6:7], s[4:5], s[2:3]
.LBB308_16:                             ;   in Loop: Header=BB308_10 Depth=1
	s_or_b64 exec, exec, s[22:23]
	s_and_saveexec_b64 s[2:3], s[6:7]
	s_cbranch_execz .LBB308_18
; %bb.17:                               ;   in Loop: Header=BB308_10 Depth=1
	v_mov_b32_e32 v34, v36
	s_waitcnt lgkmcnt(1)
	v_mov_b32_e32 v16, v20
	s_waitcnt lgkmcnt(0)
	v_mov_b32_e32 v35, v19
	v_pk_mov_b32 v[18:19], v[20:21], v[20:21] op_sel:[0,1]
.LBB308_18:                             ;   in Loop: Header=BB308_10 Depth=1
	s_or_b64 exec, exec, s[2:3]
	ds_bpermute_b32 v36, v27, v34
	s_waitcnt lgkmcnt(2)
	ds_bpermute_b32 v20, v27, v16
	s_waitcnt lgkmcnt(2)
	ds_bpermute_b32 v19, v27, v35
	s_waitcnt lgkmcnt(2)
	v_cmp_lt_f32_e64 s[6:7], v34, v36
	v_cmp_nlt_f32_e64 s[2:3], v34, v36
	s_and_saveexec_b64 s[22:23], s[2:3]
	s_cbranch_execz .LBB308_20
; %bb.19:                               ;   in Loop: Header=BB308_10 Depth=1
	v_cmp_eq_f32_e64 s[2:3], v34, v36
	s_waitcnt lgkmcnt(0)
	v_cmp_lt_i32_e64 s[4:5], v19, v35
	s_and_b64 s[2:3], s[2:3], s[4:5]
	s_andn2_b64 s[4:5], s[6:7], exec
	s_and_b64 s[2:3], s[2:3], exec
	s_or_b64 s[6:7], s[4:5], s[2:3]
.LBB308_20:                             ;   in Loop: Header=BB308_10 Depth=1
	s_or_b64 exec, exec, s[22:23]
	s_and_saveexec_b64 s[2:3], s[6:7]
	s_cbranch_execz .LBB308_22
; %bb.21:                               ;   in Loop: Header=BB308_10 Depth=1
	v_mov_b32_e32 v34, v36
	s_waitcnt lgkmcnt(1)
	v_mov_b32_e32 v16, v20
	s_waitcnt lgkmcnt(0)
	v_mov_b32_e32 v35, v19
	v_pk_mov_b32 v[18:19], v[20:21], v[20:21] op_sel:[0,1]
.LBB308_22:                             ;   in Loop: Header=BB308_10 Depth=1
	s_or_b64 exec, exec, s[2:3]
	ds_bpermute_b32 v36, v28, v34
	s_waitcnt lgkmcnt(2)
	ds_bpermute_b32 v20, v28, v16
	s_waitcnt lgkmcnt(2)
	ds_bpermute_b32 v19, v28, v35
	;; [unrolled: 31-line block ×3, first 2 shown]
	s_waitcnt lgkmcnt(2)
	v_cmp_lt_f32_e64 s[6:7], v34, v36
	v_cmp_nlt_f32_e64 s[2:3], v34, v36
	s_and_saveexec_b64 s[22:23], s[2:3]
	s_cbranch_execz .LBB308_28
; %bb.27:                               ;   in Loop: Header=BB308_10 Depth=1
	v_cmp_eq_f32_e64 s[2:3], v34, v36
	s_waitcnt lgkmcnt(0)
	v_cmp_lt_i32_e64 s[4:5], v19, v35
	s_and_b64 s[2:3], s[2:3], s[4:5]
	s_andn2_b64 s[4:5], s[6:7], exec
	s_and_b64 s[2:3], s[2:3], exec
	s_or_b64 s[6:7], s[4:5], s[2:3]
.LBB308_28:                             ;   in Loop: Header=BB308_10 Depth=1
	s_or_b64 exec, exec, s[22:23]
	s_and_saveexec_b64 s[2:3], s[6:7]
	s_cbranch_execz .LBB308_30
; %bb.29:                               ;   in Loop: Header=BB308_10 Depth=1
	v_mov_b32_e32 v34, v36
	s_waitcnt lgkmcnt(1)
	v_mov_b32_e32 v16, v20
	s_waitcnt lgkmcnt(0)
	v_mov_b32_e32 v35, v19
	v_pk_mov_b32 v[18:19], v[20:21], v[20:21] op_sel:[0,1]
.LBB308_30:                             ;   in Loop: Header=BB308_10 Depth=1
	s_or_b64 exec, exec, s[2:3]
	s_waitcnt lgkmcnt(1)
	ds_bpermute_b32 v20, v30, v34
	ds_bpermute_b32 v36, v30, v35
	s_waitcnt lgkmcnt(2)
	ds_bpermute_b32 v19, v30, v16
	s_waitcnt lgkmcnt(2)
	v_cmp_eq_f32_e64 s[4:5], v34, v20
	s_waitcnt lgkmcnt(1)
	v_cmp_lt_i32_e64 s[6:7], v36, v35
	v_cmp_lt_f32_e64 s[2:3], v34, v20
	s_and_b64 s[4:5], s[4:5], s[6:7]
	s_or_b64 s[2:3], s[2:3], s[4:5]
	v_cndmask_b32_e64 v16, v35, v36, s[2:3]
	s_and_saveexec_b64 s[6:7], s[0:1]
	s_cbranch_execnz .LBB308_32
; %bb.31:                               ;   in Loop: Header=BB308_10 Depth=1
	s_or_b64 exec, exec, s[6:7]
	s_add_i32 s25, s25, 1
	s_cmp_ge_i32 s25, s8
	s_cbranch_scc1 .LBB308_9
	s_branch .LBB308_33
.LBB308_32:                             ;   in Loop: Header=BB308_10 Depth=1
	s_waitcnt lgkmcnt(0)
	v_cndmask_b32_e64 v20, v18, v19, s[2:3]
	v_add_u32_e32 v18, s25, v24
	v_ashrrev_i32_e32 v19, 31, v18
	v_cmp_le_i32_e64 s[2:3], s9, v16
	v_cmp_gt_i32_e64 s[4:5], s10, v16
	v_lshlrev_b64 v[34:35], 2, v[18:19]
	s_and_b64 s[4:5], s[2:3], s[4:5]
	v_mov_b32_e32 v37, s17
	v_add_co_u32_e64 v36, s[2:3], s16, v34
	v_addc_co_u32_e64 v37, s[2:3], v37, v35, s[2:3]
	global_store_dword v[36:37], v20, off
	v_subrev_u32_e32 v36, s9, v16
	v_ashrrev_i32_e32 v37, 31, v36
	s_and_b64 s[2:3], s[18:19], s[4:5]
	v_lshlrev_b64 v[18:19], 3, v[18:19]
	v_cndmask_b32_e64 v37, 0, v37, s[2:3]
	v_cndmask_b32_e64 v36, v31, v36, s[2:3]
	v_mov_b32_e32 v38, s13
	v_add_co_u32_e64 v18, s[2:3], s12, v18
	v_addc_co_u32_e64 v19, s[2:3], v38, v19, s[2:3]
	global_store_dwordx2 v[18:19], v[36:37], off
	v_mov_b32_e32 v19, s15
	v_add_co_u32_e64 v18, s[2:3], s14, v34
	v_addc_co_u32_e64 v19, s[2:3], v19, v35, s[2:3]
	global_store_dword v[18:19], v33, off
	v_add_f32_e32 v18, v23, v20
	v_cndmask_b32_e32 v23, v23, v18, vcc
	s_or_b64 exec, exec, s[6:7]
	s_add_i32 s25, s25, 1
	s_cmp_ge_i32 s25, s8
	s_cbranch_scc1 .LBB308_9
.LBB308_33:                             ;   in Loop: Header=BB308_10 Depth=1
	s_waitcnt lgkmcnt(0)
	v_ashrrev_i32_e32 v19, 31, v16
	v_lshrrev_b32_e32 v18, 29, v19
	v_add_u32_e32 v20, v16, v18
	v_ashrrev_i32_e32 v18, 3, v20
	v_ashrrev_i32_e32 v20, 31, v20
	v_lshrrev_b32_e32 v20, 26, v20
	v_add_u32_e32 v20, v18, v20
	v_and_b32_e32 v20, 0xffffffc0, v20
	v_sub_u32_e32 v20, v18, v20
	v_cmp_eq_u32_e64 s[2:3], v21, v20
	s_and_saveexec_b64 s[4:5], s[2:3]
	s_cbranch_execz .LBB308_8
; %bb.34:                               ;   in Loop: Header=BB308_10 Depth=1
	v_lshrrev_b32_e32 v19, 23, v19
	v_add_u32_e32 v19, v16, v19
	v_lshlrev_b32_e32 v18, 3, v18
	v_ashrrev_i32_e32 v19, 9, v19
	v_sub_u32_e32 v16, v16, v18
	v_lshl_add_u32 v16, v19, 3, v16
	v_cmp_ne_u32_e64 s[2:3], 7, v16
	v_cndmask_b32_e64 v15, v32, v15, s[2:3]
	v_cmp_ne_u32_e64 s[2:3], 6, v16
	v_cndmask_b32_e64 v14, v32, v14, s[2:3]
	;; [unrolled: 2-line block ×8, first 2 shown]
	s_branch .LBB308_8
.LBB308_35:
                                        ; implicit-def: $vgpr8_vgpr9_vgpr10_vgpr11_vgpr12_vgpr13_vgpr14_vgpr15
	s_andn2_b64 vcc, exec, s[8:9]
	s_cbranch_vccz .LBB308_5
	s_branch .LBB308_6
.LBB308_36:
	v_mov_b32_e32 v23, 0
.LBB308_37:
	v_cmp_eq_u32_e64 s[0:1], 0, v21
	s_and_b64 s[0:1], s[0:1], vcc
	s_and_b64 exec, exec, s[0:1]
	s_cbranch_execz .LBB308_46
; %bb.38:
	s_andn2_b64 vcc, exec, s[20:21]
	s_cbranch_vccnz .LBB308_46
; %bb.39:
	v_cmp_lt_f32_e32 vcc, 0, v23
	s_mov_b32 s2, 0
	v_cndmask_b32_e32 v0, 1.0, v23, vcc
	v_mul_lo_u32 v4, v17, s8
	s_cmp_eq_u32 s8, 1
	s_mov_b64 s[0:1], -1
	s_cbranch_scc1 .LBB308_43
; %bb.40:
	s_and_b32 s2, s8, 0x7ffffffe
	v_mov_b32_e32 v1, v0
	v_mov_b32_e32 v5, s17
	s_mov_b32 s3, s2
	v_mov_b32_e32 v2, v4
.LBB308_41:                             ; =>This Inner Loop Header: Depth=1
	v_ashrrev_i32_e32 v3, 31, v2
	v_lshlrev_b64 v[6:7], 2, v[2:3]
	v_add_co_u32_e32 v6, vcc, s16, v6
	v_addc_co_u32_e32 v7, vcc, v5, v7, vcc
	global_load_dwordx2 v[8:9], v[6:7], off
	s_add_i32 s3, s3, -2
	s_cmp_lg_u32 s3, 0
	v_add_u32_e32 v2, 2, v2
	s_waitcnt vmcnt(0)
	v_div_scale_f32 v3, s[0:1], v1, v1, v9
	v_div_scale_f32 v11, s[0:1], v0, v0, v8
	v_rcp_f32_e32 v12, v3
	v_rcp_f32_e32 v13, v11
	v_div_scale_f32 v10, vcc, v9, v1, v9
	v_fma_f32 v15, -v3, v12, 1.0
	v_fma_f32 v16, -v11, v13, 1.0
	v_fmac_f32_e32 v12, v15, v12
	v_div_scale_f32 v14, s[0:1], v8, v0, v8
	v_fmac_f32_e32 v13, v16, v13
	v_mul_f32_e32 v15, v10, v12
	v_mul_f32_e32 v16, v14, v13
	v_fma_f32 v17, -v3, v15, v10
	v_fma_f32 v18, -v11, v16, v14
	v_fmac_f32_e32 v15, v17, v12
	v_fmac_f32_e32 v16, v18, v13
	v_fma_f32 v3, -v3, v15, v10
	v_fma_f32 v10, -v11, v16, v14
	v_div_fmas_f32 v3, v3, v12, v15
	s_mov_b64 vcc, s[0:1]
	v_div_fixup_f32 v9, v3, v1, v9
	v_div_fmas_f32 v3, v10, v13, v16
	v_div_fixup_f32 v8, v3, v0, v8
	global_store_dwordx2 v[6:7], v[8:9], off
	s_cbranch_scc1 .LBB308_41
; %bb.42:
	s_cmp_lg_u32 s2, s8
	s_cselect_b64 s[0:1], -1, 0
.LBB308_43:
	s_and_b64 vcc, exec, s[0:1]
	s_cbranch_vccz .LBB308_46
; %bb.44:
	v_ashrrev_i32_e32 v1, 31, v4
	v_add_co_u32_e32 v2, vcc, s2, v4
	v_addc_co_u32_e32 v3, vcc, 0, v1, vcc
	v_lshlrev_b64 v[2:3], 2, v[2:3]
	v_mov_b32_e32 v1, s17
	v_add_co_u32_e32 v2, vcc, s16, v2
	s_sub_i32 s0, s8, s2
	v_addc_co_u32_e32 v3, vcc, v1, v3, vcc
.LBB308_45:                             ; =>This Inner Loop Header: Depth=1
	global_load_dword v1, v[2:3], off
	s_add_i32 s0, s0, -1
	s_cmp_lg_u32 s0, 0
	s_waitcnt vmcnt(0)
	v_div_scale_f32 v4, s[2:3], v0, v0, v1
	v_rcp_f32_e32 v5, v4
	v_div_scale_f32 v6, vcc, v1, v0, v1
	v_fma_f32 v7, -v4, v5, 1.0
	v_fmac_f32_e32 v5, v7, v5
	v_mul_f32_e32 v7, v6, v5
	v_fma_f32 v8, -v4, v7, v6
	v_fmac_f32_e32 v7, v8, v5
	v_fma_f32 v4, -v4, v7, v6
	v_div_fmas_f32 v4, v4, v5, v7
	v_div_fixup_f32 v1, v4, v0, v1
	global_store_dword v[2:3], v1, off
	v_add_co_u32_e32 v2, vcc, 4, v2
	v_addc_co_u32_e32 v3, vcc, 0, v3, vcc
	s_cbranch_scc1 .LBB308_45
.LBB308_46:
	s_endpgm
	.section	.rodata,"a",@progbits
	.p2align	6, 0x0
	.amdhsa_kernel _ZN4vllm3moe10topkGatingILi8ELi512ELi4ELi16ELi64El6__halfLNS0_11ScoringFuncE1EEEvPKT5_PKbPfiPT4_PiiiibPKf
		.amdhsa_group_segment_fixed_size 0
		.amdhsa_private_segment_fixed_size 0
		.amdhsa_kernarg_size 72
		.amdhsa_user_sgpr_count 6
		.amdhsa_user_sgpr_private_segment_buffer 1
		.amdhsa_user_sgpr_dispatch_ptr 0
		.amdhsa_user_sgpr_queue_ptr 0
		.amdhsa_user_sgpr_kernarg_segment_ptr 1
		.amdhsa_user_sgpr_dispatch_id 0
		.amdhsa_user_sgpr_flat_scratch_init 0
		.amdhsa_user_sgpr_kernarg_preload_length 0
		.amdhsa_user_sgpr_kernarg_preload_offset 0
		.amdhsa_user_sgpr_private_segment_size 0
		.amdhsa_uses_dynamic_stack 0
		.amdhsa_system_sgpr_private_segment_wavefront_offset 0
		.amdhsa_system_sgpr_workgroup_id_x 1
		.amdhsa_system_sgpr_workgroup_id_y 0
		.amdhsa_system_sgpr_workgroup_id_z 0
		.amdhsa_system_sgpr_workgroup_info 0
		.amdhsa_system_vgpr_workitem_id 1
		.amdhsa_next_free_vgpr 39
		.amdhsa_next_free_sgpr 26
		.amdhsa_accum_offset 40
		.amdhsa_reserve_vcc 1
		.amdhsa_reserve_flat_scratch 0
		.amdhsa_float_round_mode_32 0
		.amdhsa_float_round_mode_16_64 0
		.amdhsa_float_denorm_mode_32 3
		.amdhsa_float_denorm_mode_16_64 3
		.amdhsa_dx10_clamp 1
		.amdhsa_ieee_mode 1
		.amdhsa_fp16_overflow 0
		.amdhsa_tg_split 0
		.amdhsa_exception_fp_ieee_invalid_op 0
		.amdhsa_exception_fp_denorm_src 0
		.amdhsa_exception_fp_ieee_div_zero 0
		.amdhsa_exception_fp_ieee_overflow 0
		.amdhsa_exception_fp_ieee_underflow 0
		.amdhsa_exception_fp_ieee_inexact 0
		.amdhsa_exception_int_div_zero 0
	.end_amdhsa_kernel
	.section	.text._ZN4vllm3moe10topkGatingILi8ELi512ELi4ELi16ELi64El6__halfLNS0_11ScoringFuncE1EEEvPKT5_PKbPfiPT4_PiiiibPKf,"axG",@progbits,_ZN4vllm3moe10topkGatingILi8ELi512ELi4ELi16ELi64El6__halfLNS0_11ScoringFuncE1EEEvPKT5_PKbPfiPT4_PiiiibPKf,comdat
.Lfunc_end308:
	.size	_ZN4vllm3moe10topkGatingILi8ELi512ELi4ELi16ELi64El6__halfLNS0_11ScoringFuncE1EEEvPKT5_PKbPfiPT4_PiiiibPKf, .Lfunc_end308-_ZN4vllm3moe10topkGatingILi8ELi512ELi4ELi16ELi64El6__halfLNS0_11ScoringFuncE1EEEvPKT5_PKbPfiPT4_PiiiibPKf
                                        ; -- End function
	.section	.AMDGPU.csdata,"",@progbits
; Kernel info:
; codeLenInByte = 3352
; NumSgprs: 30
; NumVgprs: 39
; NumAgprs: 0
; TotalNumVgprs: 39
; ScratchSize: 0
; MemoryBound: 0
; FloatMode: 240
; IeeeMode: 1
; LDSByteSize: 0 bytes/workgroup (compile time only)
; SGPRBlocks: 3
; VGPRBlocks: 4
; NumSGPRsForWavesPerEU: 30
; NumVGPRsForWavesPerEU: 39
; AccumOffset: 40
; Occupancy: 8
; WaveLimiterHint : 0
; COMPUTE_PGM_RSRC2:SCRATCH_EN: 0
; COMPUTE_PGM_RSRC2:USER_SGPR: 6
; COMPUTE_PGM_RSRC2:TRAP_HANDLER: 0
; COMPUTE_PGM_RSRC2:TGID_X_EN: 1
; COMPUTE_PGM_RSRC2:TGID_Y_EN: 0
; COMPUTE_PGM_RSRC2:TGID_Z_EN: 0
; COMPUTE_PGM_RSRC2:TIDIG_COMP_CNT: 1
; COMPUTE_PGM_RSRC3_GFX90A:ACCUM_OFFSET: 9
; COMPUTE_PGM_RSRC3_GFX90A:TG_SPLIT: 0
	.section	.text._ZN4vllm3moe10topkGatingILi16ELi512ELi4ELi16ELi32El6__halfLNS0_11ScoringFuncE1EEEvPKT5_PKbPfiPT4_PiiiibPKf,"axG",@progbits,_ZN4vllm3moe10topkGatingILi16ELi512ELi4ELi16ELi32El6__halfLNS0_11ScoringFuncE1EEEvPKT5_PKbPfiPT4_PiiiibPKf,comdat
	.protected	_ZN4vllm3moe10topkGatingILi16ELi512ELi4ELi16ELi32El6__halfLNS0_11ScoringFuncE1EEEvPKT5_PKbPfiPT4_PiiiibPKf ; -- Begin function _ZN4vllm3moe10topkGatingILi16ELi512ELi4ELi16ELi32El6__halfLNS0_11ScoringFuncE1EEEvPKT5_PKbPfiPT4_PiiiibPKf
	.globl	_ZN4vllm3moe10topkGatingILi16ELi512ELi4ELi16ELi32El6__halfLNS0_11ScoringFuncE1EEEvPKT5_PKbPfiPT4_PiiiibPKf
	.p2align	8
	.type	_ZN4vllm3moe10topkGatingILi16ELi512ELi4ELi16ELi32El6__halfLNS0_11ScoringFuncE1EEEvPKT5_PKbPfiPT4_PiiiibPKf,@function
_ZN4vllm3moe10topkGatingILi16ELi512ELi4ELi16ELi32El6__halfLNS0_11ScoringFuncE1EEEvPKT5_PKbPfiPT4_PiiiibPKf: ; @_ZN4vllm3moe10topkGatingILi16ELi512ELi4ELi16ELi32El6__halfLNS0_11ScoringFuncE1EEEvPKT5_PKbPfiPT4_PiiiibPKf
; %bb.0:
	s_load_dword s24, s[4:5], 0x18
	v_and_b32_e32 v1, 0x3ff, v0
	s_lshl_b32 s0, s6, 2
	v_lshrrev_b32_e32 v2, 5, v1
	v_bfe_u32 v0, v0, 10, 10
	v_add3_u32 v33, s0, v0, v2
	s_waitcnt lgkmcnt(0)
	v_cmp_gt_i32_e32 vcc, s24, v33
	s_and_saveexec_b64 s[0:1], vcc
	s_cbranch_execz .LBB309_42
; %bb.1:
	s_load_dwordx4 s[0:3], s[4:5], 0x0
	s_load_dwordx2 s[16:17], s[4:5], 0x10
	s_mov_b64 s[6:7], -1
	s_mov_b64 s[18:19], -1
	s_waitcnt lgkmcnt(0)
	s_cmp_eq_u64 s[2:3], 0
	s_cbranch_scc1 .LBB309_3
; %bb.2:
	v_ashrrev_i32_e32 v0, 31, v33
	v_mov_b32_e32 v3, s3
	v_add_co_u32_e32 v2, vcc, s2, v33
	v_addc_co_u32_e32 v3, vcc, v3, v0, vcc
	global_load_ubyte v0, v[2:3], off
	s_waitcnt vmcnt(0)
	v_and_b32_e32 v0, 1, v0
	v_cmp_eq_u32_e32 vcc, 1, v0
	s_xor_b64 s[2:3], vcc, -1
	s_orn2_b64 s[18:19], s[2:3], exec
.LBB309_3:
	v_lshlrev_b32_e32 v2, 9, v33
	v_ashrrev_i32_e32 v3, 31, v2
	v_lshlrev_b64 v[2:3], 1, v[2:3]
	v_mov_b32_e32 v0, s1
	v_add_co_u32_e32 v2, vcc, s0, v2
	v_and_b32_e32 v37, 31, v1
	v_addc_co_u32_e32 v0, vcc, v0, v3, vcc
	v_lshlrev_b32_e32 v1, 4, v37
	v_add_co_u32_e32 v8, vcc, v2, v1
	v_addc_co_u32_e32 v9, vcc, 0, v0, vcc
	global_load_dwordx4 v[0:3], v[8:9], off
	global_load_dwordx4 v[4:7], v[8:9], off offset:512
	v_mov_b32_e32 v16, 0x207
	s_load_dwordx2 s[8:9], s[4:5], 0x40
	v_lshlrev_b32_e32 v38, 3, v37
	s_waitcnt lgkmcnt(0)
	s_cmp_eq_u64 s[8:9], 0
	s_waitcnt vmcnt(1)
	v_cvt_f32_f16_e32 v8, v0
	v_cvt_f32_f16_sdwa v0, v0 dst_sel:DWORD dst_unused:UNUSED_PAD src0_sel:WORD_1
	v_cvt_f32_f16_e32 v9, v1
	v_cvt_f32_f16_sdwa v1, v1 dst_sel:DWORD dst_unused:UNUSED_PAD src0_sel:WORD_1
	v_mul_f32_e32 v8, 0xbfb8aa3b, v8
	v_mul_f32_e32 v17, 0xbfb8aa3b, v0
	v_exp_f32_e32 v0, v8
	v_mul_f32_e32 v18, 0xbfb8aa3b, v1
	v_exp_f32_e32 v1, v17
	v_cvt_f32_f16_e32 v10, v2
	v_cvt_f32_f16_sdwa v2, v2 dst_sel:DWORD dst_unused:UNUSED_PAD src0_sel:WORD_1
	v_cvt_f32_f16_e32 v11, v3
	v_cvt_f32_f16_sdwa v3, v3 dst_sel:DWORD dst_unused:UNUSED_PAD src0_sel:WORD_1
	s_waitcnt vmcnt(0)
	v_cvt_f32_f16_e32 v13, v5
	v_cvt_f32_f16_sdwa v5, v5 dst_sel:DWORD dst_unused:UNUSED_PAD src0_sel:WORD_1
	v_cvt_f32_f16_e32 v14, v6
	v_cvt_f32_f16_e32 v15, v7
	;; [unrolled: 1-line block ×3, first 2 shown]
	v_cvt_f32_f16_sdwa v4, v4 dst_sel:DWORD dst_unused:UNUSED_PAD src0_sel:WORD_1
	v_mul_f32_e32 v9, 0xbfb8aa3b, v9
	v_pk_add_f32 v[0:1], v[0:1], 1.0 op_sel_hi:[1,0]
	v_cvt_f32_f16_sdwa v7, v7 dst_sel:DWORD dst_unused:UNUSED_PAD src0_sel:WORD_1
	v_mul_f32_e32 v19, 0xbfb8aa3b, v2
	v_mul_f32_e32 v20, 0xbfb8aa3b, v3
	;; [unrolled: 1-line block ×3, first 2 shown]
	v_exp_f32_e32 v2, v9
	v_exp_f32_e32 v3, v18
	v_div_scale_f32 v17, s[0:1], v1, v1, 1.0
	v_cvt_f32_f16_sdwa v6, v6 dst_sel:DWORD dst_unused:UNUSED_PAD src0_sel:WORD_1
	v_mul_f32_e32 v10, 0xbfb8aa3b, v10
	v_mul_f32_e32 v23, 0xbfb8aa3b, v14
	;; [unrolled: 1-line block ×3, first 2 shown]
	v_exp_f32_e32 v5, v19
	v_exp_f32_e32 v15, v22
	v_div_scale_f32 v19, s[0:1], v0, v0, 1.0
	v_rcp_f32_e32 v22, v17
	v_mul_f32_e32 v21, 0xbfb8aa3b, v4
	v_exp_f32_e32 v4, v10
	v_exp_f32_e32 v10, v23
	v_rcp_f32_e32 v23, v19
	v_mul_f32_e32 v13, 0xbfb8aa3b, v13
	v_mul_f32_e32 v26, 0xbfb8aa3b, v7
	v_pk_add_f32 v[2:3], v[2:3], 1.0 op_sel_hi:[1,0]
	v_mul_f32_e32 v11, 0xbfb8aa3b, v11
	v_mul_f32_e32 v24, 0xbfb8aa3b, v6
	v_exp_f32_e32 v9, v21
	v_exp_f32_e32 v14, v13
	;; [unrolled: 1-line block ×3, first 2 shown]
	v_div_scale_f32 v21, s[2:3], v3, v3, 1.0
	v_fma_f32 v26, -v17, v22, 1.0
	v_exp_f32_e32 v6, v11
	v_exp_f32_e32 v11, v24
	v_div_scale_f32 v18, vcc, 1.0, v1, 1.0
	v_rcp_f32_e32 v24, v21
	v_fma_f32 v27, -v19, v23, 1.0
	v_fmac_f32_e32 v22, v26, v22
	v_exp_f32_e32 v7, v20
	v_div_scale_f32 v20, s[0:1], 1.0, v0, 1.0
	v_fmac_f32_e32 v23, v27, v23
	v_mul_f32_e32 v26, v18, v22
	v_mul_f32_e32 v27, v20, v23
	v_fma_f32 v29, -v17, v26, v18
	v_fma_f32 v30, -v19, v27, v20
	v_fmac_f32_e32 v26, v29, v22
	v_mul_f32_e32 v12, 0xbfb8aa3b, v12
	v_fma_f32 v28, -v21, v24, 1.0
	v_fmac_f32_e32 v27, v30, v23
	v_fma_f32 v17, -v17, v26, v18
	v_exp_f32_e32 v8, v12
	v_exp_f32_e32 v12, v25
	v_div_scale_f32 v25, s[2:3], 1.0, v3, 1.0
	v_fmac_f32_e32 v24, v28, v24
	v_fma_f32 v18, -v19, v27, v20
	v_div_fmas_f32 v17, v17, v22, v26
	s_mov_b64 vcc, s[0:1]
	v_mul_f32_e32 v28, v25, v24
	v_div_fixup_f32 v1, v17, v1, 1.0
	v_div_fmas_f32 v17, v18, v23, v27
	v_div_scale_f32 v18, s[0:1], v2, v2, 1.0
	v_fma_f32 v31, -v21, v28, v25
	v_div_fixup_f32 v0, v17, v0, 1.0
	v_cmp_class_f32_e32 vcc, v1, v16
	v_rcp_f32_e32 v19, v18
	v_cndmask_b32_e64 v1, v1, 0, vcc
	v_cmp_class_f32_e32 vcc, v0, v16
	v_fmac_f32_e32 v28, v31, v24
	v_cndmask_b32_e64 v0, v0, 0, vcc
	v_fma_f32 v17, -v21, v28, v25
	s_mov_b64 vcc, s[2:3]
	v_div_fmas_f32 v17, v17, v24, v28
	v_div_fixup_f32 v3, v17, v3, 1.0
	v_fma_f32 v17, -v18, v19, 1.0
	v_fmac_f32_e32 v19, v17, v19
	v_div_scale_f32 v17, vcc, 1.0, v2, 1.0
	v_mul_f32_e32 v20, v17, v19
	v_fma_f32 v21, -v18, v20, v17
	v_fmac_f32_e32 v20, v21, v19
	v_fma_f32 v17, -v18, v20, v17
	v_div_fmas_f32 v17, v17, v19, v20
	v_pk_add_f32 v[4:5], v[4:5], 1.0 op_sel_hi:[1,0]
	v_div_fixup_f32 v2, v17, v2, 1.0
	v_div_scale_f32 v17, s[0:1], v5, v5, 1.0
	v_rcp_f32_e32 v18, v17
	v_cmp_class_f32_e32 vcc, v3, v16
	v_cndmask_b32_e64 v3, v3, 0, vcc
	v_cmp_class_f32_e32 vcc, v2, v16
	v_fma_f32 v19, -v17, v18, 1.0
	v_cndmask_b32_e64 v2, v2, 0, vcc
	v_fmac_f32_e32 v18, v19, v18
	v_div_scale_f32 v19, vcc, 1.0, v5, 1.0
	v_mul_f32_e32 v20, v19, v18
	v_fma_f32 v21, -v17, v20, v19
	v_fmac_f32_e32 v20, v21, v18
	v_fma_f32 v17, -v17, v20, v19
	v_div_scale_f32 v19, s[0:1], v4, v4, 1.0
	v_rcp_f32_e32 v21, v19
	v_div_fmas_f32 v17, v17, v18, v20
	v_div_fixup_f32 v5, v17, v5, 1.0
	v_pk_add_f32 v[6:7], v[6:7], 1.0 op_sel_hi:[1,0]
	v_fma_f32 v17, -v19, v21, 1.0
	v_fmac_f32_e32 v21, v17, v21
	v_div_scale_f32 v17, vcc, 1.0, v4, 1.0
	v_mul_f32_e32 v18, v17, v21
	v_fma_f32 v20, -v19, v18, v17
	v_fmac_f32_e32 v18, v20, v21
	v_fma_f32 v17, -v19, v18, v17
	v_div_fmas_f32 v17, v17, v21, v18
	v_div_fixup_f32 v4, v17, v4, 1.0
	v_div_scale_f32 v17, s[0:1], v7, v7, 1.0
	v_rcp_f32_e32 v18, v17
	v_cmp_class_f32_e32 vcc, v5, v16
	v_cndmask_b32_e64 v5, v5, 0, vcc
	v_cmp_class_f32_e32 vcc, v4, v16
	v_fma_f32 v19, -v17, v18, 1.0
	v_cndmask_b32_e64 v4, v4, 0, vcc
	v_fmac_f32_e32 v18, v19, v18
	v_div_scale_f32 v19, vcc, 1.0, v7, 1.0
	v_mul_f32_e32 v20, v19, v18
	v_fma_f32 v21, -v17, v20, v19
	v_fmac_f32_e32 v20, v21, v18
	v_fma_f32 v17, -v17, v20, v19
	v_div_scale_f32 v19, s[0:1], v6, v6, 1.0
	v_rcp_f32_e32 v21, v19
	v_div_fmas_f32 v17, v17, v18, v20
	v_div_fixup_f32 v7, v17, v7, 1.0
	v_pk_add_f32 v[8:9], v[8:9], 1.0 op_sel_hi:[1,0]
	v_fma_f32 v17, -v19, v21, 1.0
	v_fmac_f32_e32 v21, v17, v21
	v_div_scale_f32 v17, vcc, 1.0, v6, 1.0
	v_mul_f32_e32 v18, v17, v21
	v_fma_f32 v20, -v19, v18, v17
	v_fmac_f32_e32 v18, v20, v21
	v_fma_f32 v17, -v19, v18, v17
	v_div_fmas_f32 v17, v17, v21, v18
	;; [unrolled: 27-line block ×3, first 2 shown]
	v_div_fixup_f32 v8, v17, v8, 1.0
	v_div_scale_f32 v17, s[0:1], v15, v15, 1.0
	v_rcp_f32_e32 v18, v17
	v_cmp_class_f32_e32 vcc, v9, v16
	v_cndmask_b32_e64 v9, v9, 0, vcc
	v_cmp_class_f32_e32 vcc, v8, v16
	v_fma_f32 v19, -v17, v18, 1.0
	v_cndmask_b32_e64 v8, v8, 0, vcc
	v_fmac_f32_e32 v18, v19, v18
	v_div_scale_f32 v19, vcc, 1.0, v15, 1.0
	v_mul_f32_e32 v20, v19, v18
	v_fma_f32 v21, -v17, v20, v19
	v_fmac_f32_e32 v20, v21, v18
	v_fma_f32 v17, -v17, v20, v19
	v_div_scale_f32 v19, s[0:1], v14, v14, 1.0
	v_rcp_f32_e32 v21, v19
	v_div_fmas_f32 v17, v17, v18, v20
	v_div_fixup_f32 v17, v17, v15, 1.0
	v_fma_f32 v15, -v19, v21, 1.0
	v_fmac_f32_e32 v21, v15, v21
	v_div_scale_f32 v15, vcc, 1.0, v14, 1.0
	v_mul_f32_e32 v18, v15, v21
	v_fma_f32 v20, -v19, v18, v15
	v_fmac_f32_e32 v18, v20, v21
	v_fma_f32 v15, -v19, v18, v15
	v_div_fmas_f32 v15, v15, v21, v18
	v_div_fixup_f32 v18, v15, v14, 1.0
	v_pk_add_f32 v[14:15], v[10:11], 1.0 op_sel_hi:[1,0]
	v_div_scale_f32 v19, s[0:1], v15, v15, 1.0
	v_rcp_f32_e32 v20, v19
	v_cmp_class_f32_e32 vcc, v17, v16
	v_cndmask_b32_e64 v11, v17, 0, vcc
	v_cmp_class_f32_e32 vcc, v18, v16
	v_fma_f32 v17, -v19, v20, 1.0
	v_cndmask_b32_e64 v10, v18, 0, vcc
	v_fmac_f32_e32 v20, v17, v20
	v_div_scale_f32 v17, vcc, 1.0, v15, 1.0
	v_mul_f32_e32 v18, v17, v20
	v_fma_f32 v21, -v19, v18, v17
	v_fmac_f32_e32 v18, v21, v20
	v_fma_f32 v17, -v19, v18, v17
	v_div_scale_f32 v19, s[0:1], v14, v14, 1.0
	v_rcp_f32_e32 v21, v19
	v_div_fmas_f32 v17, v17, v20, v18
	v_div_fixup_f32 v17, v17, v15, 1.0
	v_fma_f32 v15, -v19, v21, 1.0
	v_fmac_f32_e32 v21, v15, v21
	v_div_scale_f32 v15, vcc, 1.0, v14, 1.0
	v_mul_f32_e32 v18, v15, v21
	v_fma_f32 v20, -v19, v18, v15
	v_fmac_f32_e32 v18, v20, v21
	v_fma_f32 v15, -v19, v18, v15
	v_div_fmas_f32 v15, v15, v21, v18
	v_div_fixup_f32 v18, v15, v14, 1.0
	v_pk_add_f32 v[14:15], v[12:13], 1.0 op_sel_hi:[1,0]
	v_div_scale_f32 v19, s[0:1], v15, v15, 1.0
	v_rcp_f32_e32 v20, v19
	v_cmp_class_f32_e32 vcc, v17, v16
	v_cndmask_b32_e64 v13, v17, 0, vcc
	v_cmp_class_f32_e32 vcc, v18, v16
	v_fma_f32 v17, -v19, v20, 1.0
	v_cndmask_b32_e64 v12, v18, 0, vcc
	v_fmac_f32_e32 v20, v17, v20
	v_div_scale_f32 v17, vcc, 1.0, v15, 1.0
	v_mul_f32_e32 v18, v17, v20
	v_fma_f32 v21, -v19, v18, v17
	v_fmac_f32_e32 v18, v21, v20
	v_fma_f32 v17, -v19, v18, v17
	v_div_scale_f32 v19, s[0:1], v14, v14, 1.0
	v_rcp_f32_e32 v21, v19
	v_div_fmas_f32 v17, v17, v20, v18
	v_div_fixup_f32 v15, v17, v15, 1.0
	v_fma_f32 v17, -v19, v21, 1.0
	v_fmac_f32_e32 v21, v17, v21
	v_div_scale_f32 v17, vcc, 1.0, v14, 1.0
	v_mul_f32_e32 v18, v17, v21
	v_fma_f32 v20, -v19, v18, v17
	v_fmac_f32_e32 v18, v20, v21
	v_fma_f32 v17, -v19, v18, v17
	v_div_fmas_f32 v17, v17, v21, v18
	v_div_fixup_f32 v14, v17, v14, 1.0
	v_cmp_class_f32_e32 vcc, v15, v16
	v_cndmask_b32_e64 v15, v15, 0, vcc
	v_cmp_class_f32_e32 vcc, v14, v16
	v_cndmask_b32_e64 v14, v14, 0, vcc
	s_cbranch_scc1 .LBB309_31
; %bb.4:
	v_lshlrev_b32_e32 v32, 2, v38
	global_load_dwordx4 v[16:19], v32, s[8:9]
	global_load_dwordx4 v[20:23], v32, s[8:9] offset:16
	global_load_dwordx4 v[24:27], v32, s[8:9] offset:1024
	;; [unrolled: 1-line block ×3, first 2 shown]
	s_waitcnt vmcnt(3)
	v_pk_add_f32 v[16:17], v[16:17], v[0:1]
	v_pk_add_f32 v[18:19], v[18:19], v[2:3]
	s_waitcnt vmcnt(2)
	v_pk_add_f32 v[20:21], v[20:21], v[4:5]
	v_pk_add_f32 v[22:23], v[22:23], v[6:7]
	s_waitcnt vmcnt(1)
	v_pk_add_f32 v[24:25], v[24:25], v[8:9]
	v_pk_add_f32 v[26:27], v[26:27], v[10:11]
	s_waitcnt vmcnt(0)
	v_pk_add_f32 v[28:29], v[28:29], v[12:13]
	v_pk_add_f32 v[30:31], v[30:31], v[14:15]
	s_cbranch_execnz .LBB309_6
.LBB309_5:
	v_pk_mov_b32 v[30:31], v[14:15], v[14:15] op_sel:[0,1]
	v_pk_mov_b32 v[28:29], v[12:13], v[12:13] op_sel:[0,1]
	;; [unrolled: 1-line block ×8, first 2 shown]
.LBB309_6:
	s_load_dwordx4 s[8:11], s[4:5], 0x30
	s_mov_b32 s25, 0
	v_cmp_eq_u32_e64 s[0:1], 0, v37
	s_waitcnt lgkmcnt(0)
	s_bitcmp1_b32 s11, 0
	s_cselect_b64 vcc, -1, 0
	s_cmp_gt_i32 s8, 0
	s_cselect_b64 s[20:21], -1, 0
	s_cmp_lt_i32 s8, 1
	s_cbranch_scc1 .LBB309_32
; %bb.7:
	v_mbcnt_lo_u32_b32 v32, -1, 0
	v_mbcnt_hi_u32_b32 v32, -1, v32
	v_and_b32_e32 v34, 0x60, v32
	v_add_u32_e32 v34, 32, v34
	v_xor_b32_e32 v35, 16, v32
	v_cmp_lt_i32_e64 s[2:3], v35, v34
	v_cndmask_b32_e64 v35, v32, v35, s[2:3]
	v_lshlrev_b32_e32 v41, 2, v35
	v_xor_b32_e32 v35, 8, v32
	v_cmp_lt_i32_e64 s[2:3], v35, v34
	v_cndmask_b32_e64 v35, v32, v35, s[2:3]
	v_lshlrev_b32_e32 v42, 2, v35
	;; [unrolled: 4-line block ×3, first 2 shown]
	v_xor_b32_e32 v35, 2, v32
	v_cmp_lt_i32_e64 s[2:3], v35, v34
	s_load_dwordx4 s[12:15], s[4:5], 0x20
	v_cndmask_b32_e64 v35, v32, v35, s[2:3]
	v_lshlrev_b32_e32 v44, 2, v35
	v_xor_b32_e32 v35, 1, v32
	v_cmp_lt_i32_e64 s[2:3], v35, v34
	v_cndmask_b32_e64 v32, v32, v35, s[2:3]
	v_mul_lo_u32 v40, v33, s8
	v_lshlrev_b32_e32 v45, 2, v32
	v_mov_b32_e32 v39, 0
	v_mov_b32_e32 v46, 0x100
	;; [unrolled: 1-line block ×3, first 2 shown]
	v_bfrev_b32_e32 v48, 4.0
	v_bfrev_b32_e32 v49, -4.0
	v_mov_b32_e32 v50, 0x104
	v_mov_b32_e32 v51, 0x105
	;; [unrolled: 1-line block ×7, first 2 shown]
	s_branch .LBB309_10
.LBB309_8:                              ;   in Loop: Header=BB309_10 Depth=1
	s_or_b64 exec, exec, s[4:5]
.LBB309_9:                              ;   in Loop: Header=BB309_10 Depth=1
	s_cmp_eq_u32 s8, s25
	v_add_u32_e32 v56, s24, v56
	s_cbranch_scc1 .LBB309_33
.LBB309_10:                             ; =>This Inner Loop Header: Depth=1
	v_cmp_gt_f32_e64 s[2:3], v17, v16
	s_waitcnt lgkmcnt(0)
	v_cndmask_b32_e64 v35, v16, v17, s[2:3]
	v_cndmask_b32_e64 v32, 0, 1, s[2:3]
	v_cndmask_b32_e64 v34, v0, v1, s[2:3]
	v_cmp_gt_f32_e64 s[2:3], v18, v35
	v_cndmask_b32_e64 v35, v35, v18, s[2:3]
	v_cndmask_b32_e64 v32, v32, 2, s[2:3]
	v_cndmask_b32_e64 v34, v34, v2, s[2:3]
	v_cmp_gt_f32_e64 s[2:3], v19, v35
	;; [unrolled: 4-line block ×14, first 2 shown]
	v_cndmask_b32_e64 v32, v32, v53, s[2:3]
	v_cndmask_b32_e64 v57, v35, v31, s[2:3]
	v_or_b32_e32 v58, v38, v32
	v_cndmask_b32_e64 v32, v34, v15, s[2:3]
	ds_bpermute_b32 v60, v41, v57
	ds_bpermute_b32 v36, v41, v32
	;; [unrolled: 1-line block ×3, first 2 shown]
                                        ; implicit-def: $vgpr34_vgpr35
	s_waitcnt lgkmcnt(0)
	v_cmp_lt_f32_e64 s[6:7], v57, v60
	v_cmp_nlt_f32_e64 s[2:3], v57, v60
	s_and_saveexec_b64 s[22:23], s[2:3]
; %bb.11:                               ;   in Loop: Header=BB309_10 Depth=1
	v_cmp_eq_f32_e64 s[2:3], v57, v60
	v_cmp_lt_i32_e64 s[4:5], v59, v58
	s_and_b64 s[2:3], s[2:3], s[4:5]
	s_andn2_b64 s[4:5], s[6:7], exec
	s_and_b64 s[2:3], s[2:3], exec
	s_or_b64 s[6:7], s[4:5], s[2:3]
	v_pk_mov_b32 v[34:35], v[32:33], v[32:33] op_sel:[0,1]
; %bb.12:                               ;   in Loop: Header=BB309_10 Depth=1
	s_or_b64 exec, exec, s[22:23]
	s_and_saveexec_b64 s[2:3], s[6:7]
; %bb.13:                               ;   in Loop: Header=BB309_10 Depth=1
	v_mov_b32_e32 v57, v60
	v_mov_b32_e32 v32, v36
	;; [unrolled: 1-line block ×3, first 2 shown]
	v_pk_mov_b32 v[34:35], v[36:37], v[36:37] op_sel:[0,1]
; %bb.14:                               ;   in Loop: Header=BB309_10 Depth=1
	s_or_b64 exec, exec, s[2:3]
	ds_bpermute_b32 v59, v42, v57
	ds_bpermute_b32 v36, v42, v32
	;; [unrolled: 1-line block ×3, first 2 shown]
	s_waitcnt lgkmcnt(2)
	v_cmp_lt_f32_e64 s[6:7], v57, v59
	v_cmp_nlt_f32_e64 s[2:3], v57, v59
	s_and_saveexec_b64 s[22:23], s[2:3]
	s_cbranch_execz .LBB309_16
; %bb.15:                               ;   in Loop: Header=BB309_10 Depth=1
	v_cmp_eq_f32_e64 s[2:3], v57, v59
	s_waitcnt lgkmcnt(0)
	v_cmp_lt_i32_e64 s[4:5], v35, v58
	s_and_b64 s[2:3], s[2:3], s[4:5]
	s_andn2_b64 s[4:5], s[6:7], exec
	s_and_b64 s[2:3], s[2:3], exec
	s_or_b64 s[6:7], s[4:5], s[2:3]
.LBB309_16:                             ;   in Loop: Header=BB309_10 Depth=1
	s_or_b64 exec, exec, s[22:23]
	s_and_saveexec_b64 s[2:3], s[6:7]
	s_cbranch_execz .LBB309_18
; %bb.17:                               ;   in Loop: Header=BB309_10 Depth=1
	v_mov_b32_e32 v57, v59
	s_waitcnt lgkmcnt(1)
	v_mov_b32_e32 v32, v36
	s_waitcnt lgkmcnt(0)
	v_mov_b32_e32 v58, v35
	v_pk_mov_b32 v[34:35], v[36:37], v[36:37] op_sel:[0,1]
.LBB309_18:                             ;   in Loop: Header=BB309_10 Depth=1
	s_or_b64 exec, exec, s[2:3]
	ds_bpermute_b32 v59, v43, v57
	s_waitcnt lgkmcnt(2)
	ds_bpermute_b32 v36, v43, v32
	s_waitcnt lgkmcnt(2)
	;; [unrolled: 2-line block ×3, first 2 shown]
	v_cmp_lt_f32_e64 s[6:7], v57, v59
	v_cmp_nlt_f32_e64 s[2:3], v57, v59
	s_and_saveexec_b64 s[22:23], s[2:3]
	s_cbranch_execz .LBB309_20
; %bb.19:                               ;   in Loop: Header=BB309_10 Depth=1
	v_cmp_eq_f32_e64 s[2:3], v57, v59
	s_waitcnt lgkmcnt(0)
	v_cmp_lt_i32_e64 s[4:5], v35, v58
	s_and_b64 s[2:3], s[2:3], s[4:5]
	s_andn2_b64 s[4:5], s[6:7], exec
	s_and_b64 s[2:3], s[2:3], exec
	s_or_b64 s[6:7], s[4:5], s[2:3]
.LBB309_20:                             ;   in Loop: Header=BB309_10 Depth=1
	s_or_b64 exec, exec, s[22:23]
	s_and_saveexec_b64 s[2:3], s[6:7]
	s_cbranch_execz .LBB309_22
; %bb.21:                               ;   in Loop: Header=BB309_10 Depth=1
	v_mov_b32_e32 v57, v59
	s_waitcnt lgkmcnt(1)
	v_mov_b32_e32 v32, v36
	s_waitcnt lgkmcnt(0)
	v_mov_b32_e32 v58, v35
	v_pk_mov_b32 v[34:35], v[36:37], v[36:37] op_sel:[0,1]
.LBB309_22:                             ;   in Loop: Header=BB309_10 Depth=1
	s_or_b64 exec, exec, s[2:3]
	ds_bpermute_b32 v59, v44, v57
	s_waitcnt lgkmcnt(2)
	ds_bpermute_b32 v36, v44, v32
	s_waitcnt lgkmcnt(2)
	ds_bpermute_b32 v35, v44, v58
	s_waitcnt lgkmcnt(2)
	v_cmp_lt_f32_e64 s[6:7], v57, v59
	v_cmp_nlt_f32_e64 s[2:3], v57, v59
	s_and_saveexec_b64 s[22:23], s[2:3]
	s_cbranch_execz .LBB309_24
; %bb.23:                               ;   in Loop: Header=BB309_10 Depth=1
	v_cmp_eq_f32_e64 s[2:3], v57, v59
	s_waitcnt lgkmcnt(0)
	v_cmp_lt_i32_e64 s[4:5], v35, v58
	s_and_b64 s[2:3], s[2:3], s[4:5]
	s_andn2_b64 s[4:5], s[6:7], exec
	s_and_b64 s[2:3], s[2:3], exec
	s_or_b64 s[6:7], s[4:5], s[2:3]
.LBB309_24:                             ;   in Loop: Header=BB309_10 Depth=1
	s_or_b64 exec, exec, s[22:23]
	s_and_saveexec_b64 s[2:3], s[6:7]
	s_cbranch_execz .LBB309_26
; %bb.25:                               ;   in Loop: Header=BB309_10 Depth=1
	v_mov_b32_e32 v57, v59
	s_waitcnt lgkmcnt(1)
	v_mov_b32_e32 v32, v36
	s_waitcnt lgkmcnt(0)
	v_mov_b32_e32 v58, v35
	v_pk_mov_b32 v[34:35], v[36:37], v[36:37] op_sel:[0,1]
.LBB309_26:                             ;   in Loop: Header=BB309_10 Depth=1
	s_or_b64 exec, exec, s[2:3]
	s_waitcnt lgkmcnt(1)
	ds_bpermute_b32 v36, v45, v57
	ds_bpermute_b32 v59, v45, v58
	s_waitcnt lgkmcnt(2)
	ds_bpermute_b32 v35, v45, v32
	s_waitcnt lgkmcnt(2)
	v_cmp_eq_f32_e64 s[4:5], v57, v36
	s_waitcnt lgkmcnt(1)
	v_cmp_lt_i32_e64 s[6:7], v59, v58
	v_cmp_lt_f32_e64 s[2:3], v57, v36
	s_and_b64 s[4:5], s[4:5], s[6:7]
	s_or_b64 s[2:3], s[2:3], s[4:5]
	v_cndmask_b32_e64 v32, v58, v59, s[2:3]
	s_and_saveexec_b64 s[6:7], s[0:1]
	s_cbranch_execnz .LBB309_28
; %bb.27:                               ;   in Loop: Header=BB309_10 Depth=1
	s_or_b64 exec, exec, s[6:7]
	s_add_i32 s25, s25, 1
	s_cmp_ge_i32 s25, s8
	s_cbranch_scc1 .LBB309_9
	s_branch .LBB309_29
.LBB309_28:                             ;   in Loop: Header=BB309_10 Depth=1
	s_waitcnt lgkmcnt(0)
	v_cndmask_b32_e64 v36, v34, v35, s[2:3]
	v_add_u32_e32 v34, s25, v40
	v_ashrrev_i32_e32 v35, 31, v34
	v_cmp_le_i32_e64 s[2:3], s9, v32
	v_cmp_gt_i32_e64 s[4:5], s10, v32
	v_lshlrev_b64 v[58:59], 2, v[34:35]
	s_and_b64 s[4:5], s[2:3], s[4:5]
	v_mov_b32_e32 v57, s17
	v_add_co_u32_e64 v60, s[2:3], s16, v58
	v_addc_co_u32_e64 v61, s[2:3], v57, v59, s[2:3]
	v_subrev_u32_e32 v57, s9, v32
	global_store_dword v[60:61], v36, off
	v_ashrrev_i32_e32 v60, 31, v57
	s_and_b64 s[2:3], s[18:19], s[4:5]
	v_lshlrev_b64 v[34:35], 3, v[34:35]
	v_cndmask_b32_e64 v61, 0, v60, s[2:3]
	v_cndmask_b32_e64 v60, v54, v57, s[2:3]
	v_mov_b32_e32 v57, s13
	v_add_co_u32_e64 v34, s[2:3], s12, v34
	v_addc_co_u32_e64 v35, s[2:3], v57, v35, s[2:3]
	global_store_dwordx2 v[34:35], v[60:61], off
	v_mov_b32_e32 v35, s15
	v_add_co_u32_e64 v34, s[2:3], s14, v58
	v_addc_co_u32_e64 v35, s[2:3], v35, v59, s[2:3]
	global_store_dword v[34:35], v56, off
	v_add_f32_e32 v34, v39, v36
	v_cndmask_b32_e32 v39, v39, v34, vcc
	s_or_b64 exec, exec, s[6:7]
	s_add_i32 s25, s25, 1
	s_cmp_ge_i32 s25, s8
	s_cbranch_scc1 .LBB309_9
.LBB309_29:                             ;   in Loop: Header=BB309_10 Depth=1
	v_ashrrev_i32_e32 v34, 31, v32
	s_waitcnt lgkmcnt(0)
	v_lshrrev_b32_e32 v35, 29, v34
	v_add_u32_e32 v36, v32, v35
	v_ashrrev_i32_e32 v35, 3, v36
	v_ashrrev_i32_e32 v36, 31, v36
	v_lshrrev_b32_e32 v36, 27, v36
	v_add_u32_e32 v36, v35, v36
	v_and_b32_e32 v36, 0xffffffe0, v36
	v_sub_u32_e32 v36, v35, v36
	v_cmp_eq_u32_e64 s[2:3], v37, v36
	s_and_saveexec_b64 s[4:5], s[2:3]
	s_cbranch_execz .LBB309_8
; %bb.30:                               ;   in Loop: Header=BB309_10 Depth=1
	v_add_u32_sdwa v34, v32, v34 dst_sel:DWORD dst_unused:UNUSED_PAD src0_sel:DWORD src1_sel:BYTE_3
	v_lshlrev_b32_e32 v35, 3, v35
	v_ashrrev_i32_e32 v34, 8, v34
	v_sub_u32_e32 v32, v32, v35
	v_lshl_add_u32 v32, v34, 3, v32
	v_cmp_ne_u32_e64 s[2:3], 15, v32
	v_cndmask_b32_e64 v31, v55, v31, s[2:3]
	v_cmp_ne_u32_e64 s[2:3], 14, v32
	v_cndmask_b32_e64 v30, v55, v30, s[2:3]
	;; [unrolled: 2-line block ×16, first 2 shown]
	s_branch .LBB309_8
.LBB309_31:
                                        ; implicit-def: $vgpr16_vgpr17_vgpr18_vgpr19_vgpr20_vgpr21_vgpr22_vgpr23_vgpr24_vgpr25_vgpr26_vgpr27_vgpr28_vgpr29_vgpr30_vgpr31
	s_andn2_b64 vcc, exec, s[6:7]
	s_cbranch_vccz .LBB309_5
	s_branch .LBB309_6
.LBB309_32:
	v_mov_b32_e32 v39, 0
.LBB309_33:
	v_cmp_eq_u32_e64 s[0:1], 0, v37
	s_and_b64 s[0:1], s[0:1], vcc
	s_and_b64 exec, exec, s[0:1]
	s_cbranch_execz .LBB309_42
; %bb.34:
	s_andn2_b64 vcc, exec, s[20:21]
	s_cbranch_vccnz .LBB309_42
; %bb.35:
	v_cmp_lt_f32_e32 vcc, 0, v39
	s_mov_b32 s2, 0
	v_cndmask_b32_e32 v0, 1.0, v39, vcc
	v_mul_lo_u32 v4, v33, s8
	s_cmp_eq_u32 s8, 1
	s_mov_b64 s[0:1], -1
	s_cbranch_scc1 .LBB309_39
; %bb.36:
	s_and_b32 s2, s8, 0x7ffffffe
	v_mov_b32_e32 v1, v0
	v_mov_b32_e32 v5, s17
	s_mov_b32 s3, s2
	v_mov_b32_e32 v2, v4
.LBB309_37:                             ; =>This Inner Loop Header: Depth=1
	v_ashrrev_i32_e32 v3, 31, v2
	v_lshlrev_b64 v[6:7], 2, v[2:3]
	v_add_co_u32_e32 v6, vcc, s16, v6
	v_addc_co_u32_e32 v7, vcc, v5, v7, vcc
	global_load_dwordx2 v[8:9], v[6:7], off
	s_add_i32 s3, s3, -2
	s_cmp_lg_u32 s3, 0
	v_add_u32_e32 v2, 2, v2
	s_waitcnt vmcnt(0)
	v_div_scale_f32 v3, s[0:1], v1, v1, v9
	v_div_scale_f32 v11, s[0:1], v0, v0, v8
	v_rcp_f32_e32 v12, v3
	v_rcp_f32_e32 v13, v11
	v_div_scale_f32 v10, vcc, v9, v1, v9
	v_fma_f32 v15, -v3, v12, 1.0
	v_fma_f32 v16, -v11, v13, 1.0
	v_fmac_f32_e32 v12, v15, v12
	v_div_scale_f32 v14, s[0:1], v8, v0, v8
	v_fmac_f32_e32 v13, v16, v13
	v_mul_f32_e32 v15, v10, v12
	v_mul_f32_e32 v16, v14, v13
	v_fma_f32 v17, -v3, v15, v10
	v_fma_f32 v18, -v11, v16, v14
	v_fmac_f32_e32 v15, v17, v12
	v_fmac_f32_e32 v16, v18, v13
	v_fma_f32 v3, -v3, v15, v10
	v_fma_f32 v10, -v11, v16, v14
	v_div_fmas_f32 v3, v3, v12, v15
	s_mov_b64 vcc, s[0:1]
	v_div_fixup_f32 v9, v3, v1, v9
	v_div_fmas_f32 v3, v10, v13, v16
	v_div_fixup_f32 v8, v3, v0, v8
	global_store_dwordx2 v[6:7], v[8:9], off
	s_cbranch_scc1 .LBB309_37
; %bb.38:
	s_cmp_lg_u32 s2, s8
	s_cselect_b64 s[0:1], -1, 0
.LBB309_39:
	s_and_b64 vcc, exec, s[0:1]
	s_cbranch_vccz .LBB309_42
; %bb.40:
	v_ashrrev_i32_e32 v1, 31, v4
	v_add_co_u32_e32 v2, vcc, s2, v4
	v_addc_co_u32_e32 v3, vcc, 0, v1, vcc
	v_lshlrev_b64 v[2:3], 2, v[2:3]
	v_mov_b32_e32 v1, s17
	v_add_co_u32_e32 v2, vcc, s16, v2
	s_sub_i32 s0, s8, s2
	v_addc_co_u32_e32 v3, vcc, v1, v3, vcc
.LBB309_41:                             ; =>This Inner Loop Header: Depth=1
	global_load_dword v1, v[2:3], off
	s_add_i32 s0, s0, -1
	s_cmp_lg_u32 s0, 0
	s_waitcnt vmcnt(0)
	v_div_scale_f32 v4, s[2:3], v0, v0, v1
	v_rcp_f32_e32 v5, v4
	v_div_scale_f32 v6, vcc, v1, v0, v1
	v_fma_f32 v7, -v4, v5, 1.0
	v_fmac_f32_e32 v5, v7, v5
	v_mul_f32_e32 v7, v6, v5
	v_fma_f32 v8, -v4, v7, v6
	v_fmac_f32_e32 v7, v8, v5
	v_fma_f32 v4, -v4, v7, v6
	v_div_fmas_f32 v4, v4, v5, v7
	v_div_fixup_f32 v1, v4, v0, v1
	global_store_dword v[2:3], v1, off
	v_add_co_u32_e32 v2, vcc, 4, v2
	v_addc_co_u32_e32 v3, vcc, 0, v3, vcc
	s_cbranch_scc1 .LBB309_41
.LBB309_42:
	s_endpgm
	.section	.rodata,"a",@progbits
	.p2align	6, 0x0
	.amdhsa_kernel _ZN4vllm3moe10topkGatingILi16ELi512ELi4ELi16ELi32El6__halfLNS0_11ScoringFuncE1EEEvPKT5_PKbPfiPT4_PiiiibPKf
		.amdhsa_group_segment_fixed_size 0
		.amdhsa_private_segment_fixed_size 0
		.amdhsa_kernarg_size 72
		.amdhsa_user_sgpr_count 6
		.amdhsa_user_sgpr_private_segment_buffer 1
		.amdhsa_user_sgpr_dispatch_ptr 0
		.amdhsa_user_sgpr_queue_ptr 0
		.amdhsa_user_sgpr_kernarg_segment_ptr 1
		.amdhsa_user_sgpr_dispatch_id 0
		.amdhsa_user_sgpr_flat_scratch_init 0
		.amdhsa_user_sgpr_kernarg_preload_length 0
		.amdhsa_user_sgpr_kernarg_preload_offset 0
		.amdhsa_user_sgpr_private_segment_size 0
		.amdhsa_uses_dynamic_stack 0
		.amdhsa_system_sgpr_private_segment_wavefront_offset 0
		.amdhsa_system_sgpr_workgroup_id_x 1
		.amdhsa_system_sgpr_workgroup_id_y 0
		.amdhsa_system_sgpr_workgroup_id_z 0
		.amdhsa_system_sgpr_workgroup_info 0
		.amdhsa_system_vgpr_workitem_id 1
		.amdhsa_next_free_vgpr 62
		.amdhsa_next_free_sgpr 26
		.amdhsa_accum_offset 64
		.amdhsa_reserve_vcc 1
		.amdhsa_reserve_flat_scratch 0
		.amdhsa_float_round_mode_32 0
		.amdhsa_float_round_mode_16_64 0
		.amdhsa_float_denorm_mode_32 3
		.amdhsa_float_denorm_mode_16_64 3
		.amdhsa_dx10_clamp 1
		.amdhsa_ieee_mode 1
		.amdhsa_fp16_overflow 0
		.amdhsa_tg_split 0
		.amdhsa_exception_fp_ieee_invalid_op 0
		.amdhsa_exception_fp_denorm_src 0
		.amdhsa_exception_fp_ieee_div_zero 0
		.amdhsa_exception_fp_ieee_overflow 0
		.amdhsa_exception_fp_ieee_underflow 0
		.amdhsa_exception_fp_ieee_inexact 0
		.amdhsa_exception_int_div_zero 0
	.end_amdhsa_kernel
	.section	.text._ZN4vllm3moe10topkGatingILi16ELi512ELi4ELi16ELi32El6__halfLNS0_11ScoringFuncE1EEEvPKT5_PKbPfiPT4_PiiiibPKf,"axG",@progbits,_ZN4vllm3moe10topkGatingILi16ELi512ELi4ELi16ELi32El6__halfLNS0_11ScoringFuncE1EEEvPKT5_PKbPfiPT4_PiiiibPKf,comdat
.Lfunc_end309:
	.size	_ZN4vllm3moe10topkGatingILi16ELi512ELi4ELi16ELi32El6__halfLNS0_11ScoringFuncE1EEEvPKT5_PKbPfiPT4_PiiiibPKf, .Lfunc_end309-_ZN4vllm3moe10topkGatingILi16ELi512ELi4ELi16ELi32El6__halfLNS0_11ScoringFuncE1EEEvPKT5_PKbPfiPT4_PiiiibPKf
                                        ; -- End function
	.section	.AMDGPU.csdata,"",@progbits
; Kernel info:
; codeLenInByte = 4576
; NumSgprs: 30
; NumVgprs: 62
; NumAgprs: 0
; TotalNumVgprs: 62
; ScratchSize: 0
; MemoryBound: 0
; FloatMode: 240
; IeeeMode: 1
; LDSByteSize: 0 bytes/workgroup (compile time only)
; SGPRBlocks: 3
; VGPRBlocks: 7
; NumSGPRsForWavesPerEU: 30
; NumVGPRsForWavesPerEU: 62
; AccumOffset: 64
; Occupancy: 8
; WaveLimiterHint : 1
; COMPUTE_PGM_RSRC2:SCRATCH_EN: 0
; COMPUTE_PGM_RSRC2:USER_SGPR: 6
; COMPUTE_PGM_RSRC2:TRAP_HANDLER: 0
; COMPUTE_PGM_RSRC2:TGID_X_EN: 1
; COMPUTE_PGM_RSRC2:TGID_Y_EN: 0
; COMPUTE_PGM_RSRC2:TGID_Z_EN: 0
; COMPUTE_PGM_RSRC2:TIDIG_COMP_CNT: 1
; COMPUTE_PGM_RSRC3_GFX90A:ACCUM_OFFSET: 15
; COMPUTE_PGM_RSRC3_GFX90A:TG_SPLIT: 0
	.section	.text._ZN4vllm3moe10topkGatingILi1ELi1ELi4ELi2ELi64Ei14__hip_bfloat16LNS0_11ScoringFuncE1EEEvPKT5_PKbPfiPT4_PiiiibPKf,"axG",@progbits,_ZN4vllm3moe10topkGatingILi1ELi1ELi4ELi2ELi64Ei14__hip_bfloat16LNS0_11ScoringFuncE1EEEvPKT5_PKbPfiPT4_PiiiibPKf,comdat
	.protected	_ZN4vllm3moe10topkGatingILi1ELi1ELi4ELi2ELi64Ei14__hip_bfloat16LNS0_11ScoringFuncE1EEEvPKT5_PKbPfiPT4_PiiiibPKf ; -- Begin function _ZN4vllm3moe10topkGatingILi1ELi1ELi4ELi2ELi64Ei14__hip_bfloat16LNS0_11ScoringFuncE1EEEvPKT5_PKbPfiPT4_PiiiibPKf
	.globl	_ZN4vllm3moe10topkGatingILi1ELi1ELi4ELi2ELi64Ei14__hip_bfloat16LNS0_11ScoringFuncE1EEEvPKT5_PKbPfiPT4_PiiiibPKf
	.p2align	8
	.type	_ZN4vllm3moe10topkGatingILi1ELi1ELi4ELi2ELi64Ei14__hip_bfloat16LNS0_11ScoringFuncE1EEEvPKT5_PKbPfiPT4_PiiiibPKf,@function
_ZN4vllm3moe10topkGatingILi1ELi1ELi4ELi2ELi64Ei14__hip_bfloat16LNS0_11ScoringFuncE1EEEvPKT5_PKbPfiPT4_PiiiibPKf: ; @_ZN4vllm3moe10topkGatingILi1ELi1ELi4ELi2ELi64Ei14__hip_bfloat16LNS0_11ScoringFuncE1EEEvPKT5_PKbPfiPT4_PiiiibPKf
; %bb.0:
	s_load_dword s18, s[4:5], 0x18
	v_bfe_u32 v1, v0, 10, 10
	s_lshl_b32 s0, s6, 8
	v_lshlrev_b32_e32 v1, 6, v1
	v_and_b32_e32 v0, 0x3ff, v0
	v_add3_u32 v0, v1, v0, s0
	s_waitcnt lgkmcnt(0)
	v_cmp_gt_i32_e32 vcc, s18, v0
	s_and_saveexec_b64 s[0:1], vcc
	s_cbranch_execz .LBB310_17
; %bb.1:
	s_load_dwordx4 s[12:15], s[4:5], 0x0
	s_load_dwordx2 s[2:3], s[4:5], 0x10
	v_ashrrev_i32_e32 v1, 31, v0
	s_waitcnt lgkmcnt(0)
	s_cmp_eq_u64 s[14:15], 0
	s_cbranch_scc1 .LBB310_3
; %bb.2:
	v_mov_b32_e32 v3, s15
	v_add_co_u32_e32 v2, vcc, s14, v0
	v_addc_co_u32_e32 v3, vcc, v3, v1, vcc
	global_load_ubyte v2, v[2:3], off
	s_waitcnt vmcnt(0)
	v_and_b32_e32 v2, 1, v2
	v_cmp_eq_u32_e32 vcc, 1, v2
	s_xor_b64 s[0:1], vcc, -1
	s_orn2_b64 s[16:17], s[0:1], exec
	s_branch .LBB310_4
.LBB310_3:
	s_mov_b64 s[16:17], -1
.LBB310_4:
	s_load_dwordx4 s[8:11], s[4:5], 0x30
	s_waitcnt lgkmcnt(0)
	s_bitcmp1_b32 s11, 0
	s_cselect_b64 s[0:1], -1, 0
	s_cmp_gt_i32 s8, 0
	s_cselect_b64 s[14:15], -1, 0
	s_cmp_lt_i32 s8, 1
	s_cbranch_scc1 .LBB310_8
; %bb.5:
	v_lshlrev_b64 v[2:3], 1, v[0:1]
	v_mov_b32_e32 v1, s13
	v_add_co_u32_e32 v2, vcc, s12, v2
	v_addc_co_u32_e32 v3, vcc, v1, v3, vcc
	global_load_ushort v4, v[2:3], off
	v_mul_lo_u32 v2, v0, s8
	s_load_dwordx4 s[4:7], s[4:5], 0x20
	s_cmp_lt_i32 s9, 1
	v_ashrrev_i32_e32 v3, 31, v2
	s_cselect_b64 s[12:13], -1, 0
	s_cmp_gt_i32 s10, 0
	v_lshlrev_b64 v[6:7], 2, v[2:3]
	v_mov_b32_e32 v5, s3
	s_cselect_b64 s[10:11], -1, 0
	v_add_co_u32_e32 v2, vcc, s2, v6
	s_sub_i32 s9, 0, s9
	s_and_b64 s[10:11], s[12:13], s[10:11]
	v_addc_co_u32_e32 v3, vcc, v5, v7, vcc
	v_mov_b32_e32 v9, s9
	s_and_b64 vcc, s[16:17], s[10:11]
	v_cndmask_b32_e32 v9, 1, v9, vcc
	s_waitcnt lgkmcnt(0)
	v_mov_b32_e32 v5, s5
	v_mov_b32_e32 v10, s7
	s_movk_i32 s19, 0x1f8
	v_mov_b32_e32 v1, 0
	v_mov_b32_e32 v8, v0
	s_waitcnt vmcnt(0)
	v_lshlrev_b32_e32 v4, 16, v4
	v_mul_f32_e32 v4, 0xbfb8aa3b, v4
	v_exp_f32_e32 v11, v4
	v_add_co_u32_e32 v4, vcc, s4, v6
	v_addc_co_u32_e32 v5, vcc, v5, v7, vcc
	v_add_f32_e32 v11, 1.0, v11
	v_div_scale_f32 v12, s[4:5], v11, v11, 1.0
	v_rcp_f32_e32 v13, v12
	v_add_co_u32_e32 v6, vcc, s6, v6
	v_addc_co_u32_e32 v7, vcc, v10, v7, vcc
	v_fma_f32 v14, -v12, v13, 1.0
	v_div_scale_f32 v10, vcc, 1.0, v11, 1.0
	v_fmac_f32_e32 v13, v14, v13
	v_mul_f32_e32 v14, v10, v13
	v_fma_f32 v15, -v12, v14, v10
	v_fmac_f32_e32 v14, v15, v13
	v_fma_f32 v10, -v12, v14, v10
	v_div_fmas_f32 v10, v10, v13, v14
	v_div_fixup_f32 v10, v10, v11, 1.0
	v_cmp_class_f32_e64 vcc, v10, s19
	v_cndmask_b32_e32 v10, 0, v10, vcc
	s_mov_b32 s4, s8
.LBB310_6:                              ; =>This Inner Loop Header: Depth=1
	global_store_dword v[2:3], v10, off
	global_store_dword v[4:5], v9, off
	;; [unrolled: 1-line block ×3, first 2 shown]
	v_add_co_u32_e32 v2, vcc, 4, v2
	v_addc_co_u32_e32 v3, vcc, 0, v3, vcc
	v_add_co_u32_e32 v4, vcc, 4, v4
	v_addc_co_u32_e32 v5, vcc, 0, v5, vcc
	v_add_f32_e32 v11, v1, v10
	s_add_i32 s4, s4, -1
	v_add_co_u32_e32 v6, vcc, 4, v6
	v_cndmask_b32_e64 v1, v1, v11, s[0:1]
	v_add_u32_e32 v8, s18, v8
	s_cmp_lg_u32 s4, 0
	v_addc_co_u32_e32 v7, vcc, 0, v7, vcc
	s_cbranch_scc1 .LBB310_6
; %bb.7:
	s_andn2_b64 vcc, exec, s[0:1]
	s_cbranch_vccz .LBB310_9
	s_branch .LBB310_17
.LBB310_8:
	v_mov_b32_e32 v1, 0
	s_andn2_b64 vcc, exec, s[0:1]
	s_cbranch_vccnz .LBB310_17
.LBB310_9:
	s_andn2_b64 vcc, exec, s[14:15]
	s_cbranch_vccnz .LBB310_17
; %bb.10:
	v_cmp_lt_f32_e32 vcc, 0, v1
	s_mov_b32 s4, 0
	v_cndmask_b32_e32 v2, 1.0, v1, vcc
	v_mul_lo_u32 v0, v0, s8
	s_cmp_eq_u32 s8, 1
	s_mov_b64 s[0:1], -1
	s_cbranch_scc1 .LBB310_14
; %bb.11:
	s_and_b32 s4, s8, 0x7ffffffe
	v_mov_b32_e32 v1, v2
	v_mov_b32_e32 v3, s3
	s_mov_b32 s5, s4
	v_mov_b32_e32 v4, v0
.LBB310_12:                             ; =>This Inner Loop Header: Depth=1
	v_ashrrev_i32_e32 v5, 31, v4
	v_lshlrev_b64 v[6:7], 2, v[4:5]
	v_add_co_u32_e32 v6, vcc, s2, v6
	v_addc_co_u32_e32 v7, vcc, v3, v7, vcc
	global_load_dwordx2 v[8:9], v[6:7], off
	s_add_i32 s5, s5, -2
	s_cmp_lg_u32 s5, 0
	v_add_u32_e32 v4, 2, v4
	s_waitcnt vmcnt(0)
	v_div_scale_f32 v5, s[0:1], v1, v1, v9
	v_div_scale_f32 v11, s[0:1], v2, v2, v8
	v_rcp_f32_e32 v12, v5
	v_rcp_f32_e32 v13, v11
	v_div_scale_f32 v10, vcc, v9, v1, v9
	v_fma_f32 v15, -v5, v12, 1.0
	v_fma_f32 v16, -v11, v13, 1.0
	v_fmac_f32_e32 v12, v15, v12
	v_div_scale_f32 v14, s[0:1], v8, v2, v8
	v_fmac_f32_e32 v13, v16, v13
	v_mul_f32_e32 v15, v10, v12
	v_mul_f32_e32 v16, v14, v13
	v_fma_f32 v17, -v5, v15, v10
	v_fma_f32 v18, -v11, v16, v14
	v_fmac_f32_e32 v15, v17, v12
	v_fmac_f32_e32 v16, v18, v13
	v_fma_f32 v5, -v5, v15, v10
	v_fma_f32 v10, -v11, v16, v14
	v_div_fmas_f32 v5, v5, v12, v15
	s_mov_b64 vcc, s[0:1]
	v_div_fixup_f32 v9, v5, v1, v9
	v_div_fmas_f32 v5, v10, v13, v16
	v_div_fixup_f32 v8, v5, v2, v8
	global_store_dwordx2 v[6:7], v[8:9], off
	s_cbranch_scc1 .LBB310_12
; %bb.13:
	s_cmp_lg_u32 s4, s8
	s_cselect_b64 s[0:1], -1, 0
.LBB310_14:
	s_and_b64 vcc, exec, s[0:1]
	s_cbranch_vccz .LBB310_17
; %bb.15:
	v_ashrrev_i32_e32 v1, 31, v0
	v_add_co_u32_e32 v0, vcc, s4, v0
	v_addc_co_u32_e32 v1, vcc, 0, v1, vcc
	v_lshlrev_b64 v[0:1], 2, v[0:1]
	v_mov_b32_e32 v3, s3
	v_add_co_u32_e32 v0, vcc, s2, v0
	s_sub_i32 s0, s8, s4
	v_addc_co_u32_e32 v1, vcc, v3, v1, vcc
.LBB310_16:                             ; =>This Inner Loop Header: Depth=1
	global_load_dword v3, v[0:1], off
	s_add_i32 s0, s0, -1
	s_cmp_lg_u32 s0, 0
	s_waitcnt vmcnt(0)
	v_div_scale_f32 v4, s[2:3], v2, v2, v3
	v_rcp_f32_e32 v5, v4
	v_div_scale_f32 v6, vcc, v3, v2, v3
	v_fma_f32 v7, -v4, v5, 1.0
	v_fmac_f32_e32 v5, v7, v5
	v_mul_f32_e32 v7, v6, v5
	v_fma_f32 v8, -v4, v7, v6
	v_fmac_f32_e32 v7, v8, v5
	v_fma_f32 v4, -v4, v7, v6
	v_div_fmas_f32 v4, v4, v5, v7
	v_div_fixup_f32 v3, v4, v2, v3
	global_store_dword v[0:1], v3, off
	v_add_co_u32_e32 v0, vcc, 4, v0
	v_addc_co_u32_e32 v1, vcc, 0, v1, vcc
	s_cbranch_scc1 .LBB310_16
.LBB310_17:
	s_endpgm
	.section	.rodata,"a",@progbits
	.p2align	6, 0x0
	.amdhsa_kernel _ZN4vllm3moe10topkGatingILi1ELi1ELi4ELi2ELi64Ei14__hip_bfloat16LNS0_11ScoringFuncE1EEEvPKT5_PKbPfiPT4_PiiiibPKf
		.amdhsa_group_segment_fixed_size 0
		.amdhsa_private_segment_fixed_size 0
		.amdhsa_kernarg_size 72
		.amdhsa_user_sgpr_count 6
		.amdhsa_user_sgpr_private_segment_buffer 1
		.amdhsa_user_sgpr_dispatch_ptr 0
		.amdhsa_user_sgpr_queue_ptr 0
		.amdhsa_user_sgpr_kernarg_segment_ptr 1
		.amdhsa_user_sgpr_dispatch_id 0
		.amdhsa_user_sgpr_flat_scratch_init 0
		.amdhsa_user_sgpr_kernarg_preload_length 0
		.amdhsa_user_sgpr_kernarg_preload_offset 0
		.amdhsa_user_sgpr_private_segment_size 0
		.amdhsa_uses_dynamic_stack 0
		.amdhsa_system_sgpr_private_segment_wavefront_offset 0
		.amdhsa_system_sgpr_workgroup_id_x 1
		.amdhsa_system_sgpr_workgroup_id_y 0
		.amdhsa_system_sgpr_workgroup_id_z 0
		.amdhsa_system_sgpr_workgroup_info 0
		.amdhsa_system_vgpr_workitem_id 1
		.amdhsa_next_free_vgpr 19
		.amdhsa_next_free_sgpr 20
		.amdhsa_accum_offset 20
		.amdhsa_reserve_vcc 1
		.amdhsa_reserve_flat_scratch 0
		.amdhsa_float_round_mode_32 0
		.amdhsa_float_round_mode_16_64 0
		.amdhsa_float_denorm_mode_32 3
		.amdhsa_float_denorm_mode_16_64 3
		.amdhsa_dx10_clamp 1
		.amdhsa_ieee_mode 1
		.amdhsa_fp16_overflow 0
		.amdhsa_tg_split 0
		.amdhsa_exception_fp_ieee_invalid_op 0
		.amdhsa_exception_fp_denorm_src 0
		.amdhsa_exception_fp_ieee_div_zero 0
		.amdhsa_exception_fp_ieee_overflow 0
		.amdhsa_exception_fp_ieee_underflow 0
		.amdhsa_exception_fp_ieee_inexact 0
		.amdhsa_exception_int_div_zero 0
	.end_amdhsa_kernel
	.section	.text._ZN4vllm3moe10topkGatingILi1ELi1ELi4ELi2ELi64Ei14__hip_bfloat16LNS0_11ScoringFuncE1EEEvPKT5_PKbPfiPT4_PiiiibPKf,"axG",@progbits,_ZN4vllm3moe10topkGatingILi1ELi1ELi4ELi2ELi64Ei14__hip_bfloat16LNS0_11ScoringFuncE1EEEvPKT5_PKbPfiPT4_PiiiibPKf,comdat
.Lfunc_end310:
	.size	_ZN4vllm3moe10topkGatingILi1ELi1ELi4ELi2ELi64Ei14__hip_bfloat16LNS0_11ScoringFuncE1EEEvPKT5_PKbPfiPT4_PiiiibPKf, .Lfunc_end310-_ZN4vllm3moe10topkGatingILi1ELi1ELi4ELi2ELi64Ei14__hip_bfloat16LNS0_11ScoringFuncE1EEEvPKT5_PKbPfiPT4_PiiiibPKf
                                        ; -- End function
	.section	.AMDGPU.csdata,"",@progbits
; Kernel info:
; codeLenInByte = 964
; NumSgprs: 24
; NumVgprs: 19
; NumAgprs: 0
; TotalNumVgprs: 19
; ScratchSize: 0
; MemoryBound: 0
; FloatMode: 240
; IeeeMode: 1
; LDSByteSize: 0 bytes/workgroup (compile time only)
; SGPRBlocks: 2
; VGPRBlocks: 2
; NumSGPRsForWavesPerEU: 24
; NumVGPRsForWavesPerEU: 19
; AccumOffset: 20
; Occupancy: 8
; WaveLimiterHint : 0
; COMPUTE_PGM_RSRC2:SCRATCH_EN: 0
; COMPUTE_PGM_RSRC2:USER_SGPR: 6
; COMPUTE_PGM_RSRC2:TRAP_HANDLER: 0
; COMPUTE_PGM_RSRC2:TGID_X_EN: 1
; COMPUTE_PGM_RSRC2:TGID_Y_EN: 0
; COMPUTE_PGM_RSRC2:TGID_Z_EN: 0
; COMPUTE_PGM_RSRC2:TIDIG_COMP_CNT: 1
; COMPUTE_PGM_RSRC3_GFX90A:ACCUM_OFFSET: 4
; COMPUTE_PGM_RSRC3_GFX90A:TG_SPLIT: 0
	.section	.text._ZN4vllm3moe10topkGatingILi1ELi1ELi4ELi2ELi32Ei14__hip_bfloat16LNS0_11ScoringFuncE1EEEvPKT5_PKbPfiPT4_PiiiibPKf,"axG",@progbits,_ZN4vllm3moe10topkGatingILi1ELi1ELi4ELi2ELi32Ei14__hip_bfloat16LNS0_11ScoringFuncE1EEEvPKT5_PKbPfiPT4_PiiiibPKf,comdat
	.protected	_ZN4vllm3moe10topkGatingILi1ELi1ELi4ELi2ELi32Ei14__hip_bfloat16LNS0_11ScoringFuncE1EEEvPKT5_PKbPfiPT4_PiiiibPKf ; -- Begin function _ZN4vllm3moe10topkGatingILi1ELi1ELi4ELi2ELi32Ei14__hip_bfloat16LNS0_11ScoringFuncE1EEEvPKT5_PKbPfiPT4_PiiiibPKf
	.globl	_ZN4vllm3moe10topkGatingILi1ELi1ELi4ELi2ELi32Ei14__hip_bfloat16LNS0_11ScoringFuncE1EEEvPKT5_PKbPfiPT4_PiiiibPKf
	.p2align	8
	.type	_ZN4vllm3moe10topkGatingILi1ELi1ELi4ELi2ELi32Ei14__hip_bfloat16LNS0_11ScoringFuncE1EEEvPKT5_PKbPfiPT4_PiiiibPKf,@function
_ZN4vllm3moe10topkGatingILi1ELi1ELi4ELi2ELi32Ei14__hip_bfloat16LNS0_11ScoringFuncE1EEEvPKT5_PKbPfiPT4_PiiiibPKf: ; @_ZN4vllm3moe10topkGatingILi1ELi1ELi4ELi2ELi32Ei14__hip_bfloat16LNS0_11ScoringFuncE1EEEvPKT5_PKbPfiPT4_PiiiibPKf
; %bb.0:
	s_load_dword s18, s[4:5], 0x18
	v_bfe_u32 v1, v0, 10, 10
	s_lshl_b32 s0, s6, 7
	v_lshlrev_b32_e32 v1, 5, v1
	v_and_b32_e32 v0, 0x3ff, v0
	v_add3_u32 v0, v1, v0, s0
	s_waitcnt lgkmcnt(0)
	v_cmp_gt_i32_e32 vcc, s18, v0
	s_and_saveexec_b64 s[0:1], vcc
	s_cbranch_execz .LBB311_17
; %bb.1:
	s_load_dwordx4 s[12:15], s[4:5], 0x0
	s_load_dwordx2 s[2:3], s[4:5], 0x10
	v_ashrrev_i32_e32 v1, 31, v0
	s_waitcnt lgkmcnt(0)
	s_cmp_eq_u64 s[14:15], 0
	s_cbranch_scc1 .LBB311_3
; %bb.2:
	v_mov_b32_e32 v3, s15
	v_add_co_u32_e32 v2, vcc, s14, v0
	v_addc_co_u32_e32 v3, vcc, v3, v1, vcc
	global_load_ubyte v2, v[2:3], off
	s_waitcnt vmcnt(0)
	v_and_b32_e32 v2, 1, v2
	v_cmp_eq_u32_e32 vcc, 1, v2
	s_xor_b64 s[0:1], vcc, -1
	s_orn2_b64 s[16:17], s[0:1], exec
	s_branch .LBB311_4
.LBB311_3:
	s_mov_b64 s[16:17], -1
.LBB311_4:
	s_load_dwordx4 s[8:11], s[4:5], 0x30
	s_waitcnt lgkmcnt(0)
	s_bitcmp1_b32 s11, 0
	s_cselect_b64 s[0:1], -1, 0
	s_cmp_gt_i32 s8, 0
	s_cselect_b64 s[14:15], -1, 0
	s_cmp_lt_i32 s8, 1
	s_cbranch_scc1 .LBB311_8
; %bb.5:
	v_lshlrev_b64 v[2:3], 1, v[0:1]
	v_mov_b32_e32 v1, s13
	v_add_co_u32_e32 v2, vcc, s12, v2
	v_addc_co_u32_e32 v3, vcc, v1, v3, vcc
	global_load_ushort v4, v[2:3], off
	v_mul_lo_u32 v2, v0, s8
	s_load_dwordx4 s[4:7], s[4:5], 0x20
	s_cmp_lt_i32 s9, 1
	v_ashrrev_i32_e32 v3, 31, v2
	s_cselect_b64 s[12:13], -1, 0
	s_cmp_gt_i32 s10, 0
	v_lshlrev_b64 v[6:7], 2, v[2:3]
	v_mov_b32_e32 v5, s3
	s_cselect_b64 s[10:11], -1, 0
	v_add_co_u32_e32 v2, vcc, s2, v6
	s_sub_i32 s9, 0, s9
	s_and_b64 s[10:11], s[12:13], s[10:11]
	v_addc_co_u32_e32 v3, vcc, v5, v7, vcc
	v_mov_b32_e32 v9, s9
	s_and_b64 vcc, s[16:17], s[10:11]
	v_cndmask_b32_e32 v9, 1, v9, vcc
	s_waitcnt lgkmcnt(0)
	v_mov_b32_e32 v5, s5
	v_mov_b32_e32 v10, s7
	s_movk_i32 s19, 0x1f8
	v_mov_b32_e32 v1, 0
	v_mov_b32_e32 v8, v0
	s_waitcnt vmcnt(0)
	v_lshlrev_b32_e32 v4, 16, v4
	v_mul_f32_e32 v4, 0xbfb8aa3b, v4
	v_exp_f32_e32 v11, v4
	v_add_co_u32_e32 v4, vcc, s4, v6
	v_addc_co_u32_e32 v5, vcc, v5, v7, vcc
	v_add_f32_e32 v11, 1.0, v11
	v_div_scale_f32 v12, s[4:5], v11, v11, 1.0
	v_rcp_f32_e32 v13, v12
	v_add_co_u32_e32 v6, vcc, s6, v6
	v_addc_co_u32_e32 v7, vcc, v10, v7, vcc
	v_fma_f32 v14, -v12, v13, 1.0
	v_div_scale_f32 v10, vcc, 1.0, v11, 1.0
	v_fmac_f32_e32 v13, v14, v13
	v_mul_f32_e32 v14, v10, v13
	v_fma_f32 v15, -v12, v14, v10
	v_fmac_f32_e32 v14, v15, v13
	v_fma_f32 v10, -v12, v14, v10
	v_div_fmas_f32 v10, v10, v13, v14
	v_div_fixup_f32 v10, v10, v11, 1.0
	v_cmp_class_f32_e64 vcc, v10, s19
	v_cndmask_b32_e32 v10, 0, v10, vcc
	s_mov_b32 s4, s8
.LBB311_6:                              ; =>This Inner Loop Header: Depth=1
	global_store_dword v[2:3], v10, off
	global_store_dword v[4:5], v9, off
	;; [unrolled: 1-line block ×3, first 2 shown]
	v_add_co_u32_e32 v2, vcc, 4, v2
	v_addc_co_u32_e32 v3, vcc, 0, v3, vcc
	v_add_co_u32_e32 v4, vcc, 4, v4
	v_addc_co_u32_e32 v5, vcc, 0, v5, vcc
	v_add_f32_e32 v11, v1, v10
	s_add_i32 s4, s4, -1
	v_add_co_u32_e32 v6, vcc, 4, v6
	v_cndmask_b32_e64 v1, v1, v11, s[0:1]
	v_add_u32_e32 v8, s18, v8
	s_cmp_lg_u32 s4, 0
	v_addc_co_u32_e32 v7, vcc, 0, v7, vcc
	s_cbranch_scc1 .LBB311_6
; %bb.7:
	s_andn2_b64 vcc, exec, s[0:1]
	s_cbranch_vccz .LBB311_9
	s_branch .LBB311_17
.LBB311_8:
	v_mov_b32_e32 v1, 0
	s_andn2_b64 vcc, exec, s[0:1]
	s_cbranch_vccnz .LBB311_17
.LBB311_9:
	s_andn2_b64 vcc, exec, s[14:15]
	s_cbranch_vccnz .LBB311_17
; %bb.10:
	v_cmp_lt_f32_e32 vcc, 0, v1
	s_mov_b32 s4, 0
	v_cndmask_b32_e32 v2, 1.0, v1, vcc
	v_mul_lo_u32 v0, v0, s8
	s_cmp_eq_u32 s8, 1
	s_mov_b64 s[0:1], -1
	s_cbranch_scc1 .LBB311_14
; %bb.11:
	s_and_b32 s4, s8, 0x7ffffffe
	v_mov_b32_e32 v1, v2
	v_mov_b32_e32 v3, s3
	s_mov_b32 s5, s4
	v_mov_b32_e32 v4, v0
.LBB311_12:                             ; =>This Inner Loop Header: Depth=1
	v_ashrrev_i32_e32 v5, 31, v4
	v_lshlrev_b64 v[6:7], 2, v[4:5]
	v_add_co_u32_e32 v6, vcc, s2, v6
	v_addc_co_u32_e32 v7, vcc, v3, v7, vcc
	global_load_dwordx2 v[8:9], v[6:7], off
	s_add_i32 s5, s5, -2
	s_cmp_lg_u32 s5, 0
	v_add_u32_e32 v4, 2, v4
	s_waitcnt vmcnt(0)
	v_div_scale_f32 v5, s[0:1], v1, v1, v9
	v_div_scale_f32 v11, s[0:1], v2, v2, v8
	v_rcp_f32_e32 v12, v5
	v_rcp_f32_e32 v13, v11
	v_div_scale_f32 v10, vcc, v9, v1, v9
	v_fma_f32 v15, -v5, v12, 1.0
	v_fma_f32 v16, -v11, v13, 1.0
	v_fmac_f32_e32 v12, v15, v12
	v_div_scale_f32 v14, s[0:1], v8, v2, v8
	v_fmac_f32_e32 v13, v16, v13
	v_mul_f32_e32 v15, v10, v12
	v_mul_f32_e32 v16, v14, v13
	v_fma_f32 v17, -v5, v15, v10
	v_fma_f32 v18, -v11, v16, v14
	v_fmac_f32_e32 v15, v17, v12
	v_fmac_f32_e32 v16, v18, v13
	v_fma_f32 v5, -v5, v15, v10
	v_fma_f32 v10, -v11, v16, v14
	v_div_fmas_f32 v5, v5, v12, v15
	s_mov_b64 vcc, s[0:1]
	v_div_fixup_f32 v9, v5, v1, v9
	v_div_fmas_f32 v5, v10, v13, v16
	v_div_fixup_f32 v8, v5, v2, v8
	global_store_dwordx2 v[6:7], v[8:9], off
	s_cbranch_scc1 .LBB311_12
; %bb.13:
	s_cmp_lg_u32 s4, s8
	s_cselect_b64 s[0:1], -1, 0
.LBB311_14:
	s_and_b64 vcc, exec, s[0:1]
	s_cbranch_vccz .LBB311_17
; %bb.15:
	v_ashrrev_i32_e32 v1, 31, v0
	v_add_co_u32_e32 v0, vcc, s4, v0
	v_addc_co_u32_e32 v1, vcc, 0, v1, vcc
	v_lshlrev_b64 v[0:1], 2, v[0:1]
	v_mov_b32_e32 v3, s3
	v_add_co_u32_e32 v0, vcc, s2, v0
	s_sub_i32 s0, s8, s4
	v_addc_co_u32_e32 v1, vcc, v3, v1, vcc
.LBB311_16:                             ; =>This Inner Loop Header: Depth=1
	global_load_dword v3, v[0:1], off
	s_add_i32 s0, s0, -1
	s_cmp_lg_u32 s0, 0
	s_waitcnt vmcnt(0)
	v_div_scale_f32 v4, s[2:3], v2, v2, v3
	v_rcp_f32_e32 v5, v4
	v_div_scale_f32 v6, vcc, v3, v2, v3
	v_fma_f32 v7, -v4, v5, 1.0
	v_fmac_f32_e32 v5, v7, v5
	v_mul_f32_e32 v7, v6, v5
	v_fma_f32 v8, -v4, v7, v6
	v_fmac_f32_e32 v7, v8, v5
	v_fma_f32 v4, -v4, v7, v6
	v_div_fmas_f32 v4, v4, v5, v7
	v_div_fixup_f32 v3, v4, v2, v3
	global_store_dword v[0:1], v3, off
	v_add_co_u32_e32 v0, vcc, 4, v0
	v_addc_co_u32_e32 v1, vcc, 0, v1, vcc
	s_cbranch_scc1 .LBB311_16
.LBB311_17:
	s_endpgm
	.section	.rodata,"a",@progbits
	.p2align	6, 0x0
	.amdhsa_kernel _ZN4vllm3moe10topkGatingILi1ELi1ELi4ELi2ELi32Ei14__hip_bfloat16LNS0_11ScoringFuncE1EEEvPKT5_PKbPfiPT4_PiiiibPKf
		.amdhsa_group_segment_fixed_size 0
		.amdhsa_private_segment_fixed_size 0
		.amdhsa_kernarg_size 72
		.amdhsa_user_sgpr_count 6
		.amdhsa_user_sgpr_private_segment_buffer 1
		.amdhsa_user_sgpr_dispatch_ptr 0
		.amdhsa_user_sgpr_queue_ptr 0
		.amdhsa_user_sgpr_kernarg_segment_ptr 1
		.amdhsa_user_sgpr_dispatch_id 0
		.amdhsa_user_sgpr_flat_scratch_init 0
		.amdhsa_user_sgpr_kernarg_preload_length 0
		.amdhsa_user_sgpr_kernarg_preload_offset 0
		.amdhsa_user_sgpr_private_segment_size 0
		.amdhsa_uses_dynamic_stack 0
		.amdhsa_system_sgpr_private_segment_wavefront_offset 0
		.amdhsa_system_sgpr_workgroup_id_x 1
		.amdhsa_system_sgpr_workgroup_id_y 0
		.amdhsa_system_sgpr_workgroup_id_z 0
		.amdhsa_system_sgpr_workgroup_info 0
		.amdhsa_system_vgpr_workitem_id 1
		.amdhsa_next_free_vgpr 19
		.amdhsa_next_free_sgpr 20
		.amdhsa_accum_offset 20
		.amdhsa_reserve_vcc 1
		.amdhsa_reserve_flat_scratch 0
		.amdhsa_float_round_mode_32 0
		.amdhsa_float_round_mode_16_64 0
		.amdhsa_float_denorm_mode_32 3
		.amdhsa_float_denorm_mode_16_64 3
		.amdhsa_dx10_clamp 1
		.amdhsa_ieee_mode 1
		.amdhsa_fp16_overflow 0
		.amdhsa_tg_split 0
		.amdhsa_exception_fp_ieee_invalid_op 0
		.amdhsa_exception_fp_denorm_src 0
		.amdhsa_exception_fp_ieee_div_zero 0
		.amdhsa_exception_fp_ieee_overflow 0
		.amdhsa_exception_fp_ieee_underflow 0
		.amdhsa_exception_fp_ieee_inexact 0
		.amdhsa_exception_int_div_zero 0
	.end_amdhsa_kernel
	.section	.text._ZN4vllm3moe10topkGatingILi1ELi1ELi4ELi2ELi32Ei14__hip_bfloat16LNS0_11ScoringFuncE1EEEvPKT5_PKbPfiPT4_PiiiibPKf,"axG",@progbits,_ZN4vllm3moe10topkGatingILi1ELi1ELi4ELi2ELi32Ei14__hip_bfloat16LNS0_11ScoringFuncE1EEEvPKT5_PKbPfiPT4_PiiiibPKf,comdat
.Lfunc_end311:
	.size	_ZN4vllm3moe10topkGatingILi1ELi1ELi4ELi2ELi32Ei14__hip_bfloat16LNS0_11ScoringFuncE1EEEvPKT5_PKbPfiPT4_PiiiibPKf, .Lfunc_end311-_ZN4vllm3moe10topkGatingILi1ELi1ELi4ELi2ELi32Ei14__hip_bfloat16LNS0_11ScoringFuncE1EEEvPKT5_PKbPfiPT4_PiiiibPKf
                                        ; -- End function
	.section	.AMDGPU.csdata,"",@progbits
; Kernel info:
; codeLenInByte = 964
; NumSgprs: 24
; NumVgprs: 19
; NumAgprs: 0
; TotalNumVgprs: 19
; ScratchSize: 0
; MemoryBound: 0
; FloatMode: 240
; IeeeMode: 1
; LDSByteSize: 0 bytes/workgroup (compile time only)
; SGPRBlocks: 2
; VGPRBlocks: 2
; NumSGPRsForWavesPerEU: 24
; NumVGPRsForWavesPerEU: 19
; AccumOffset: 20
; Occupancy: 8
; WaveLimiterHint : 0
; COMPUTE_PGM_RSRC2:SCRATCH_EN: 0
; COMPUTE_PGM_RSRC2:USER_SGPR: 6
; COMPUTE_PGM_RSRC2:TRAP_HANDLER: 0
; COMPUTE_PGM_RSRC2:TGID_X_EN: 1
; COMPUTE_PGM_RSRC2:TGID_Y_EN: 0
; COMPUTE_PGM_RSRC2:TGID_Z_EN: 0
; COMPUTE_PGM_RSRC2:TIDIG_COMP_CNT: 1
; COMPUTE_PGM_RSRC3_GFX90A:ACCUM_OFFSET: 4
; COMPUTE_PGM_RSRC3_GFX90A:TG_SPLIT: 0
	.section	.text._ZN4vllm3moe10topkGatingILi2ELi2ELi4ELi4ELi64Ei14__hip_bfloat16LNS0_11ScoringFuncE1EEEvPKT5_PKbPfiPT4_PiiiibPKf,"axG",@progbits,_ZN4vllm3moe10topkGatingILi2ELi2ELi4ELi4ELi64Ei14__hip_bfloat16LNS0_11ScoringFuncE1EEEvPKT5_PKbPfiPT4_PiiiibPKf,comdat
	.protected	_ZN4vllm3moe10topkGatingILi2ELi2ELi4ELi4ELi64Ei14__hip_bfloat16LNS0_11ScoringFuncE1EEEvPKT5_PKbPfiPT4_PiiiibPKf ; -- Begin function _ZN4vllm3moe10topkGatingILi2ELi2ELi4ELi4ELi64Ei14__hip_bfloat16LNS0_11ScoringFuncE1EEEvPKT5_PKbPfiPT4_PiiiibPKf
	.globl	_ZN4vllm3moe10topkGatingILi2ELi2ELi4ELi4ELi64Ei14__hip_bfloat16LNS0_11ScoringFuncE1EEEvPKT5_PKbPfiPT4_PiiiibPKf
	.p2align	8
	.type	_ZN4vllm3moe10topkGatingILi2ELi2ELi4ELi4ELi64Ei14__hip_bfloat16LNS0_11ScoringFuncE1EEEvPKT5_PKbPfiPT4_PiiiibPKf,@function
_ZN4vllm3moe10topkGatingILi2ELi2ELi4ELi4ELi64Ei14__hip_bfloat16LNS0_11ScoringFuncE1EEEvPKT5_PKbPfiPT4_PiiiibPKf: ; @_ZN4vllm3moe10topkGatingILi2ELi2ELi4ELi4ELi64Ei14__hip_bfloat16LNS0_11ScoringFuncE1EEEvPKT5_PKbPfiPT4_PiiiibPKf
; %bb.0:
	s_load_dword s16, s[4:5], 0x18
	v_bfe_u32 v1, v0, 10, 10
	s_lshl_b32 s0, s6, 8
	v_lshlrev_b32_e32 v1, 6, v1
	v_and_b32_e32 v0, 0x3ff, v0
	v_add3_u32 v10, v1, v0, s0
	s_waitcnt lgkmcnt(0)
	v_cmp_gt_i32_e32 vcc, s16, v10
	s_and_saveexec_b64 s[0:1], vcc
	s_cbranch_execz .LBB312_19
; %bb.1:
	s_load_dwordx4 s[0:3], s[4:5], 0x0
	s_load_dwordx2 s[6:7], s[4:5], 0x10
	s_waitcnt lgkmcnt(0)
	s_cmp_eq_u64 s[2:3], 0
	s_cbranch_scc1 .LBB312_3
; %bb.2:
	v_ashrrev_i32_e32 v1, 31, v10
	v_mov_b32_e32 v2, s3
	v_add_co_u32_e32 v0, vcc, s2, v10
	v_addc_co_u32_e32 v1, vcc, v2, v1, vcc
	global_load_ubyte v0, v[0:1], off
	s_waitcnt vmcnt(0)
	v_and_b32_e32 v0, 1, v0
	v_cmp_eq_u32_e32 vcc, 1, v0
	s_xor_b64 s[2:3], vcc, -1
	s_orn2_b64 s[12:13], s[2:3], exec
	s_branch .LBB312_4
.LBB312_3:
	s_mov_b64 s[12:13], -1
.LBB312_4:
	v_lshlrev_b32_e32 v0, 1, v10
	v_ashrrev_i32_e32 v1, 31, v0
	v_lshlrev_b64 v[0:1], 1, v[0:1]
	v_mov_b32_e32 v2, s1
	v_add_co_u32_e32 v0, vcc, s0, v0
	v_addc_co_u32_e32 v1, vcc, v2, v1, vcc
	global_load_dword v0, v[0:1], off
	s_load_dwordx2 s[2:3], s[4:5], 0x40
	s_movk_i32 s8, 0x1f8
	s_waitcnt lgkmcnt(0)
	s_cmp_eq_u64 s[2:3], 0
	s_waitcnt vmcnt(0)
	v_and_b32_e32 v1, 0xffff0000, v0
	v_lshlrev_b32_e32 v0, 16, v0
	v_mul_f32_e32 v0, 0xbfb8aa3b, v0
	v_mul_f32_e32 v1, 0xbfb8aa3b, v1
	v_exp_f32_e32 v0, v0
	v_exp_f32_e32 v1, v1
	v_pk_add_f32 v[0:1], v[0:1], 1.0 op_sel_hi:[1,0]
	v_div_scale_f32 v2, s[0:1], v1, v1, 1.0
	v_div_scale_f32 v4, s[0:1], v0, v0, 1.0
	v_rcp_f32_e32 v5, v2
	v_rcp_f32_e32 v6, v4
	v_div_scale_f32 v3, vcc, 1.0, v1, 1.0
	v_fma_f32 v8, -v2, v5, 1.0
	v_fma_f32 v9, -v4, v6, 1.0
	v_fmac_f32_e32 v5, v8, v5
	v_div_scale_f32 v7, s[0:1], 1.0, v0, 1.0
	v_fmac_f32_e32 v6, v9, v6
	v_mul_f32_e32 v8, v3, v5
	v_mul_f32_e32 v9, v7, v6
	v_fma_f32 v11, -v2, v8, v3
	v_fma_f32 v12, -v4, v9, v7
	v_fmac_f32_e32 v8, v11, v5
	v_fmac_f32_e32 v9, v12, v6
	v_fma_f32 v2, -v2, v8, v3
	v_fma_f32 v3, -v4, v9, v7
	v_div_fmas_f32 v2, v2, v5, v8
	s_mov_b64 vcc, s[0:1]
	v_div_fixup_f32 v1, v2, v1, 1.0
	v_div_fmas_f32 v2, v3, v6, v9
	v_div_fixup_f32 v0, v2, v0, 1.0
	v_cmp_class_f32_e64 vcc, v1, s8
	v_cndmask_b32_e32 v1, 0, v1, vcc
	v_cmp_class_f32_e64 vcc, v0, s8
	v_cndmask_b32_e32 v0, 0, v0, vcc
	v_pk_mov_b32 v[2:3], v[0:1], v[0:1] op_sel:[0,1]
	s_cbranch_scc1 .LBB312_6
; %bb.5:
	s_load_dwordx2 s[0:1], s[2:3], 0x0
	s_waitcnt lgkmcnt(0)
	v_pk_add_f32 v[2:3], v[0:1], s[0:1]
.LBB312_6:
	s_load_dwordx4 s[8:11], s[4:5], 0x30
	s_waitcnt lgkmcnt(0)
	s_bitcmp1_b32 s11, 0
	s_cselect_b64 vcc, -1, 0
	s_cmp_gt_i32 s8, 0
	s_cselect_b64 s[14:15], -1, 0
	s_cmp_lt_i32 s8, 1
	s_cbranch_scc1 .LBB312_10
; %bb.7:
	s_load_dwordx4 s[20:23], s[4:5], 0x20
	v_mul_lo_u32 v4, v10, s8
	v_ashrrev_i32_e32 v5, 31, v4
	v_lshlrev_b64 v[8:9], 2, v[4:5]
	v_mov_b32_e32 v5, s7
	v_add_co_u32_e64 v4, s[0:1], s6, v8
	v_addc_co_u32_e64 v5, s[0:1], v5, v9, s[0:1]
	s_waitcnt lgkmcnt(0)
	v_mov_b32_e32 v7, s21
	v_add_co_u32_e64 v6, s[0:1], s20, v8
	v_addc_co_u32_e64 v7, s[0:1], v7, v9, s[0:1]
	v_mov_b32_e32 v11, s23
	v_add_co_u32_e64 v8, s[0:1], s22, v8
	v_addc_co_u32_e64 v9, s[0:1], v11, v9, s[0:1]
	s_mov_b32 s11, 0
	v_mov_b32_e32 v11, 0
	v_mov_b32_e32 v12, 0xc61c4000
	;; [unrolled: 1-line block ×3, first 2 shown]
.LBB312_8:                              ; =>This Inner Loop Header: Depth=1
	v_cmp_gt_f32_e64 s[0:1], v3, v2
	v_cndmask_b32_e64 v14, 0, 1, s[0:1]
	v_cmp_le_i32_e64 s[2:3], s9, v14
	v_cmp_gt_i32_e64 s[4:5], s10, v14
	s_and_b64 s[2:3], s[2:3], s[4:5]
	v_subrev_u32_e32 v14, s9, v14
	s_and_b64 s[2:3], s[12:13], s[2:3]
	v_cndmask_b32_e64 v15, v0, v1, s[0:1]
	v_cndmask_b32_e64 v14, 2, v14, s[2:3]
	s_add_i32 s11, s11, 1
	global_store_dword v[4:5], v15, off
	global_store_dword v[6:7], v14, off
	;; [unrolled: 1-line block ×3, first 2 shown]
	v_add_f32_e32 v14, v11, v15
	s_cmp_lt_i32 s11, s8
	v_cndmask_b32_e32 v11, v11, v14, vcc
	v_cndmask_b32_e64 v14, v12, v2, s[0:1]
	v_cndmask_b32_e64 v15, v3, v12, s[0:1]
	s_cselect_b64 s[0:1], -1, 0
	v_cndmask_b32_e64 v3, v3, v15, s[0:1]
	v_cndmask_b32_e64 v2, v2, v14, s[0:1]
	v_add_co_u32_e64 v4, s[0:1], 4, v4
	v_addc_co_u32_e64 v5, s[0:1], 0, v5, s[0:1]
	v_add_co_u32_e64 v6, s[0:1], 4, v6
	v_addc_co_u32_e64 v7, s[0:1], 0, v7, s[0:1]
	v_add_co_u32_e64 v8, s[0:1], 4, v8
	v_add_u32_e32 v13, s16, v13
	s_cmp_eq_u32 s8, s11
	v_addc_co_u32_e64 v9, s[0:1], 0, v9, s[0:1]
	s_cbranch_scc0 .LBB312_8
; %bb.9:
	s_and_b64 vcc, exec, vcc
	s_cbranch_vccnz .LBB312_11
	s_branch .LBB312_19
.LBB312_10:
	v_mov_b32_e32 v11, 0
	s_and_b64 vcc, exec, vcc
	s_cbranch_vccz .LBB312_19
.LBB312_11:
	s_andn2_b64 vcc, exec, s[14:15]
	s_cbranch_vccnz .LBB312_19
; %bb.12:
	v_cmp_lt_f32_e32 vcc, 0, v11
	s_mov_b32 s2, 0
	v_cndmask_b32_e32 v0, 1.0, v11, vcc
	v_mul_lo_u32 v4, v10, s8
	s_cmp_eq_u32 s8, 1
	s_mov_b64 s[0:1], -1
	s_cbranch_scc1 .LBB312_16
; %bb.13:
	s_and_b32 s2, s8, 0x7ffffffe
	v_mov_b32_e32 v1, v0
	v_mov_b32_e32 v5, s7
	s_mov_b32 s3, s2
	v_mov_b32_e32 v2, v4
.LBB312_14:                             ; =>This Inner Loop Header: Depth=1
	v_ashrrev_i32_e32 v3, 31, v2
	v_lshlrev_b64 v[6:7], 2, v[2:3]
	v_add_co_u32_e32 v6, vcc, s6, v6
	v_addc_co_u32_e32 v7, vcc, v5, v7, vcc
	global_load_dwordx2 v[8:9], v[6:7], off
	s_add_i32 s3, s3, -2
	s_cmp_lg_u32 s3, 0
	v_add_u32_e32 v2, 2, v2
	s_waitcnt vmcnt(0)
	v_div_scale_f32 v3, s[0:1], v1, v1, v9
	v_div_scale_f32 v11, s[0:1], v0, v0, v8
	v_rcp_f32_e32 v12, v3
	v_rcp_f32_e32 v13, v11
	v_div_scale_f32 v10, vcc, v9, v1, v9
	v_fma_f32 v15, -v3, v12, 1.0
	v_fma_f32 v16, -v11, v13, 1.0
	v_fmac_f32_e32 v12, v15, v12
	v_div_scale_f32 v14, s[0:1], v8, v0, v8
	v_fmac_f32_e32 v13, v16, v13
	v_mul_f32_e32 v15, v10, v12
	v_mul_f32_e32 v16, v14, v13
	v_fma_f32 v17, -v3, v15, v10
	v_fma_f32 v18, -v11, v16, v14
	v_fmac_f32_e32 v15, v17, v12
	v_fmac_f32_e32 v16, v18, v13
	v_fma_f32 v3, -v3, v15, v10
	v_fma_f32 v10, -v11, v16, v14
	v_div_fmas_f32 v3, v3, v12, v15
	s_mov_b64 vcc, s[0:1]
	v_div_fixup_f32 v9, v3, v1, v9
	v_div_fmas_f32 v3, v10, v13, v16
	v_div_fixup_f32 v8, v3, v0, v8
	global_store_dwordx2 v[6:7], v[8:9], off
	s_cbranch_scc1 .LBB312_14
; %bb.15:
	s_cmp_lg_u32 s2, s8
	s_cselect_b64 s[0:1], -1, 0
.LBB312_16:
	s_and_b64 vcc, exec, s[0:1]
	s_cbranch_vccz .LBB312_19
; %bb.17:
	v_ashrrev_i32_e32 v1, 31, v4
	v_add_co_u32_e32 v2, vcc, s2, v4
	v_addc_co_u32_e32 v3, vcc, 0, v1, vcc
	v_lshlrev_b64 v[2:3], 2, v[2:3]
	v_mov_b32_e32 v1, s7
	v_add_co_u32_e32 v2, vcc, s6, v2
	s_sub_i32 s0, s8, s2
	v_addc_co_u32_e32 v3, vcc, v1, v3, vcc
.LBB312_18:                             ; =>This Inner Loop Header: Depth=1
	global_load_dword v1, v[2:3], off
	s_add_i32 s0, s0, -1
	s_cmp_lg_u32 s0, 0
	s_waitcnt vmcnt(0)
	v_div_scale_f32 v4, s[2:3], v0, v0, v1
	v_rcp_f32_e32 v5, v4
	v_div_scale_f32 v6, vcc, v1, v0, v1
	v_fma_f32 v7, -v4, v5, 1.0
	v_fmac_f32_e32 v5, v7, v5
	v_mul_f32_e32 v7, v6, v5
	v_fma_f32 v8, -v4, v7, v6
	v_fmac_f32_e32 v7, v8, v5
	v_fma_f32 v4, -v4, v7, v6
	v_div_fmas_f32 v4, v4, v5, v7
	v_div_fixup_f32 v1, v4, v0, v1
	global_store_dword v[2:3], v1, off
	v_add_co_u32_e32 v2, vcc, 4, v2
	v_addc_co_u32_e32 v3, vcc, 0, v3, vcc
	s_cbranch_scc1 .LBB312_18
.LBB312_19:
	s_endpgm
	.section	.rodata,"a",@progbits
	.p2align	6, 0x0
	.amdhsa_kernel _ZN4vllm3moe10topkGatingILi2ELi2ELi4ELi4ELi64Ei14__hip_bfloat16LNS0_11ScoringFuncE1EEEvPKT5_PKbPfiPT4_PiiiibPKf
		.amdhsa_group_segment_fixed_size 0
		.amdhsa_private_segment_fixed_size 0
		.amdhsa_kernarg_size 72
		.amdhsa_user_sgpr_count 6
		.amdhsa_user_sgpr_private_segment_buffer 1
		.amdhsa_user_sgpr_dispatch_ptr 0
		.amdhsa_user_sgpr_queue_ptr 0
		.amdhsa_user_sgpr_kernarg_segment_ptr 1
		.amdhsa_user_sgpr_dispatch_id 0
		.amdhsa_user_sgpr_flat_scratch_init 0
		.amdhsa_user_sgpr_kernarg_preload_length 0
		.amdhsa_user_sgpr_kernarg_preload_offset 0
		.amdhsa_user_sgpr_private_segment_size 0
		.amdhsa_uses_dynamic_stack 0
		.amdhsa_system_sgpr_private_segment_wavefront_offset 0
		.amdhsa_system_sgpr_workgroup_id_x 1
		.amdhsa_system_sgpr_workgroup_id_y 0
		.amdhsa_system_sgpr_workgroup_id_z 0
		.amdhsa_system_sgpr_workgroup_info 0
		.amdhsa_system_vgpr_workitem_id 1
		.amdhsa_next_free_vgpr 19
		.amdhsa_next_free_sgpr 24
		.amdhsa_accum_offset 20
		.amdhsa_reserve_vcc 1
		.amdhsa_reserve_flat_scratch 0
		.amdhsa_float_round_mode_32 0
		.amdhsa_float_round_mode_16_64 0
		.amdhsa_float_denorm_mode_32 3
		.amdhsa_float_denorm_mode_16_64 3
		.amdhsa_dx10_clamp 1
		.amdhsa_ieee_mode 1
		.amdhsa_fp16_overflow 0
		.amdhsa_tg_split 0
		.amdhsa_exception_fp_ieee_invalid_op 0
		.amdhsa_exception_fp_denorm_src 0
		.amdhsa_exception_fp_ieee_div_zero 0
		.amdhsa_exception_fp_ieee_overflow 0
		.amdhsa_exception_fp_ieee_underflow 0
		.amdhsa_exception_fp_ieee_inexact 0
		.amdhsa_exception_int_div_zero 0
	.end_amdhsa_kernel
	.section	.text._ZN4vllm3moe10topkGatingILi2ELi2ELi4ELi4ELi64Ei14__hip_bfloat16LNS0_11ScoringFuncE1EEEvPKT5_PKbPfiPT4_PiiiibPKf,"axG",@progbits,_ZN4vllm3moe10topkGatingILi2ELi2ELi4ELi4ELi64Ei14__hip_bfloat16LNS0_11ScoringFuncE1EEEvPKT5_PKbPfiPT4_PiiiibPKf,comdat
.Lfunc_end312:
	.size	_ZN4vllm3moe10topkGatingILi2ELi2ELi4ELi4ELi64Ei14__hip_bfloat16LNS0_11ScoringFuncE1EEEvPKT5_PKbPfiPT4_PiiiibPKf, .Lfunc_end312-_ZN4vllm3moe10topkGatingILi2ELi2ELi4ELi4ELi64Ei14__hip_bfloat16LNS0_11ScoringFuncE1EEEvPKT5_PKbPfiPT4_PiiiibPKf
                                        ; -- End function
	.section	.AMDGPU.csdata,"",@progbits
; Kernel info:
; codeLenInByte = 1248
; NumSgprs: 28
; NumVgprs: 19
; NumAgprs: 0
; TotalNumVgprs: 19
; ScratchSize: 0
; MemoryBound: 1
; FloatMode: 240
; IeeeMode: 1
; LDSByteSize: 0 bytes/workgroup (compile time only)
; SGPRBlocks: 3
; VGPRBlocks: 2
; NumSGPRsForWavesPerEU: 28
; NumVGPRsForWavesPerEU: 19
; AccumOffset: 20
; Occupancy: 8
; WaveLimiterHint : 0
; COMPUTE_PGM_RSRC2:SCRATCH_EN: 0
; COMPUTE_PGM_RSRC2:USER_SGPR: 6
; COMPUTE_PGM_RSRC2:TRAP_HANDLER: 0
; COMPUTE_PGM_RSRC2:TGID_X_EN: 1
; COMPUTE_PGM_RSRC2:TGID_Y_EN: 0
; COMPUTE_PGM_RSRC2:TGID_Z_EN: 0
; COMPUTE_PGM_RSRC2:TIDIG_COMP_CNT: 1
; COMPUTE_PGM_RSRC3_GFX90A:ACCUM_OFFSET: 4
; COMPUTE_PGM_RSRC3_GFX90A:TG_SPLIT: 0
	.section	.text._ZN4vllm3moe10topkGatingILi2ELi2ELi4ELi4ELi32Ei14__hip_bfloat16LNS0_11ScoringFuncE1EEEvPKT5_PKbPfiPT4_PiiiibPKf,"axG",@progbits,_ZN4vllm3moe10topkGatingILi2ELi2ELi4ELi4ELi32Ei14__hip_bfloat16LNS0_11ScoringFuncE1EEEvPKT5_PKbPfiPT4_PiiiibPKf,comdat
	.protected	_ZN4vllm3moe10topkGatingILi2ELi2ELi4ELi4ELi32Ei14__hip_bfloat16LNS0_11ScoringFuncE1EEEvPKT5_PKbPfiPT4_PiiiibPKf ; -- Begin function _ZN4vllm3moe10topkGatingILi2ELi2ELi4ELi4ELi32Ei14__hip_bfloat16LNS0_11ScoringFuncE1EEEvPKT5_PKbPfiPT4_PiiiibPKf
	.globl	_ZN4vllm3moe10topkGatingILi2ELi2ELi4ELi4ELi32Ei14__hip_bfloat16LNS0_11ScoringFuncE1EEEvPKT5_PKbPfiPT4_PiiiibPKf
	.p2align	8
	.type	_ZN4vllm3moe10topkGatingILi2ELi2ELi4ELi4ELi32Ei14__hip_bfloat16LNS0_11ScoringFuncE1EEEvPKT5_PKbPfiPT4_PiiiibPKf,@function
_ZN4vllm3moe10topkGatingILi2ELi2ELi4ELi4ELi32Ei14__hip_bfloat16LNS0_11ScoringFuncE1EEEvPKT5_PKbPfiPT4_PiiiibPKf: ; @_ZN4vllm3moe10topkGatingILi2ELi2ELi4ELi4ELi32Ei14__hip_bfloat16LNS0_11ScoringFuncE1EEEvPKT5_PKbPfiPT4_PiiiibPKf
; %bb.0:
	s_load_dword s16, s[4:5], 0x18
	v_bfe_u32 v1, v0, 10, 10
	s_lshl_b32 s0, s6, 7
	v_lshlrev_b32_e32 v1, 5, v1
	v_and_b32_e32 v0, 0x3ff, v0
	v_add3_u32 v10, v1, v0, s0
	s_waitcnt lgkmcnt(0)
	v_cmp_gt_i32_e32 vcc, s16, v10
	s_and_saveexec_b64 s[0:1], vcc
	s_cbranch_execz .LBB313_19
; %bb.1:
	s_load_dwordx4 s[0:3], s[4:5], 0x0
	s_load_dwordx2 s[6:7], s[4:5], 0x10
	s_waitcnt lgkmcnt(0)
	s_cmp_eq_u64 s[2:3], 0
	s_cbranch_scc1 .LBB313_3
; %bb.2:
	v_ashrrev_i32_e32 v1, 31, v10
	v_mov_b32_e32 v2, s3
	v_add_co_u32_e32 v0, vcc, s2, v10
	v_addc_co_u32_e32 v1, vcc, v2, v1, vcc
	global_load_ubyte v0, v[0:1], off
	s_waitcnt vmcnt(0)
	v_and_b32_e32 v0, 1, v0
	v_cmp_eq_u32_e32 vcc, 1, v0
	s_xor_b64 s[2:3], vcc, -1
	s_orn2_b64 s[12:13], s[2:3], exec
	s_branch .LBB313_4
.LBB313_3:
	s_mov_b64 s[12:13], -1
.LBB313_4:
	v_lshlrev_b32_e32 v0, 1, v10
	v_ashrrev_i32_e32 v1, 31, v0
	v_lshlrev_b64 v[0:1], 1, v[0:1]
	v_mov_b32_e32 v2, s1
	v_add_co_u32_e32 v0, vcc, s0, v0
	v_addc_co_u32_e32 v1, vcc, v2, v1, vcc
	global_load_dword v0, v[0:1], off
	s_load_dwordx2 s[2:3], s[4:5], 0x40
	s_movk_i32 s8, 0x1f8
	s_waitcnt lgkmcnt(0)
	s_cmp_eq_u64 s[2:3], 0
	s_waitcnt vmcnt(0)
	v_and_b32_e32 v1, 0xffff0000, v0
	v_lshlrev_b32_e32 v0, 16, v0
	v_mul_f32_e32 v0, 0xbfb8aa3b, v0
	v_mul_f32_e32 v1, 0xbfb8aa3b, v1
	v_exp_f32_e32 v0, v0
	v_exp_f32_e32 v1, v1
	v_pk_add_f32 v[0:1], v[0:1], 1.0 op_sel_hi:[1,0]
	v_div_scale_f32 v2, s[0:1], v1, v1, 1.0
	v_div_scale_f32 v4, s[0:1], v0, v0, 1.0
	v_rcp_f32_e32 v5, v2
	v_rcp_f32_e32 v6, v4
	v_div_scale_f32 v3, vcc, 1.0, v1, 1.0
	v_fma_f32 v8, -v2, v5, 1.0
	v_fma_f32 v9, -v4, v6, 1.0
	v_fmac_f32_e32 v5, v8, v5
	v_div_scale_f32 v7, s[0:1], 1.0, v0, 1.0
	v_fmac_f32_e32 v6, v9, v6
	v_mul_f32_e32 v8, v3, v5
	v_mul_f32_e32 v9, v7, v6
	v_fma_f32 v11, -v2, v8, v3
	v_fma_f32 v12, -v4, v9, v7
	v_fmac_f32_e32 v8, v11, v5
	v_fmac_f32_e32 v9, v12, v6
	v_fma_f32 v2, -v2, v8, v3
	v_fma_f32 v3, -v4, v9, v7
	v_div_fmas_f32 v2, v2, v5, v8
	s_mov_b64 vcc, s[0:1]
	v_div_fixup_f32 v1, v2, v1, 1.0
	v_div_fmas_f32 v2, v3, v6, v9
	v_div_fixup_f32 v0, v2, v0, 1.0
	v_cmp_class_f32_e64 vcc, v1, s8
	v_cndmask_b32_e32 v1, 0, v1, vcc
	v_cmp_class_f32_e64 vcc, v0, s8
	v_cndmask_b32_e32 v0, 0, v0, vcc
	v_pk_mov_b32 v[2:3], v[0:1], v[0:1] op_sel:[0,1]
	s_cbranch_scc1 .LBB313_6
; %bb.5:
	s_load_dwordx2 s[0:1], s[2:3], 0x0
	s_waitcnt lgkmcnt(0)
	v_pk_add_f32 v[2:3], v[0:1], s[0:1]
.LBB313_6:
	s_load_dwordx4 s[8:11], s[4:5], 0x30
	s_waitcnt lgkmcnt(0)
	s_bitcmp1_b32 s11, 0
	s_cselect_b64 vcc, -1, 0
	s_cmp_gt_i32 s8, 0
	s_cselect_b64 s[14:15], -1, 0
	s_cmp_lt_i32 s8, 1
	s_cbranch_scc1 .LBB313_10
; %bb.7:
	s_load_dwordx4 s[20:23], s[4:5], 0x20
	v_mul_lo_u32 v4, v10, s8
	v_ashrrev_i32_e32 v5, 31, v4
	v_lshlrev_b64 v[8:9], 2, v[4:5]
	v_mov_b32_e32 v5, s7
	v_add_co_u32_e64 v4, s[0:1], s6, v8
	v_addc_co_u32_e64 v5, s[0:1], v5, v9, s[0:1]
	s_waitcnt lgkmcnt(0)
	v_mov_b32_e32 v7, s21
	v_add_co_u32_e64 v6, s[0:1], s20, v8
	v_addc_co_u32_e64 v7, s[0:1], v7, v9, s[0:1]
	v_mov_b32_e32 v11, s23
	v_add_co_u32_e64 v8, s[0:1], s22, v8
	v_addc_co_u32_e64 v9, s[0:1], v11, v9, s[0:1]
	s_mov_b32 s11, 0
	v_mov_b32_e32 v11, 0
	v_mov_b32_e32 v12, 0xc61c4000
	;; [unrolled: 1-line block ×3, first 2 shown]
.LBB313_8:                              ; =>This Inner Loop Header: Depth=1
	v_cmp_gt_f32_e64 s[0:1], v3, v2
	v_cndmask_b32_e64 v14, 0, 1, s[0:1]
	v_cmp_le_i32_e64 s[2:3], s9, v14
	v_cmp_gt_i32_e64 s[4:5], s10, v14
	s_and_b64 s[2:3], s[2:3], s[4:5]
	v_subrev_u32_e32 v14, s9, v14
	s_and_b64 s[2:3], s[12:13], s[2:3]
	v_cndmask_b32_e64 v15, v0, v1, s[0:1]
	v_cndmask_b32_e64 v14, 2, v14, s[2:3]
	s_add_i32 s11, s11, 1
	global_store_dword v[4:5], v15, off
	global_store_dword v[6:7], v14, off
	;; [unrolled: 1-line block ×3, first 2 shown]
	v_add_f32_e32 v14, v11, v15
	s_cmp_lt_i32 s11, s8
	v_cndmask_b32_e32 v11, v11, v14, vcc
	v_cndmask_b32_e64 v14, v12, v2, s[0:1]
	v_cndmask_b32_e64 v15, v3, v12, s[0:1]
	s_cselect_b64 s[0:1], -1, 0
	v_cndmask_b32_e64 v3, v3, v15, s[0:1]
	v_cndmask_b32_e64 v2, v2, v14, s[0:1]
	v_add_co_u32_e64 v4, s[0:1], 4, v4
	v_addc_co_u32_e64 v5, s[0:1], 0, v5, s[0:1]
	v_add_co_u32_e64 v6, s[0:1], 4, v6
	v_addc_co_u32_e64 v7, s[0:1], 0, v7, s[0:1]
	v_add_co_u32_e64 v8, s[0:1], 4, v8
	v_add_u32_e32 v13, s16, v13
	s_cmp_eq_u32 s8, s11
	v_addc_co_u32_e64 v9, s[0:1], 0, v9, s[0:1]
	s_cbranch_scc0 .LBB313_8
; %bb.9:
	s_and_b64 vcc, exec, vcc
	s_cbranch_vccnz .LBB313_11
	s_branch .LBB313_19
.LBB313_10:
	v_mov_b32_e32 v11, 0
	s_and_b64 vcc, exec, vcc
	s_cbranch_vccz .LBB313_19
.LBB313_11:
	s_andn2_b64 vcc, exec, s[14:15]
	s_cbranch_vccnz .LBB313_19
; %bb.12:
	v_cmp_lt_f32_e32 vcc, 0, v11
	s_mov_b32 s2, 0
	v_cndmask_b32_e32 v0, 1.0, v11, vcc
	v_mul_lo_u32 v4, v10, s8
	s_cmp_eq_u32 s8, 1
	s_mov_b64 s[0:1], -1
	s_cbranch_scc1 .LBB313_16
; %bb.13:
	s_and_b32 s2, s8, 0x7ffffffe
	v_mov_b32_e32 v1, v0
	v_mov_b32_e32 v5, s7
	s_mov_b32 s3, s2
	v_mov_b32_e32 v2, v4
.LBB313_14:                             ; =>This Inner Loop Header: Depth=1
	v_ashrrev_i32_e32 v3, 31, v2
	v_lshlrev_b64 v[6:7], 2, v[2:3]
	v_add_co_u32_e32 v6, vcc, s6, v6
	v_addc_co_u32_e32 v7, vcc, v5, v7, vcc
	global_load_dwordx2 v[8:9], v[6:7], off
	s_add_i32 s3, s3, -2
	s_cmp_lg_u32 s3, 0
	v_add_u32_e32 v2, 2, v2
	s_waitcnt vmcnt(0)
	v_div_scale_f32 v3, s[0:1], v1, v1, v9
	v_div_scale_f32 v11, s[0:1], v0, v0, v8
	v_rcp_f32_e32 v12, v3
	v_rcp_f32_e32 v13, v11
	v_div_scale_f32 v10, vcc, v9, v1, v9
	v_fma_f32 v15, -v3, v12, 1.0
	v_fma_f32 v16, -v11, v13, 1.0
	v_fmac_f32_e32 v12, v15, v12
	v_div_scale_f32 v14, s[0:1], v8, v0, v8
	v_fmac_f32_e32 v13, v16, v13
	v_mul_f32_e32 v15, v10, v12
	v_mul_f32_e32 v16, v14, v13
	v_fma_f32 v17, -v3, v15, v10
	v_fma_f32 v18, -v11, v16, v14
	v_fmac_f32_e32 v15, v17, v12
	v_fmac_f32_e32 v16, v18, v13
	v_fma_f32 v3, -v3, v15, v10
	v_fma_f32 v10, -v11, v16, v14
	v_div_fmas_f32 v3, v3, v12, v15
	s_mov_b64 vcc, s[0:1]
	v_div_fixup_f32 v9, v3, v1, v9
	v_div_fmas_f32 v3, v10, v13, v16
	v_div_fixup_f32 v8, v3, v0, v8
	global_store_dwordx2 v[6:7], v[8:9], off
	s_cbranch_scc1 .LBB313_14
; %bb.15:
	s_cmp_lg_u32 s2, s8
	s_cselect_b64 s[0:1], -1, 0
.LBB313_16:
	s_and_b64 vcc, exec, s[0:1]
	s_cbranch_vccz .LBB313_19
; %bb.17:
	v_ashrrev_i32_e32 v1, 31, v4
	v_add_co_u32_e32 v2, vcc, s2, v4
	v_addc_co_u32_e32 v3, vcc, 0, v1, vcc
	v_lshlrev_b64 v[2:3], 2, v[2:3]
	v_mov_b32_e32 v1, s7
	v_add_co_u32_e32 v2, vcc, s6, v2
	s_sub_i32 s0, s8, s2
	v_addc_co_u32_e32 v3, vcc, v1, v3, vcc
.LBB313_18:                             ; =>This Inner Loop Header: Depth=1
	global_load_dword v1, v[2:3], off
	s_add_i32 s0, s0, -1
	s_cmp_lg_u32 s0, 0
	s_waitcnt vmcnt(0)
	v_div_scale_f32 v4, s[2:3], v0, v0, v1
	v_rcp_f32_e32 v5, v4
	v_div_scale_f32 v6, vcc, v1, v0, v1
	v_fma_f32 v7, -v4, v5, 1.0
	v_fmac_f32_e32 v5, v7, v5
	v_mul_f32_e32 v7, v6, v5
	v_fma_f32 v8, -v4, v7, v6
	v_fmac_f32_e32 v7, v8, v5
	v_fma_f32 v4, -v4, v7, v6
	v_div_fmas_f32 v4, v4, v5, v7
	v_div_fixup_f32 v1, v4, v0, v1
	global_store_dword v[2:3], v1, off
	v_add_co_u32_e32 v2, vcc, 4, v2
	v_addc_co_u32_e32 v3, vcc, 0, v3, vcc
	s_cbranch_scc1 .LBB313_18
.LBB313_19:
	s_endpgm
	.section	.rodata,"a",@progbits
	.p2align	6, 0x0
	.amdhsa_kernel _ZN4vllm3moe10topkGatingILi2ELi2ELi4ELi4ELi32Ei14__hip_bfloat16LNS0_11ScoringFuncE1EEEvPKT5_PKbPfiPT4_PiiiibPKf
		.amdhsa_group_segment_fixed_size 0
		.amdhsa_private_segment_fixed_size 0
		.amdhsa_kernarg_size 72
		.amdhsa_user_sgpr_count 6
		.amdhsa_user_sgpr_private_segment_buffer 1
		.amdhsa_user_sgpr_dispatch_ptr 0
		.amdhsa_user_sgpr_queue_ptr 0
		.amdhsa_user_sgpr_kernarg_segment_ptr 1
		.amdhsa_user_sgpr_dispatch_id 0
		.amdhsa_user_sgpr_flat_scratch_init 0
		.amdhsa_user_sgpr_kernarg_preload_length 0
		.amdhsa_user_sgpr_kernarg_preload_offset 0
		.amdhsa_user_sgpr_private_segment_size 0
		.amdhsa_uses_dynamic_stack 0
		.amdhsa_system_sgpr_private_segment_wavefront_offset 0
		.amdhsa_system_sgpr_workgroup_id_x 1
		.amdhsa_system_sgpr_workgroup_id_y 0
		.amdhsa_system_sgpr_workgroup_id_z 0
		.amdhsa_system_sgpr_workgroup_info 0
		.amdhsa_system_vgpr_workitem_id 1
		.amdhsa_next_free_vgpr 19
		.amdhsa_next_free_sgpr 24
		.amdhsa_accum_offset 20
		.amdhsa_reserve_vcc 1
		.amdhsa_reserve_flat_scratch 0
		.amdhsa_float_round_mode_32 0
		.amdhsa_float_round_mode_16_64 0
		.amdhsa_float_denorm_mode_32 3
		.amdhsa_float_denorm_mode_16_64 3
		.amdhsa_dx10_clamp 1
		.amdhsa_ieee_mode 1
		.amdhsa_fp16_overflow 0
		.amdhsa_tg_split 0
		.amdhsa_exception_fp_ieee_invalid_op 0
		.amdhsa_exception_fp_denorm_src 0
		.amdhsa_exception_fp_ieee_div_zero 0
		.amdhsa_exception_fp_ieee_overflow 0
		.amdhsa_exception_fp_ieee_underflow 0
		.amdhsa_exception_fp_ieee_inexact 0
		.amdhsa_exception_int_div_zero 0
	.end_amdhsa_kernel
	.section	.text._ZN4vllm3moe10topkGatingILi2ELi2ELi4ELi4ELi32Ei14__hip_bfloat16LNS0_11ScoringFuncE1EEEvPKT5_PKbPfiPT4_PiiiibPKf,"axG",@progbits,_ZN4vllm3moe10topkGatingILi2ELi2ELi4ELi4ELi32Ei14__hip_bfloat16LNS0_11ScoringFuncE1EEEvPKT5_PKbPfiPT4_PiiiibPKf,comdat
.Lfunc_end313:
	.size	_ZN4vllm3moe10topkGatingILi2ELi2ELi4ELi4ELi32Ei14__hip_bfloat16LNS0_11ScoringFuncE1EEEvPKT5_PKbPfiPT4_PiiiibPKf, .Lfunc_end313-_ZN4vllm3moe10topkGatingILi2ELi2ELi4ELi4ELi32Ei14__hip_bfloat16LNS0_11ScoringFuncE1EEEvPKT5_PKbPfiPT4_PiiiibPKf
                                        ; -- End function
	.section	.AMDGPU.csdata,"",@progbits
; Kernel info:
; codeLenInByte = 1248
; NumSgprs: 28
; NumVgprs: 19
; NumAgprs: 0
; TotalNumVgprs: 19
; ScratchSize: 0
; MemoryBound: 1
; FloatMode: 240
; IeeeMode: 1
; LDSByteSize: 0 bytes/workgroup (compile time only)
; SGPRBlocks: 3
; VGPRBlocks: 2
; NumSGPRsForWavesPerEU: 28
; NumVGPRsForWavesPerEU: 19
; AccumOffset: 20
; Occupancy: 8
; WaveLimiterHint : 0
; COMPUTE_PGM_RSRC2:SCRATCH_EN: 0
; COMPUTE_PGM_RSRC2:USER_SGPR: 6
; COMPUTE_PGM_RSRC2:TRAP_HANDLER: 0
; COMPUTE_PGM_RSRC2:TGID_X_EN: 1
; COMPUTE_PGM_RSRC2:TGID_Y_EN: 0
; COMPUTE_PGM_RSRC2:TGID_Z_EN: 0
; COMPUTE_PGM_RSRC2:TIDIG_COMP_CNT: 1
; COMPUTE_PGM_RSRC3_GFX90A:ACCUM_OFFSET: 4
; COMPUTE_PGM_RSRC3_GFX90A:TG_SPLIT: 0
	.section	.text._ZN4vllm3moe10topkGatingILi4ELi4ELi4ELi8ELi64Ei14__hip_bfloat16LNS0_11ScoringFuncE1EEEvPKT5_PKbPfiPT4_PiiiibPKf,"axG",@progbits,_ZN4vllm3moe10topkGatingILi4ELi4ELi4ELi8ELi64Ei14__hip_bfloat16LNS0_11ScoringFuncE1EEEvPKT5_PKbPfiPT4_PiiiibPKf,comdat
	.protected	_ZN4vllm3moe10topkGatingILi4ELi4ELi4ELi8ELi64Ei14__hip_bfloat16LNS0_11ScoringFuncE1EEEvPKT5_PKbPfiPT4_PiiiibPKf ; -- Begin function _ZN4vllm3moe10topkGatingILi4ELi4ELi4ELi8ELi64Ei14__hip_bfloat16LNS0_11ScoringFuncE1EEEvPKT5_PKbPfiPT4_PiiiibPKf
	.globl	_ZN4vllm3moe10topkGatingILi4ELi4ELi4ELi8ELi64Ei14__hip_bfloat16LNS0_11ScoringFuncE1EEEvPKT5_PKbPfiPT4_PiiiibPKf
	.p2align	8
	.type	_ZN4vllm3moe10topkGatingILi4ELi4ELi4ELi8ELi64Ei14__hip_bfloat16LNS0_11ScoringFuncE1EEEvPKT5_PKbPfiPT4_PiiiibPKf,@function
_ZN4vllm3moe10topkGatingILi4ELi4ELi4ELi8ELi64Ei14__hip_bfloat16LNS0_11ScoringFuncE1EEEvPKT5_PKbPfiPT4_PiiiibPKf: ; @_ZN4vllm3moe10topkGatingILi4ELi4ELi4ELi8ELi64Ei14__hip_bfloat16LNS0_11ScoringFuncE1EEEvPKT5_PKbPfiPT4_PiiiibPKf
; %bb.0:
	s_load_dword s16, s[4:5], 0x18
	v_bfe_u32 v1, v0, 10, 10
	s_lshl_b32 s0, s6, 8
	v_lshlrev_b32_e32 v1, 6, v1
	v_and_b32_e32 v0, 0x3ff, v0
	v_add3_u32 v14, v1, v0, s0
	s_waitcnt lgkmcnt(0)
	v_cmp_gt_i32_e32 vcc, s16, v14
	s_and_saveexec_b64 s[0:1], vcc
	s_cbranch_execz .LBB314_20
; %bb.1:
	s_load_dwordx4 s[0:3], s[4:5], 0x0
	s_load_dwordx2 s[12:13], s[4:5], 0x10
	s_mov_b64 s[8:9], -1
	s_mov_b64 s[14:15], -1
	s_waitcnt lgkmcnt(0)
	s_cmp_eq_u64 s[2:3], 0
	s_cbranch_scc1 .LBB314_3
; %bb.2:
	v_ashrrev_i32_e32 v1, 31, v14
	v_mov_b32_e32 v2, s3
	v_add_co_u32_e32 v0, vcc, s2, v14
	v_addc_co_u32_e32 v1, vcc, v2, v1, vcc
	global_load_ubyte v0, v[0:1], off
	s_waitcnt vmcnt(0)
	v_and_b32_e32 v0, 1, v0
	v_cmp_eq_u32_e32 vcc, 1, v0
	s_xor_b64 s[2:3], vcc, -1
	s_orn2_b64 s[14:15], s[2:3], exec
.LBB314_3:
	v_lshlrev_b32_e32 v0, 2, v14
	v_ashrrev_i32_e32 v1, 31, v0
	v_lshlrev_b64 v[0:1], 1, v[0:1]
	v_mov_b32_e32 v2, s1
	v_add_co_u32_e32 v0, vcc, s0, v0
	v_addc_co_u32_e32 v1, vcc, v2, v1, vcc
	global_load_dwordx2 v[0:1], v[0:1], off
	v_mov_b32_e32 v4, 0x207
	s_load_dwordx2 s[10:11], s[4:5], 0x40
	s_waitcnt lgkmcnt(0)
	s_cmp_eq_u64 s[10:11], 0
	s_waitcnt vmcnt(0)
	v_and_b32_e32 v2, 0xffff0000, v0
	v_lshlrev_b32_e32 v3, 16, v0
	v_alignbit_b32 v0, v1, v0, 16
	v_and_b32_e32 v1, 0xffff0000, v1
	v_and_b32_e32 v5, 0xffff0000, v0
	v_mul_f32_e32 v0, 0xbfb8aa3b, v3
	v_mul_f32_e32 v2, 0xbfb8aa3b, v2
	;; [unrolled: 1-line block ×3, first 2 shown]
	v_exp_f32_e32 v0, v0
	v_exp_f32_e32 v1, v2
	v_mul_f32_e32 v2, 0xbfb8aa3b, v5
	v_exp_f32_e32 v3, v3
	v_exp_f32_e32 v2, v2
	v_pk_add_f32 v[0:1], v[0:1], 1.0 op_sel_hi:[1,0]
	v_div_scale_f32 v5, s[0:1], v1, v1, 1.0
	v_pk_add_f32 v[2:3], v[2:3], 1.0 op_sel_hi:[1,0]
	v_rcp_f32_e32 v9, v5
	v_div_scale_f32 v7, s[0:1], v0, v0, 1.0
	v_div_scale_f32 v11, s[2:3], v3, v3, 1.0
	v_rcp_f32_e32 v10, v7
	v_rcp_f32_e32 v16, v11
	v_div_scale_f32 v13, s[6:7], v2, v2, 1.0
	v_rcp_f32_e32 v17, v13
	v_fma_f32 v18, -v5, v9, 1.0
	v_div_scale_f32 v6, vcc, 1.0, v1, 1.0
	v_fmac_f32_e32 v9, v18, v9
	v_fma_f32 v19, -v7, v10, 1.0
	v_fma_f32 v18, -v11, v16, 1.0
	v_mul_f32_e32 v20, v6, v9
	v_div_scale_f32 v8, s[0:1], 1.0, v0, 1.0
	v_fmac_f32_e32 v10, v19, v10
	v_fmac_f32_e32 v16, v18, v16
	v_fma_f32 v18, -v5, v20, v6
	v_fma_f32 v19, -v13, v17, 1.0
	v_mul_f32_e32 v21, v8, v10
	v_fmac_f32_e32 v20, v18, v9
	v_div_scale_f32 v12, s[2:3], 1.0, v3, 1.0
	v_fmac_f32_e32 v17, v19, v17
	v_fma_f32 v19, -v7, v21, v8
	v_fma_f32 v5, -v5, v20, v6
	v_mul_f32_e32 v22, v12, v16
	v_fmac_f32_e32 v21, v19, v10
	v_div_fmas_f32 v5, v5, v9, v20
	v_div_scale_f32 v15, s[6:7], 1.0, v2, 1.0
	v_fma_f32 v18, -v11, v22, v12
	v_fma_f32 v6, -v7, v21, v8
	v_div_fixup_f32 v1, v5, v1, 1.0
	s_mov_b64 vcc, s[0:1]
	v_mul_f32_e32 v23, v15, v17
	v_fmac_f32_e32 v22, v18, v16
	v_div_fmas_f32 v5, v6, v10, v21
	v_cmp_class_f32_e32 vcc, v1, v4
	v_fma_f32 v19, -v13, v23, v15
	v_fma_f32 v7, -v11, v22, v12
	v_div_fixup_f32 v0, v5, v0, 1.0
	v_cndmask_b32_e64 v1, v1, 0, vcc
	s_mov_b64 vcc, s[2:3]
	v_fmac_f32_e32 v23, v19, v17
	v_div_fmas_f32 v5, v7, v16, v22
	v_cmp_class_f32_e32 vcc, v0, v4
	v_fma_f32 v8, -v13, v23, v15
	v_cndmask_b32_e64 v0, v0, 0, vcc
	s_mov_b64 vcc, s[6:7]
	v_div_fixup_f32 v3, v5, v3, 1.0
	v_div_fmas_f32 v5, v8, v17, v23
	v_div_fixup_f32 v2, v5, v2, 1.0
	v_cmp_class_f32_e32 vcc, v3, v4
	v_cndmask_b32_e64 v3, v3, 0, vcc
	v_cmp_class_f32_e32 vcc, v2, v4
	v_cndmask_b32_e64 v2, v2, 0, vcc
	s_cbranch_scc1 .LBB314_10
; %bb.4:
	s_load_dwordx4 s[0:3], s[10:11], 0x0
	s_waitcnt lgkmcnt(0)
	v_pk_add_f32 v[4:5], s[0:1], v[0:1]
	v_pk_add_f32 v[6:7], s[2:3], v[2:3]
	s_cbranch_execnz .LBB314_6
.LBB314_5:
	v_pk_mov_b32 v[6:7], v[2:3], v[2:3] op_sel:[0,1]
	v_pk_mov_b32 v[4:5], v[0:1], v[0:1] op_sel:[0,1]
.LBB314_6:
	s_load_dwordx4 s[8:11], s[4:5], 0x30
	s_waitcnt lgkmcnt(0)
	s_bitcmp1_b32 s11, 0
	s_cselect_b64 vcc, -1, 0
	s_cmp_gt_i32 s8, 0
	s_cselect_b64 s[6:7], -1, 0
	s_cmp_lt_i32 s8, 1
	s_mov_b32 s11, 0
	s_cbranch_scc1 .LBB314_11
; %bb.7:
	s_load_dwordx4 s[20:23], s[4:5], 0x20
	v_mul_lo_u32 v8, v14, s8
	v_ashrrev_i32_e32 v9, 31, v8
	v_lshlrev_b64 v[12:13], 2, v[8:9]
	v_mov_b32_e32 v9, s13
	v_add_co_u32_e64 v8, s[0:1], s12, v12
	v_addc_co_u32_e64 v9, s[0:1], v9, v13, s[0:1]
	s_waitcnt lgkmcnt(0)
	v_mov_b32_e32 v11, s21
	v_add_co_u32_e64 v10, s[0:1], s20, v12
	v_addc_co_u32_e64 v11, s[0:1], v11, v13, s[0:1]
	v_mov_b32_e32 v15, s23
	v_add_co_u32_e64 v12, s[0:1], s22, v12
	v_addc_co_u32_e64 v13, s[0:1], v15, v13, s[0:1]
	v_mov_b32_e32 v15, 0
	v_mov_b32_e32 v16, 0xc61c4000
	;; [unrolled: 1-line block ×3, first 2 shown]
.LBB314_8:                              ; =>This Inner Loop Header: Depth=1
	v_cmp_gt_f32_e64 s[0:1], v5, v4
	v_cndmask_b32_e64 v20, v4, v5, s[0:1]
	v_cndmask_b32_e64 v18, 0, 1, s[0:1]
	;; [unrolled: 1-line block ×3, first 2 shown]
	v_cmp_gt_f32_e64 s[0:1], v6, v20
	v_cndmask_b32_e64 v20, v20, v6, s[0:1]
	v_cndmask_b32_e64 v18, v18, 2, s[0:1]
	;; [unrolled: 1-line block ×3, first 2 shown]
	v_cmp_gt_f32_e64 s[0:1], v7, v20
	v_cndmask_b32_e64 v18, v18, 3, s[0:1]
	v_cndmask_b32_e64 v19, v19, v3, s[0:1]
	v_cmp_le_i32_e64 s[0:1], s9, v18
	v_cmp_gt_i32_e64 s[2:3], s10, v18
	s_and_b64 s[0:1], s[0:1], s[2:3]
	v_subrev_u32_e32 v20, s9, v18
	s_and_b64 s[0:1], s[14:15], s[0:1]
	global_store_dword v[8:9], v19, off
	v_cndmask_b32_e64 v20, 4, v20, s[0:1]
	v_add_f32_e32 v19, v15, v19
	v_cmp_ne_u32_e64 s[0:1], 0, v18
	v_cndmask_b32_e32 v15, v15, v19, vcc
	v_cndmask_b32_e64 v19, v16, v4, s[0:1]
	v_cmp_ne_u32_e64 s[0:1], 1, v18
	global_store_dword v[10:11], v20, off
	global_store_dword v[12:13], v17, off
	s_add_i32 s11, s11, 1
	v_cndmask_b32_e64 v20, v16, v5, s[0:1]
	v_cmp_ne_u32_e64 s[0:1], 2, v18
	s_cmp_lt_i32 s11, s8
	v_cndmask_b32_e64 v21, v16, v6, s[0:1]
	v_cmp_ne_u32_e64 s[0:1], 3, v18
	v_cndmask_b32_e64 v18, v16, v7, s[0:1]
	s_cselect_b64 s[0:1], -1, 0
	v_cndmask_b32_e64 v7, v7, v18, s[0:1]
	v_cndmask_b32_e64 v6, v6, v21, s[0:1]
	;; [unrolled: 1-line block ×4, first 2 shown]
	v_add_co_u32_e64 v8, s[0:1], 4, v8
	v_addc_co_u32_e64 v9, s[0:1], 0, v9, s[0:1]
	v_add_co_u32_e64 v10, s[0:1], 4, v10
	v_addc_co_u32_e64 v11, s[0:1], 0, v11, s[0:1]
	v_add_co_u32_e64 v12, s[0:1], 4, v12
	v_add_u32_e32 v17, s16, v17
	s_cmp_eq_u32 s8, s11
	v_addc_co_u32_e64 v13, s[0:1], 0, v13, s[0:1]
	s_cbranch_scc0 .LBB314_8
; %bb.9:
	s_and_b64 vcc, exec, vcc
	s_cbranch_vccnz .LBB314_12
	s_branch .LBB314_20
.LBB314_10:
                                        ; implicit-def: $vgpr4_vgpr5_vgpr6_vgpr7
	s_andn2_b64 vcc, exec, s[8:9]
	s_cbranch_vccz .LBB314_5
	s_branch .LBB314_6
.LBB314_11:
	v_mov_b32_e32 v15, 0
	s_and_b64 vcc, exec, vcc
	s_cbranch_vccz .LBB314_20
.LBB314_12:
	s_andn2_b64 vcc, exec, s[6:7]
	s_cbranch_vccnz .LBB314_20
; %bb.13:
	v_cmp_lt_f32_e32 vcc, 0, v15
	s_mov_b32 s2, 0
	v_cndmask_b32_e32 v0, 1.0, v15, vcc
	v_mul_lo_u32 v4, v14, s8
	s_cmp_eq_u32 s8, 1
	s_mov_b64 s[0:1], -1
	s_cbranch_scc1 .LBB314_17
; %bb.14:
	s_and_b32 s2, s8, 0x7ffffffe
	v_mov_b32_e32 v1, v0
	v_mov_b32_e32 v5, s13
	s_mov_b32 s3, s2
	v_mov_b32_e32 v2, v4
.LBB314_15:                             ; =>This Inner Loop Header: Depth=1
	v_ashrrev_i32_e32 v3, 31, v2
	v_lshlrev_b64 v[6:7], 2, v[2:3]
	v_add_co_u32_e32 v6, vcc, s12, v6
	v_addc_co_u32_e32 v7, vcc, v5, v7, vcc
	global_load_dwordx2 v[8:9], v[6:7], off
	s_add_i32 s3, s3, -2
	s_cmp_lg_u32 s3, 0
	v_add_u32_e32 v2, 2, v2
	s_waitcnt vmcnt(0)
	v_div_scale_f32 v3, s[0:1], v1, v1, v9
	v_div_scale_f32 v11, s[0:1], v0, v0, v8
	v_rcp_f32_e32 v12, v3
	v_rcp_f32_e32 v13, v11
	v_div_scale_f32 v10, vcc, v9, v1, v9
	v_fma_f32 v15, -v3, v12, 1.0
	v_fma_f32 v16, -v11, v13, 1.0
	v_fmac_f32_e32 v12, v15, v12
	v_div_scale_f32 v14, s[0:1], v8, v0, v8
	v_fmac_f32_e32 v13, v16, v13
	v_mul_f32_e32 v15, v10, v12
	v_mul_f32_e32 v16, v14, v13
	v_fma_f32 v17, -v3, v15, v10
	v_fma_f32 v18, -v11, v16, v14
	v_fmac_f32_e32 v15, v17, v12
	v_fmac_f32_e32 v16, v18, v13
	v_fma_f32 v3, -v3, v15, v10
	v_fma_f32 v10, -v11, v16, v14
	v_div_fmas_f32 v3, v3, v12, v15
	s_mov_b64 vcc, s[0:1]
	v_div_fixup_f32 v9, v3, v1, v9
	v_div_fmas_f32 v3, v10, v13, v16
	v_div_fixup_f32 v8, v3, v0, v8
	global_store_dwordx2 v[6:7], v[8:9], off
	s_cbranch_scc1 .LBB314_15
; %bb.16:
	s_cmp_lg_u32 s2, s8
	s_cselect_b64 s[0:1], -1, 0
.LBB314_17:
	s_and_b64 vcc, exec, s[0:1]
	s_cbranch_vccz .LBB314_20
; %bb.18:
	v_ashrrev_i32_e32 v1, 31, v4
	v_add_co_u32_e32 v2, vcc, s2, v4
	v_addc_co_u32_e32 v3, vcc, 0, v1, vcc
	v_lshlrev_b64 v[2:3], 2, v[2:3]
	v_mov_b32_e32 v1, s13
	v_add_co_u32_e32 v2, vcc, s12, v2
	s_sub_i32 s0, s8, s2
	v_addc_co_u32_e32 v3, vcc, v1, v3, vcc
.LBB314_19:                             ; =>This Inner Loop Header: Depth=1
	global_load_dword v1, v[2:3], off
	s_add_i32 s0, s0, -1
	s_cmp_lg_u32 s0, 0
	s_waitcnt vmcnt(0)
	v_div_scale_f32 v4, s[2:3], v0, v0, v1
	v_rcp_f32_e32 v5, v4
	v_div_scale_f32 v6, vcc, v1, v0, v1
	v_fma_f32 v7, -v4, v5, 1.0
	v_fmac_f32_e32 v5, v7, v5
	v_mul_f32_e32 v7, v6, v5
	v_fma_f32 v8, -v4, v7, v6
	v_fmac_f32_e32 v7, v8, v5
	v_fma_f32 v4, -v4, v7, v6
	v_div_fmas_f32 v4, v4, v5, v7
	v_div_fixup_f32 v1, v4, v0, v1
	global_store_dword v[2:3], v1, off
	v_add_co_u32_e32 v2, vcc, 4, v2
	v_addc_co_u32_e32 v3, vcc, 0, v3, vcc
	s_cbranch_scc1 .LBB314_19
.LBB314_20:
	s_endpgm
	.section	.rodata,"a",@progbits
	.p2align	6, 0x0
	.amdhsa_kernel _ZN4vllm3moe10topkGatingILi4ELi4ELi4ELi8ELi64Ei14__hip_bfloat16LNS0_11ScoringFuncE1EEEvPKT5_PKbPfiPT4_PiiiibPKf
		.amdhsa_group_segment_fixed_size 0
		.amdhsa_private_segment_fixed_size 0
		.amdhsa_kernarg_size 72
		.amdhsa_user_sgpr_count 6
		.amdhsa_user_sgpr_private_segment_buffer 1
		.amdhsa_user_sgpr_dispatch_ptr 0
		.amdhsa_user_sgpr_queue_ptr 0
		.amdhsa_user_sgpr_kernarg_segment_ptr 1
		.amdhsa_user_sgpr_dispatch_id 0
		.amdhsa_user_sgpr_flat_scratch_init 0
		.amdhsa_user_sgpr_kernarg_preload_length 0
		.amdhsa_user_sgpr_kernarg_preload_offset 0
		.amdhsa_user_sgpr_private_segment_size 0
		.amdhsa_uses_dynamic_stack 0
		.amdhsa_system_sgpr_private_segment_wavefront_offset 0
		.amdhsa_system_sgpr_workgroup_id_x 1
		.amdhsa_system_sgpr_workgroup_id_y 0
		.amdhsa_system_sgpr_workgroup_id_z 0
		.amdhsa_system_sgpr_workgroup_info 0
		.amdhsa_system_vgpr_workitem_id 1
		.amdhsa_next_free_vgpr 24
		.amdhsa_next_free_sgpr 24
		.amdhsa_accum_offset 24
		.amdhsa_reserve_vcc 1
		.amdhsa_reserve_flat_scratch 0
		.amdhsa_float_round_mode_32 0
		.amdhsa_float_round_mode_16_64 0
		.amdhsa_float_denorm_mode_32 3
		.amdhsa_float_denorm_mode_16_64 3
		.amdhsa_dx10_clamp 1
		.amdhsa_ieee_mode 1
		.amdhsa_fp16_overflow 0
		.amdhsa_tg_split 0
		.amdhsa_exception_fp_ieee_invalid_op 0
		.amdhsa_exception_fp_denorm_src 0
		.amdhsa_exception_fp_ieee_div_zero 0
		.amdhsa_exception_fp_ieee_overflow 0
		.amdhsa_exception_fp_ieee_underflow 0
		.amdhsa_exception_fp_ieee_inexact 0
		.amdhsa_exception_int_div_zero 0
	.end_amdhsa_kernel
	.section	.text._ZN4vllm3moe10topkGatingILi4ELi4ELi4ELi8ELi64Ei14__hip_bfloat16LNS0_11ScoringFuncE1EEEvPKT5_PKbPfiPT4_PiiiibPKf,"axG",@progbits,_ZN4vllm3moe10topkGatingILi4ELi4ELi4ELi8ELi64Ei14__hip_bfloat16LNS0_11ScoringFuncE1EEEvPKT5_PKbPfiPT4_PiiiibPKf,comdat
.Lfunc_end314:
	.size	_ZN4vllm3moe10topkGatingILi4ELi4ELi4ELi8ELi64Ei14__hip_bfloat16LNS0_11ScoringFuncE1EEEvPKT5_PKbPfiPT4_PiiiibPKf, .Lfunc_end314-_ZN4vllm3moe10topkGatingILi4ELi4ELi4ELi8ELi64Ei14__hip_bfloat16LNS0_11ScoringFuncE1EEEvPKT5_PKbPfiPT4_PiiiibPKf
                                        ; -- End function
	.section	.AMDGPU.csdata,"",@progbits
; Kernel info:
; codeLenInByte = 1644
; NumSgprs: 28
; NumVgprs: 24
; NumAgprs: 0
; TotalNumVgprs: 24
; ScratchSize: 0
; MemoryBound: 1
; FloatMode: 240
; IeeeMode: 1
; LDSByteSize: 0 bytes/workgroup (compile time only)
; SGPRBlocks: 3
; VGPRBlocks: 2
; NumSGPRsForWavesPerEU: 28
; NumVGPRsForWavesPerEU: 24
; AccumOffset: 24
; Occupancy: 8
; WaveLimiterHint : 0
; COMPUTE_PGM_RSRC2:SCRATCH_EN: 0
; COMPUTE_PGM_RSRC2:USER_SGPR: 6
; COMPUTE_PGM_RSRC2:TRAP_HANDLER: 0
; COMPUTE_PGM_RSRC2:TGID_X_EN: 1
; COMPUTE_PGM_RSRC2:TGID_Y_EN: 0
; COMPUTE_PGM_RSRC2:TGID_Z_EN: 0
; COMPUTE_PGM_RSRC2:TIDIG_COMP_CNT: 1
; COMPUTE_PGM_RSRC3_GFX90A:ACCUM_OFFSET: 5
; COMPUTE_PGM_RSRC3_GFX90A:TG_SPLIT: 0
	.section	.text._ZN4vllm3moe10topkGatingILi4ELi4ELi4ELi8ELi32Ei14__hip_bfloat16LNS0_11ScoringFuncE1EEEvPKT5_PKbPfiPT4_PiiiibPKf,"axG",@progbits,_ZN4vllm3moe10topkGatingILi4ELi4ELi4ELi8ELi32Ei14__hip_bfloat16LNS0_11ScoringFuncE1EEEvPKT5_PKbPfiPT4_PiiiibPKf,comdat
	.protected	_ZN4vllm3moe10topkGatingILi4ELi4ELi4ELi8ELi32Ei14__hip_bfloat16LNS0_11ScoringFuncE1EEEvPKT5_PKbPfiPT4_PiiiibPKf ; -- Begin function _ZN4vllm3moe10topkGatingILi4ELi4ELi4ELi8ELi32Ei14__hip_bfloat16LNS0_11ScoringFuncE1EEEvPKT5_PKbPfiPT4_PiiiibPKf
	.globl	_ZN4vllm3moe10topkGatingILi4ELi4ELi4ELi8ELi32Ei14__hip_bfloat16LNS0_11ScoringFuncE1EEEvPKT5_PKbPfiPT4_PiiiibPKf
	.p2align	8
	.type	_ZN4vllm3moe10topkGatingILi4ELi4ELi4ELi8ELi32Ei14__hip_bfloat16LNS0_11ScoringFuncE1EEEvPKT5_PKbPfiPT4_PiiiibPKf,@function
_ZN4vllm3moe10topkGatingILi4ELi4ELi4ELi8ELi32Ei14__hip_bfloat16LNS0_11ScoringFuncE1EEEvPKT5_PKbPfiPT4_PiiiibPKf: ; @_ZN4vllm3moe10topkGatingILi4ELi4ELi4ELi8ELi32Ei14__hip_bfloat16LNS0_11ScoringFuncE1EEEvPKT5_PKbPfiPT4_PiiiibPKf
; %bb.0:
	s_load_dword s16, s[4:5], 0x18
	v_bfe_u32 v1, v0, 10, 10
	s_lshl_b32 s0, s6, 7
	v_lshlrev_b32_e32 v1, 5, v1
	v_and_b32_e32 v0, 0x3ff, v0
	v_add3_u32 v14, v1, v0, s0
	s_waitcnt lgkmcnt(0)
	v_cmp_gt_i32_e32 vcc, s16, v14
	s_and_saveexec_b64 s[0:1], vcc
	s_cbranch_execz .LBB315_20
; %bb.1:
	s_load_dwordx4 s[0:3], s[4:5], 0x0
	s_load_dwordx2 s[12:13], s[4:5], 0x10
	s_mov_b64 s[8:9], -1
	s_mov_b64 s[14:15], -1
	s_waitcnt lgkmcnt(0)
	s_cmp_eq_u64 s[2:3], 0
	s_cbranch_scc1 .LBB315_3
; %bb.2:
	v_ashrrev_i32_e32 v1, 31, v14
	v_mov_b32_e32 v2, s3
	v_add_co_u32_e32 v0, vcc, s2, v14
	v_addc_co_u32_e32 v1, vcc, v2, v1, vcc
	global_load_ubyte v0, v[0:1], off
	s_waitcnt vmcnt(0)
	v_and_b32_e32 v0, 1, v0
	v_cmp_eq_u32_e32 vcc, 1, v0
	s_xor_b64 s[2:3], vcc, -1
	s_orn2_b64 s[14:15], s[2:3], exec
.LBB315_3:
	v_lshlrev_b32_e32 v0, 2, v14
	v_ashrrev_i32_e32 v1, 31, v0
	v_lshlrev_b64 v[0:1], 1, v[0:1]
	v_mov_b32_e32 v2, s1
	v_add_co_u32_e32 v0, vcc, s0, v0
	v_addc_co_u32_e32 v1, vcc, v2, v1, vcc
	global_load_dwordx2 v[0:1], v[0:1], off
	v_mov_b32_e32 v4, 0x207
	s_load_dwordx2 s[10:11], s[4:5], 0x40
	s_waitcnt lgkmcnt(0)
	s_cmp_eq_u64 s[10:11], 0
	s_waitcnt vmcnt(0)
	v_and_b32_e32 v2, 0xffff0000, v0
	v_lshlrev_b32_e32 v3, 16, v0
	v_alignbit_b32 v0, v1, v0, 16
	v_and_b32_e32 v1, 0xffff0000, v1
	v_and_b32_e32 v5, 0xffff0000, v0
	v_mul_f32_e32 v0, 0xbfb8aa3b, v3
	v_mul_f32_e32 v2, 0xbfb8aa3b, v2
	;; [unrolled: 1-line block ×3, first 2 shown]
	v_exp_f32_e32 v0, v0
	v_exp_f32_e32 v1, v2
	v_mul_f32_e32 v2, 0xbfb8aa3b, v5
	v_exp_f32_e32 v3, v3
	v_exp_f32_e32 v2, v2
	v_pk_add_f32 v[0:1], v[0:1], 1.0 op_sel_hi:[1,0]
	v_div_scale_f32 v5, s[0:1], v1, v1, 1.0
	v_pk_add_f32 v[2:3], v[2:3], 1.0 op_sel_hi:[1,0]
	v_rcp_f32_e32 v9, v5
	v_div_scale_f32 v7, s[0:1], v0, v0, 1.0
	v_div_scale_f32 v11, s[2:3], v3, v3, 1.0
	v_rcp_f32_e32 v10, v7
	v_rcp_f32_e32 v16, v11
	v_div_scale_f32 v13, s[6:7], v2, v2, 1.0
	v_rcp_f32_e32 v17, v13
	v_fma_f32 v18, -v5, v9, 1.0
	v_div_scale_f32 v6, vcc, 1.0, v1, 1.0
	v_fmac_f32_e32 v9, v18, v9
	v_fma_f32 v19, -v7, v10, 1.0
	v_fma_f32 v18, -v11, v16, 1.0
	v_mul_f32_e32 v20, v6, v9
	v_div_scale_f32 v8, s[0:1], 1.0, v0, 1.0
	v_fmac_f32_e32 v10, v19, v10
	v_fmac_f32_e32 v16, v18, v16
	v_fma_f32 v18, -v5, v20, v6
	v_fma_f32 v19, -v13, v17, 1.0
	v_mul_f32_e32 v21, v8, v10
	v_fmac_f32_e32 v20, v18, v9
	v_div_scale_f32 v12, s[2:3], 1.0, v3, 1.0
	v_fmac_f32_e32 v17, v19, v17
	v_fma_f32 v19, -v7, v21, v8
	v_fma_f32 v5, -v5, v20, v6
	v_mul_f32_e32 v22, v12, v16
	v_fmac_f32_e32 v21, v19, v10
	v_div_fmas_f32 v5, v5, v9, v20
	v_div_scale_f32 v15, s[6:7], 1.0, v2, 1.0
	v_fma_f32 v18, -v11, v22, v12
	v_fma_f32 v6, -v7, v21, v8
	v_div_fixup_f32 v1, v5, v1, 1.0
	s_mov_b64 vcc, s[0:1]
	v_mul_f32_e32 v23, v15, v17
	v_fmac_f32_e32 v22, v18, v16
	v_div_fmas_f32 v5, v6, v10, v21
	v_cmp_class_f32_e32 vcc, v1, v4
	v_fma_f32 v19, -v13, v23, v15
	v_fma_f32 v7, -v11, v22, v12
	v_div_fixup_f32 v0, v5, v0, 1.0
	v_cndmask_b32_e64 v1, v1, 0, vcc
	s_mov_b64 vcc, s[2:3]
	v_fmac_f32_e32 v23, v19, v17
	v_div_fmas_f32 v5, v7, v16, v22
	v_cmp_class_f32_e32 vcc, v0, v4
	v_fma_f32 v8, -v13, v23, v15
	v_cndmask_b32_e64 v0, v0, 0, vcc
	s_mov_b64 vcc, s[6:7]
	v_div_fixup_f32 v3, v5, v3, 1.0
	v_div_fmas_f32 v5, v8, v17, v23
	v_div_fixup_f32 v2, v5, v2, 1.0
	v_cmp_class_f32_e32 vcc, v3, v4
	v_cndmask_b32_e64 v3, v3, 0, vcc
	v_cmp_class_f32_e32 vcc, v2, v4
	v_cndmask_b32_e64 v2, v2, 0, vcc
	s_cbranch_scc1 .LBB315_10
; %bb.4:
	s_load_dwordx4 s[0:3], s[10:11], 0x0
	s_waitcnt lgkmcnt(0)
	v_pk_add_f32 v[4:5], s[0:1], v[0:1]
	v_pk_add_f32 v[6:7], s[2:3], v[2:3]
	s_cbranch_execnz .LBB315_6
.LBB315_5:
	v_pk_mov_b32 v[6:7], v[2:3], v[2:3] op_sel:[0,1]
	v_pk_mov_b32 v[4:5], v[0:1], v[0:1] op_sel:[0,1]
.LBB315_6:
	s_load_dwordx4 s[8:11], s[4:5], 0x30
	s_waitcnt lgkmcnt(0)
	s_bitcmp1_b32 s11, 0
	s_cselect_b64 vcc, -1, 0
	s_cmp_gt_i32 s8, 0
	s_cselect_b64 s[6:7], -1, 0
	s_cmp_lt_i32 s8, 1
	s_mov_b32 s11, 0
	s_cbranch_scc1 .LBB315_11
; %bb.7:
	s_load_dwordx4 s[20:23], s[4:5], 0x20
	v_mul_lo_u32 v8, v14, s8
	v_ashrrev_i32_e32 v9, 31, v8
	v_lshlrev_b64 v[12:13], 2, v[8:9]
	v_mov_b32_e32 v9, s13
	v_add_co_u32_e64 v8, s[0:1], s12, v12
	v_addc_co_u32_e64 v9, s[0:1], v9, v13, s[0:1]
	s_waitcnt lgkmcnt(0)
	v_mov_b32_e32 v11, s21
	v_add_co_u32_e64 v10, s[0:1], s20, v12
	v_addc_co_u32_e64 v11, s[0:1], v11, v13, s[0:1]
	v_mov_b32_e32 v15, s23
	v_add_co_u32_e64 v12, s[0:1], s22, v12
	v_addc_co_u32_e64 v13, s[0:1], v15, v13, s[0:1]
	v_mov_b32_e32 v15, 0
	v_mov_b32_e32 v16, 0xc61c4000
	;; [unrolled: 1-line block ×3, first 2 shown]
.LBB315_8:                              ; =>This Inner Loop Header: Depth=1
	v_cmp_gt_f32_e64 s[0:1], v5, v4
	v_cndmask_b32_e64 v20, v4, v5, s[0:1]
	v_cndmask_b32_e64 v18, 0, 1, s[0:1]
	v_cndmask_b32_e64 v19, v0, v1, s[0:1]
	v_cmp_gt_f32_e64 s[0:1], v6, v20
	v_cndmask_b32_e64 v20, v20, v6, s[0:1]
	v_cndmask_b32_e64 v18, v18, 2, s[0:1]
	;; [unrolled: 1-line block ×3, first 2 shown]
	v_cmp_gt_f32_e64 s[0:1], v7, v20
	v_cndmask_b32_e64 v18, v18, 3, s[0:1]
	v_cndmask_b32_e64 v19, v19, v3, s[0:1]
	v_cmp_le_i32_e64 s[0:1], s9, v18
	v_cmp_gt_i32_e64 s[2:3], s10, v18
	s_and_b64 s[0:1], s[0:1], s[2:3]
	v_subrev_u32_e32 v20, s9, v18
	s_and_b64 s[0:1], s[14:15], s[0:1]
	global_store_dword v[8:9], v19, off
	v_cndmask_b32_e64 v20, 4, v20, s[0:1]
	v_add_f32_e32 v19, v15, v19
	v_cmp_ne_u32_e64 s[0:1], 0, v18
	v_cndmask_b32_e32 v15, v15, v19, vcc
	v_cndmask_b32_e64 v19, v16, v4, s[0:1]
	v_cmp_ne_u32_e64 s[0:1], 1, v18
	global_store_dword v[10:11], v20, off
	global_store_dword v[12:13], v17, off
	s_add_i32 s11, s11, 1
	v_cndmask_b32_e64 v20, v16, v5, s[0:1]
	v_cmp_ne_u32_e64 s[0:1], 2, v18
	s_cmp_lt_i32 s11, s8
	v_cndmask_b32_e64 v21, v16, v6, s[0:1]
	v_cmp_ne_u32_e64 s[0:1], 3, v18
	v_cndmask_b32_e64 v18, v16, v7, s[0:1]
	s_cselect_b64 s[0:1], -1, 0
	v_cndmask_b32_e64 v7, v7, v18, s[0:1]
	v_cndmask_b32_e64 v6, v6, v21, s[0:1]
	;; [unrolled: 1-line block ×4, first 2 shown]
	v_add_co_u32_e64 v8, s[0:1], 4, v8
	v_addc_co_u32_e64 v9, s[0:1], 0, v9, s[0:1]
	v_add_co_u32_e64 v10, s[0:1], 4, v10
	v_addc_co_u32_e64 v11, s[0:1], 0, v11, s[0:1]
	v_add_co_u32_e64 v12, s[0:1], 4, v12
	v_add_u32_e32 v17, s16, v17
	s_cmp_eq_u32 s8, s11
	v_addc_co_u32_e64 v13, s[0:1], 0, v13, s[0:1]
	s_cbranch_scc0 .LBB315_8
; %bb.9:
	s_and_b64 vcc, exec, vcc
	s_cbranch_vccnz .LBB315_12
	s_branch .LBB315_20
.LBB315_10:
                                        ; implicit-def: $vgpr4_vgpr5_vgpr6_vgpr7
	s_andn2_b64 vcc, exec, s[8:9]
	s_cbranch_vccz .LBB315_5
	s_branch .LBB315_6
.LBB315_11:
	v_mov_b32_e32 v15, 0
	s_and_b64 vcc, exec, vcc
	s_cbranch_vccz .LBB315_20
.LBB315_12:
	s_andn2_b64 vcc, exec, s[6:7]
	s_cbranch_vccnz .LBB315_20
; %bb.13:
	v_cmp_lt_f32_e32 vcc, 0, v15
	s_mov_b32 s2, 0
	v_cndmask_b32_e32 v0, 1.0, v15, vcc
	v_mul_lo_u32 v4, v14, s8
	s_cmp_eq_u32 s8, 1
	s_mov_b64 s[0:1], -1
	s_cbranch_scc1 .LBB315_17
; %bb.14:
	s_and_b32 s2, s8, 0x7ffffffe
	v_mov_b32_e32 v1, v0
	v_mov_b32_e32 v5, s13
	s_mov_b32 s3, s2
	v_mov_b32_e32 v2, v4
.LBB315_15:                             ; =>This Inner Loop Header: Depth=1
	v_ashrrev_i32_e32 v3, 31, v2
	v_lshlrev_b64 v[6:7], 2, v[2:3]
	v_add_co_u32_e32 v6, vcc, s12, v6
	v_addc_co_u32_e32 v7, vcc, v5, v7, vcc
	global_load_dwordx2 v[8:9], v[6:7], off
	s_add_i32 s3, s3, -2
	s_cmp_lg_u32 s3, 0
	v_add_u32_e32 v2, 2, v2
	s_waitcnt vmcnt(0)
	v_div_scale_f32 v3, s[0:1], v1, v1, v9
	v_div_scale_f32 v11, s[0:1], v0, v0, v8
	v_rcp_f32_e32 v12, v3
	v_rcp_f32_e32 v13, v11
	v_div_scale_f32 v10, vcc, v9, v1, v9
	v_fma_f32 v15, -v3, v12, 1.0
	v_fma_f32 v16, -v11, v13, 1.0
	v_fmac_f32_e32 v12, v15, v12
	v_div_scale_f32 v14, s[0:1], v8, v0, v8
	v_fmac_f32_e32 v13, v16, v13
	v_mul_f32_e32 v15, v10, v12
	v_mul_f32_e32 v16, v14, v13
	v_fma_f32 v17, -v3, v15, v10
	v_fma_f32 v18, -v11, v16, v14
	v_fmac_f32_e32 v15, v17, v12
	v_fmac_f32_e32 v16, v18, v13
	v_fma_f32 v3, -v3, v15, v10
	v_fma_f32 v10, -v11, v16, v14
	v_div_fmas_f32 v3, v3, v12, v15
	s_mov_b64 vcc, s[0:1]
	v_div_fixup_f32 v9, v3, v1, v9
	v_div_fmas_f32 v3, v10, v13, v16
	v_div_fixup_f32 v8, v3, v0, v8
	global_store_dwordx2 v[6:7], v[8:9], off
	s_cbranch_scc1 .LBB315_15
; %bb.16:
	s_cmp_lg_u32 s2, s8
	s_cselect_b64 s[0:1], -1, 0
.LBB315_17:
	s_and_b64 vcc, exec, s[0:1]
	s_cbranch_vccz .LBB315_20
; %bb.18:
	v_ashrrev_i32_e32 v1, 31, v4
	v_add_co_u32_e32 v2, vcc, s2, v4
	v_addc_co_u32_e32 v3, vcc, 0, v1, vcc
	v_lshlrev_b64 v[2:3], 2, v[2:3]
	v_mov_b32_e32 v1, s13
	v_add_co_u32_e32 v2, vcc, s12, v2
	s_sub_i32 s0, s8, s2
	v_addc_co_u32_e32 v3, vcc, v1, v3, vcc
.LBB315_19:                             ; =>This Inner Loop Header: Depth=1
	global_load_dword v1, v[2:3], off
	s_add_i32 s0, s0, -1
	s_cmp_lg_u32 s0, 0
	s_waitcnt vmcnt(0)
	v_div_scale_f32 v4, s[2:3], v0, v0, v1
	v_rcp_f32_e32 v5, v4
	v_div_scale_f32 v6, vcc, v1, v0, v1
	v_fma_f32 v7, -v4, v5, 1.0
	v_fmac_f32_e32 v5, v7, v5
	v_mul_f32_e32 v7, v6, v5
	v_fma_f32 v8, -v4, v7, v6
	v_fmac_f32_e32 v7, v8, v5
	v_fma_f32 v4, -v4, v7, v6
	v_div_fmas_f32 v4, v4, v5, v7
	v_div_fixup_f32 v1, v4, v0, v1
	global_store_dword v[2:3], v1, off
	v_add_co_u32_e32 v2, vcc, 4, v2
	v_addc_co_u32_e32 v3, vcc, 0, v3, vcc
	s_cbranch_scc1 .LBB315_19
.LBB315_20:
	s_endpgm
	.section	.rodata,"a",@progbits
	.p2align	6, 0x0
	.amdhsa_kernel _ZN4vllm3moe10topkGatingILi4ELi4ELi4ELi8ELi32Ei14__hip_bfloat16LNS0_11ScoringFuncE1EEEvPKT5_PKbPfiPT4_PiiiibPKf
		.amdhsa_group_segment_fixed_size 0
		.amdhsa_private_segment_fixed_size 0
		.amdhsa_kernarg_size 72
		.amdhsa_user_sgpr_count 6
		.amdhsa_user_sgpr_private_segment_buffer 1
		.amdhsa_user_sgpr_dispatch_ptr 0
		.amdhsa_user_sgpr_queue_ptr 0
		.amdhsa_user_sgpr_kernarg_segment_ptr 1
		.amdhsa_user_sgpr_dispatch_id 0
		.amdhsa_user_sgpr_flat_scratch_init 0
		.amdhsa_user_sgpr_kernarg_preload_length 0
		.amdhsa_user_sgpr_kernarg_preload_offset 0
		.amdhsa_user_sgpr_private_segment_size 0
		.amdhsa_uses_dynamic_stack 0
		.amdhsa_system_sgpr_private_segment_wavefront_offset 0
		.amdhsa_system_sgpr_workgroup_id_x 1
		.amdhsa_system_sgpr_workgroup_id_y 0
		.amdhsa_system_sgpr_workgroup_id_z 0
		.amdhsa_system_sgpr_workgroup_info 0
		.amdhsa_system_vgpr_workitem_id 1
		.amdhsa_next_free_vgpr 24
		.amdhsa_next_free_sgpr 24
		.amdhsa_accum_offset 24
		.amdhsa_reserve_vcc 1
		.amdhsa_reserve_flat_scratch 0
		.amdhsa_float_round_mode_32 0
		.amdhsa_float_round_mode_16_64 0
		.amdhsa_float_denorm_mode_32 3
		.amdhsa_float_denorm_mode_16_64 3
		.amdhsa_dx10_clamp 1
		.amdhsa_ieee_mode 1
		.amdhsa_fp16_overflow 0
		.amdhsa_tg_split 0
		.amdhsa_exception_fp_ieee_invalid_op 0
		.amdhsa_exception_fp_denorm_src 0
		.amdhsa_exception_fp_ieee_div_zero 0
		.amdhsa_exception_fp_ieee_overflow 0
		.amdhsa_exception_fp_ieee_underflow 0
		.amdhsa_exception_fp_ieee_inexact 0
		.amdhsa_exception_int_div_zero 0
	.end_amdhsa_kernel
	.section	.text._ZN4vllm3moe10topkGatingILi4ELi4ELi4ELi8ELi32Ei14__hip_bfloat16LNS0_11ScoringFuncE1EEEvPKT5_PKbPfiPT4_PiiiibPKf,"axG",@progbits,_ZN4vllm3moe10topkGatingILi4ELi4ELi4ELi8ELi32Ei14__hip_bfloat16LNS0_11ScoringFuncE1EEEvPKT5_PKbPfiPT4_PiiiibPKf,comdat
.Lfunc_end315:
	.size	_ZN4vllm3moe10topkGatingILi4ELi4ELi4ELi8ELi32Ei14__hip_bfloat16LNS0_11ScoringFuncE1EEEvPKT5_PKbPfiPT4_PiiiibPKf, .Lfunc_end315-_ZN4vllm3moe10topkGatingILi4ELi4ELi4ELi8ELi32Ei14__hip_bfloat16LNS0_11ScoringFuncE1EEEvPKT5_PKbPfiPT4_PiiiibPKf
                                        ; -- End function
	.section	.AMDGPU.csdata,"",@progbits
; Kernel info:
; codeLenInByte = 1644
; NumSgprs: 28
; NumVgprs: 24
; NumAgprs: 0
; TotalNumVgprs: 24
; ScratchSize: 0
; MemoryBound: 1
; FloatMode: 240
; IeeeMode: 1
; LDSByteSize: 0 bytes/workgroup (compile time only)
; SGPRBlocks: 3
; VGPRBlocks: 2
; NumSGPRsForWavesPerEU: 28
; NumVGPRsForWavesPerEU: 24
; AccumOffset: 24
; Occupancy: 8
; WaveLimiterHint : 0
; COMPUTE_PGM_RSRC2:SCRATCH_EN: 0
; COMPUTE_PGM_RSRC2:USER_SGPR: 6
; COMPUTE_PGM_RSRC2:TRAP_HANDLER: 0
; COMPUTE_PGM_RSRC2:TGID_X_EN: 1
; COMPUTE_PGM_RSRC2:TGID_Y_EN: 0
; COMPUTE_PGM_RSRC2:TGID_Z_EN: 0
; COMPUTE_PGM_RSRC2:TIDIG_COMP_CNT: 1
; COMPUTE_PGM_RSRC3_GFX90A:ACCUM_OFFSET: 5
; COMPUTE_PGM_RSRC3_GFX90A:TG_SPLIT: 0
	.section	.text._ZN4vllm3moe10topkGatingILi8ELi8ELi4ELi16ELi64Ei14__hip_bfloat16LNS0_11ScoringFuncE1EEEvPKT5_PKbPfiPT4_PiiiibPKf,"axG",@progbits,_ZN4vllm3moe10topkGatingILi8ELi8ELi4ELi16ELi64Ei14__hip_bfloat16LNS0_11ScoringFuncE1EEEvPKT5_PKbPfiPT4_PiiiibPKf,comdat
	.protected	_ZN4vllm3moe10topkGatingILi8ELi8ELi4ELi16ELi64Ei14__hip_bfloat16LNS0_11ScoringFuncE1EEEvPKT5_PKbPfiPT4_PiiiibPKf ; -- Begin function _ZN4vllm3moe10topkGatingILi8ELi8ELi4ELi16ELi64Ei14__hip_bfloat16LNS0_11ScoringFuncE1EEEvPKT5_PKbPfiPT4_PiiiibPKf
	.globl	_ZN4vllm3moe10topkGatingILi8ELi8ELi4ELi16ELi64Ei14__hip_bfloat16LNS0_11ScoringFuncE1EEEvPKT5_PKbPfiPT4_PiiiibPKf
	.p2align	8
	.type	_ZN4vllm3moe10topkGatingILi8ELi8ELi4ELi16ELi64Ei14__hip_bfloat16LNS0_11ScoringFuncE1EEEvPKT5_PKbPfiPT4_PiiiibPKf,@function
_ZN4vllm3moe10topkGatingILi8ELi8ELi4ELi16ELi64Ei14__hip_bfloat16LNS0_11ScoringFuncE1EEEvPKT5_PKbPfiPT4_PiiiibPKf: ; @_ZN4vllm3moe10topkGatingILi8ELi8ELi4ELi16ELi64Ei14__hip_bfloat16LNS0_11ScoringFuncE1EEEvPKT5_PKbPfiPT4_PiiiibPKf
; %bb.0:
	s_load_dword s18, s[4:5], 0x18
	v_bfe_u32 v1, v0, 10, 10
	s_lshl_b32 s0, s6, 8
	v_lshlrev_b32_e32 v1, 6, v1
	v_and_b32_e32 v0, 0x3ff, v0
	v_add3_u32 v16, v1, v0, s0
	s_waitcnt lgkmcnt(0)
	v_cmp_gt_i32_e32 vcc, s18, v16
	s_and_saveexec_b64 s[0:1], vcc
	s_cbranch_execz .LBB316_20
; %bb.1:
	s_load_dwordx4 s[0:3], s[4:5], 0x0
	s_load_dwordx2 s[12:13], s[4:5], 0x10
	s_mov_b64 s[8:9], -1
	s_mov_b64 s[14:15], -1
	s_waitcnt lgkmcnt(0)
	s_cmp_eq_u64 s[2:3], 0
	s_cbranch_scc1 .LBB316_3
; %bb.2:
	v_ashrrev_i32_e32 v1, 31, v16
	v_mov_b32_e32 v2, s3
	v_add_co_u32_e32 v0, vcc, s2, v16
	v_addc_co_u32_e32 v1, vcc, v2, v1, vcc
	global_load_ubyte v0, v[0:1], off
	s_waitcnt vmcnt(0)
	v_and_b32_e32 v0, 1, v0
	v_cmp_eq_u32_e32 vcc, 1, v0
	s_xor_b64 s[2:3], vcc, -1
	s_orn2_b64 s[14:15], s[2:3], exec
.LBB316_3:
	v_lshlrev_b32_e32 v0, 3, v16
	v_ashrrev_i32_e32 v1, 31, v0
	v_lshlrev_b64 v[0:1], 1, v[0:1]
	v_mov_b32_e32 v2, s1
	v_add_co_u32_e32 v0, vcc, s0, v0
	v_addc_co_u32_e32 v1, vcc, v2, v1, vcc
	global_load_dwordx4 v[0:3], v[0:1], off
	v_mov_b32_e32 v8, 0x207
	s_load_dwordx2 s[10:11], s[4:5], 0x40
	s_waitcnt lgkmcnt(0)
	s_cmp_eq_u64 s[10:11], 0
	s_waitcnt vmcnt(0)
	v_lshlrev_b32_e32 v4, 16, v0
	v_and_b32_e32 v0, 0xffff0000, v0
	v_lshlrev_b32_e32 v5, 16, v1
	v_and_b32_e32 v1, 0xffff0000, v1
	v_mul_f32_e32 v4, 0xbfb8aa3b, v4
	v_mul_f32_e32 v9, 0xbfb8aa3b, v0
	v_lshlrev_b32_e32 v6, 16, v2
	v_and_b32_e32 v2, 0xffff0000, v2
	v_mul_f32_e32 v10, 0xbfb8aa3b, v1
	v_exp_f32_e32 v0, v4
	v_exp_f32_e32 v1, v9
	v_mul_f32_e32 v5, 0xbfb8aa3b, v5
	v_mul_f32_e32 v6, 0xbfb8aa3b, v6
	;; [unrolled: 1-line block ×3, first 2 shown]
	v_exp_f32_e32 v2, v5
	v_exp_f32_e32 v4, v6
	v_exp_f32_e32 v5, v11
	v_lshlrev_b32_e32 v7, 16, v3
	v_and_b32_e32 v3, 0xffff0000, v3
	v_mul_f32_e32 v12, 0xbfb8aa3b, v3
	v_exp_f32_e32 v3, v10
	v_pk_add_f32 v[0:1], v[0:1], 1.0 op_sel_hi:[1,0]
	v_div_scale_f32 v9, s[0:1], v1, v1, 1.0
	v_pk_add_f32 v[4:5], v[4:5], 1.0 op_sel_hi:[1,0]
	v_rcp_f32_e32 v19, v9
	v_div_scale_f32 v11, s[0:1], v0, v0, 1.0
	v_div_scale_f32 v18, s[16:17], v5, v5, 1.0
	v_pk_add_f32 v[2:3], v[2:3], 1.0 op_sel_hi:[1,0]
	v_rcp_f32_e32 v20, v11
	v_rcp_f32_e32 v23, v18
	v_div_scale_f32 v13, s[2:3], v3, v3, 1.0
	v_rcp_f32_e32 v21, v13
	v_fma_f32 v24, -v9, v19, 1.0
	v_div_scale_f32 v10, vcc, 1.0, v1, 1.0
	v_div_scale_f32 v15, s[6:7], v2, v2, 1.0
	v_fmac_f32_e32 v19, v24, v19
	v_mul_f32_e32 v7, 0xbfb8aa3b, v7
	v_rcp_f32_e32 v22, v15
	v_fma_f32 v25, -v11, v20, 1.0
	v_fma_f32 v28, -v18, v23, 1.0
	v_mul_f32_e32 v24, v10, v19
	v_exp_f32_e32 v6, v7
	v_exp_f32_e32 v7, v12
	v_div_scale_f32 v12, s[0:1], 1.0, v0, 1.0
	v_fmac_f32_e32 v20, v25, v20
	v_fmac_f32_e32 v23, v28, v23
	v_fma_f32 v28, -v9, v24, v10
	v_fma_f32 v26, -v13, v21, 1.0
	v_mul_f32_e32 v25, v12, v20
	v_fmac_f32_e32 v24, v28, v19
	v_div_scale_f32 v14, s[2:3], 1.0, v3, 1.0
	v_fmac_f32_e32 v21, v26, v21
	v_fma_f32 v29, -v11, v25, v12
	v_fma_f32 v9, -v9, v24, v10
	v_fma_f32 v27, -v15, v22, 1.0
	v_mul_f32_e32 v26, v14, v21
	v_fmac_f32_e32 v25, v29, v20
	v_div_fmas_f32 v9, v9, v19, v24
	v_div_scale_f32 v17, s[6:7], 1.0, v2, 1.0
	v_fmac_f32_e32 v22, v27, v22
	v_fma_f32 v30, -v13, v26, v14
	v_fma_f32 v10, -v11, v25, v12
	v_div_fixup_f32 v1, v9, v1, 1.0
	s_mov_b64 vcc, s[0:1]
	v_mul_f32_e32 v27, v17, v22
	v_fmac_f32_e32 v26, v30, v21
	v_div_fmas_f32 v9, v10, v20, v25
	v_cmp_class_f32_e32 vcc, v1, v8
	v_fma_f32 v31, -v15, v27, v17
	v_fma_f32 v11, -v13, v26, v14
	v_div_fixup_f32 v0, v9, v0, 1.0
	v_cndmask_b32_e64 v1, v1, 0, vcc
	s_mov_b64 vcc, s[2:3]
	v_fmac_f32_e32 v27, v31, v22
	v_div_fmas_f32 v9, v11, v21, v26
	v_cmp_class_f32_e32 vcc, v0, v8
	v_fma_f32 v12, -v15, v27, v17
	v_cndmask_b32_e64 v0, v0, 0, vcc
	s_mov_b64 vcc, s[6:7]
	v_div_fixup_f32 v3, v9, v3, 1.0
	v_div_fmas_f32 v9, v12, v22, v27
	v_div_fixup_f32 v2, v9, v2, 1.0
	v_cmp_class_f32_e32 vcc, v3, v8
	v_cndmask_b32_e64 v3, v3, 0, vcc
	v_cmp_class_f32_e32 vcc, v2, v8
	v_cndmask_b32_e64 v2, v2, 0, vcc
	v_div_scale_f32 v9, vcc, 1.0, v5, 1.0
	v_mul_f32_e32 v10, v9, v23
	v_fma_f32 v11, -v18, v10, v9
	v_fmac_f32_e32 v10, v11, v23
	v_div_scale_f32 v11, s[0:1], v4, v4, 1.0
	v_rcp_f32_e32 v12, v11
	v_fma_f32 v9, -v18, v10, v9
	v_div_fmas_f32 v9, v9, v23, v10
	v_div_fixup_f32 v5, v9, v5, 1.0
	v_fma_f32 v9, -v11, v12, 1.0
	v_fmac_f32_e32 v12, v9, v12
	v_div_scale_f32 v9, vcc, 1.0, v4, 1.0
	v_mul_f32_e32 v10, v9, v12
	v_fma_f32 v13, -v11, v10, v9
	v_fmac_f32_e32 v10, v13, v12
	v_fma_f32 v9, -v11, v10, v9
	v_div_fmas_f32 v9, v9, v12, v10
	v_pk_add_f32 v[6:7], v[6:7], 1.0 op_sel_hi:[1,0]
	v_div_fixup_f32 v4, v9, v4, 1.0
	v_div_scale_f32 v9, s[0:1], v7, v7, 1.0
	v_rcp_f32_e32 v10, v9
	v_cmp_class_f32_e32 vcc, v5, v8
	v_cndmask_b32_e64 v5, v5, 0, vcc
	v_cmp_class_f32_e32 vcc, v4, v8
	v_fma_f32 v11, -v9, v10, 1.0
	v_cndmask_b32_e64 v4, v4, 0, vcc
	v_fmac_f32_e32 v10, v11, v10
	v_div_scale_f32 v11, vcc, 1.0, v7, 1.0
	v_mul_f32_e32 v12, v11, v10
	v_fma_f32 v13, -v9, v12, v11
	v_fmac_f32_e32 v12, v13, v10
	v_fma_f32 v9, -v9, v12, v11
	v_div_scale_f32 v11, s[0:1], v6, v6, 1.0
	v_rcp_f32_e32 v13, v11
	v_div_fmas_f32 v9, v9, v10, v12
	v_div_fixup_f32 v7, v9, v7, 1.0
	v_fma_f32 v9, -v11, v13, 1.0
	v_fmac_f32_e32 v13, v9, v13
	v_div_scale_f32 v9, vcc, 1.0, v6, 1.0
	v_mul_f32_e32 v10, v9, v13
	v_fma_f32 v12, -v11, v10, v9
	v_fmac_f32_e32 v10, v12, v13
	v_fma_f32 v9, -v11, v10, v9
	v_div_fmas_f32 v9, v9, v13, v10
	v_div_fixup_f32 v6, v9, v6, 1.0
	v_cmp_class_f32_e32 vcc, v7, v8
	v_cndmask_b32_e64 v7, v7, 0, vcc
	v_cmp_class_f32_e32 vcc, v6, v8
	v_cndmask_b32_e64 v6, v6, 0, vcc
	s_cbranch_scc1 .LBB316_10
; %bb.4:
	s_load_dwordx8 s[20:27], s[10:11], 0x0
	s_waitcnt lgkmcnt(0)
	v_pk_add_f32 v[8:9], s[20:21], v[0:1]
	v_pk_add_f32 v[10:11], s[22:23], v[2:3]
	;; [unrolled: 1-line block ×4, first 2 shown]
	s_cbranch_execnz .LBB316_6
.LBB316_5:
	v_pk_mov_b32 v[14:15], v[6:7], v[6:7] op_sel:[0,1]
	v_pk_mov_b32 v[12:13], v[4:5], v[4:5] op_sel:[0,1]
	;; [unrolled: 1-line block ×4, first 2 shown]
.LBB316_6:
	s_load_dwordx4 s[8:11], s[4:5], 0x30
	s_waitcnt lgkmcnt(0)
	s_bitcmp1_b32 s11, 0
	s_cselect_b64 vcc, -1, 0
	s_cmp_gt_i32 s8, 0
	s_cselect_b64 s[16:17], -1, 0
	s_cmp_lt_i32 s8, 1
	s_mov_b32 s11, 0
	s_cbranch_scc1 .LBB316_11
; %bb.7:
	s_load_dwordx4 s[4:7], s[4:5], 0x20
	v_mul_lo_u32 v18, v16, s8
	v_mov_b32_e32 v17, 0
	v_mov_b32_e32 v19, s13
	;; [unrolled: 1-line block ×3, first 2 shown]
	s_waitcnt lgkmcnt(0)
	v_mov_b32_e32 v20, s5
	v_mov_b32_e32 v21, s7
	v_mov_b32_e32 v23, v16
.LBB316_8:                              ; =>This Inner Loop Header: Depth=1
	v_cmp_gt_f32_e64 s[0:1], v9, v8
	v_cndmask_b32_e64 v26, v8, v9, s[0:1]
	v_cndmask_b32_e64 v24, 0, 1, s[0:1]
	v_cndmask_b32_e64 v25, v0, v1, s[0:1]
	v_cmp_gt_f32_e64 s[0:1], v10, v26
	v_cndmask_b32_e64 v26, v26, v10, s[0:1]
	v_cndmask_b32_e64 v24, v24, 2, s[0:1]
	v_cndmask_b32_e64 v25, v25, v2, s[0:1]
	;; [unrolled: 4-line block ×6, first 2 shown]
	v_cmp_gt_f32_e64 s[0:1], v15, v26
	v_cndmask_b32_e64 v28, v24, 7, s[0:1]
	v_add_u32_e32 v24, s11, v18
	v_cndmask_b32_e64 v29, v25, v7, s[0:1]
	v_ashrrev_i32_e32 v25, 31, v24
	v_cmp_le_i32_e64 s[0:1], s9, v28
	v_cmp_gt_i32_e64 s[2:3], s10, v28
	v_lshlrev_b64 v[24:25], 2, v[24:25]
	s_and_b64 s[2:3], s[0:1], s[2:3]
	v_add_co_u32_e64 v26, s[0:1], s12, v24
	v_addc_co_u32_e64 v27, s[0:1], v19, v25, s[0:1]
	global_store_dword v[26:27], v29, off
	v_subrev_u32_e32 v26, s9, v28
	s_and_b64 s[0:1], s[14:15], s[2:3]
	v_cndmask_b32_e64 v30, 8, v26, s[0:1]
	v_add_co_u32_e64 v26, s[0:1], s4, v24
	v_addc_co_u32_e64 v27, s[0:1], v20, v25, s[0:1]
	v_add_co_u32_e64 v24, s[0:1], s6, v24
	v_addc_co_u32_e64 v25, s[0:1], v21, v25, s[0:1]
	global_store_dword v[26:27], v30, off
	global_store_dword v[24:25], v23, off
	v_add_f32_e32 v24, v17, v29
	v_cmp_ne_u32_e64 s[0:1], 0, v28
	v_cndmask_b32_e32 v17, v17, v24, vcc
	v_cndmask_b32_e64 v24, v22, v8, s[0:1]
	v_cmp_ne_u32_e64 s[0:1], 1, v28
	v_cndmask_b32_e64 v25, v22, v9, s[0:1]
	v_cmp_ne_u32_e64 s[0:1], 2, v28
	;; [unrolled: 2-line block ×5, first 2 shown]
	s_add_i32 s11, s11, 1
	v_cndmask_b32_e64 v30, v22, v13, s[0:1]
	v_cmp_ne_u32_e64 s[0:1], 6, v28
	s_cmp_lt_i32 s11, s8
	v_cndmask_b32_e64 v31, v22, v14, s[0:1]
	v_cmp_ne_u32_e64 s[0:1], 7, v28
	v_cndmask_b32_e64 v28, v22, v15, s[0:1]
	s_cselect_b64 s[0:1], -1, 0
	v_cndmask_b32_e64 v15, v15, v28, s[0:1]
	v_cndmask_b32_e64 v14, v14, v31, s[0:1]
	;; [unrolled: 1-line block ×8, first 2 shown]
	s_cmp_eq_u32 s8, s11
	v_add_u32_e32 v23, s18, v23
	s_cbranch_scc0 .LBB316_8
; %bb.9:
	s_and_b64 vcc, exec, vcc
	s_cbranch_vccnz .LBB316_12
	s_branch .LBB316_20
.LBB316_10:
                                        ; implicit-def: $vgpr8_vgpr9_vgpr10_vgpr11_vgpr12_vgpr13_vgpr14_vgpr15
	s_andn2_b64 vcc, exec, s[8:9]
	s_cbranch_vccz .LBB316_5
	s_branch .LBB316_6
.LBB316_11:
	v_mov_b32_e32 v17, 0
	s_and_b64 vcc, exec, vcc
	s_cbranch_vccz .LBB316_20
.LBB316_12:
	s_andn2_b64 vcc, exec, s[16:17]
	s_cbranch_vccnz .LBB316_20
; %bb.13:
	v_cmp_lt_f32_e32 vcc, 0, v17
	s_mov_b32 s2, 0
	v_cndmask_b32_e32 v0, 1.0, v17, vcc
	v_mul_lo_u32 v4, v16, s8
	s_cmp_eq_u32 s8, 1
	s_mov_b64 s[0:1], -1
	s_cbranch_scc1 .LBB316_17
; %bb.14:
	s_and_b32 s2, s8, 0x7ffffffe
	v_mov_b32_e32 v1, v0
	v_mov_b32_e32 v5, s13
	s_mov_b32 s3, s2
	v_mov_b32_e32 v2, v4
.LBB316_15:                             ; =>This Inner Loop Header: Depth=1
	v_ashrrev_i32_e32 v3, 31, v2
	v_lshlrev_b64 v[6:7], 2, v[2:3]
	v_add_co_u32_e32 v6, vcc, s12, v6
	v_addc_co_u32_e32 v7, vcc, v5, v7, vcc
	global_load_dwordx2 v[8:9], v[6:7], off
	s_add_i32 s3, s3, -2
	s_cmp_lg_u32 s3, 0
	v_add_u32_e32 v2, 2, v2
	s_waitcnt vmcnt(0)
	v_div_scale_f32 v3, s[0:1], v1, v1, v9
	v_div_scale_f32 v11, s[0:1], v0, v0, v8
	v_rcp_f32_e32 v12, v3
	v_rcp_f32_e32 v13, v11
	v_div_scale_f32 v10, vcc, v9, v1, v9
	v_fma_f32 v15, -v3, v12, 1.0
	v_fma_f32 v16, -v11, v13, 1.0
	v_fmac_f32_e32 v12, v15, v12
	v_div_scale_f32 v14, s[0:1], v8, v0, v8
	v_fmac_f32_e32 v13, v16, v13
	v_mul_f32_e32 v15, v10, v12
	v_mul_f32_e32 v16, v14, v13
	v_fma_f32 v17, -v3, v15, v10
	v_fma_f32 v18, -v11, v16, v14
	v_fmac_f32_e32 v15, v17, v12
	v_fmac_f32_e32 v16, v18, v13
	v_fma_f32 v3, -v3, v15, v10
	v_fma_f32 v10, -v11, v16, v14
	v_div_fmas_f32 v3, v3, v12, v15
	s_mov_b64 vcc, s[0:1]
	v_div_fixup_f32 v9, v3, v1, v9
	v_div_fmas_f32 v3, v10, v13, v16
	v_div_fixup_f32 v8, v3, v0, v8
	global_store_dwordx2 v[6:7], v[8:9], off
	s_cbranch_scc1 .LBB316_15
; %bb.16:
	s_cmp_lg_u32 s2, s8
	s_cselect_b64 s[0:1], -1, 0
.LBB316_17:
	s_and_b64 vcc, exec, s[0:1]
	s_cbranch_vccz .LBB316_20
; %bb.18:
	v_ashrrev_i32_e32 v1, 31, v4
	v_add_co_u32_e32 v2, vcc, s2, v4
	v_addc_co_u32_e32 v3, vcc, 0, v1, vcc
	v_lshlrev_b64 v[2:3], 2, v[2:3]
	v_mov_b32_e32 v1, s13
	v_add_co_u32_e32 v2, vcc, s12, v2
	s_sub_i32 s0, s8, s2
	v_addc_co_u32_e32 v3, vcc, v1, v3, vcc
.LBB316_19:                             ; =>This Inner Loop Header: Depth=1
	global_load_dword v1, v[2:3], off
	s_add_i32 s0, s0, -1
	s_cmp_lg_u32 s0, 0
	s_waitcnt vmcnt(0)
	v_div_scale_f32 v4, s[2:3], v0, v0, v1
	v_rcp_f32_e32 v5, v4
	v_div_scale_f32 v6, vcc, v1, v0, v1
	v_fma_f32 v7, -v4, v5, 1.0
	v_fmac_f32_e32 v5, v7, v5
	v_mul_f32_e32 v7, v6, v5
	v_fma_f32 v8, -v4, v7, v6
	v_fmac_f32_e32 v7, v8, v5
	v_fma_f32 v4, -v4, v7, v6
	v_div_fmas_f32 v4, v4, v5, v7
	v_div_fixup_f32 v1, v4, v0, v1
	global_store_dword v[2:3], v1, off
	v_add_co_u32_e32 v2, vcc, 4, v2
	v_addc_co_u32_e32 v3, vcc, 0, v3, vcc
	s_cbranch_scc1 .LBB316_19
.LBB316_20:
	s_endpgm
	.section	.rodata,"a",@progbits
	.p2align	6, 0x0
	.amdhsa_kernel _ZN4vllm3moe10topkGatingILi8ELi8ELi4ELi16ELi64Ei14__hip_bfloat16LNS0_11ScoringFuncE1EEEvPKT5_PKbPfiPT4_PiiiibPKf
		.amdhsa_group_segment_fixed_size 0
		.amdhsa_private_segment_fixed_size 0
		.amdhsa_kernarg_size 72
		.amdhsa_user_sgpr_count 6
		.amdhsa_user_sgpr_private_segment_buffer 1
		.amdhsa_user_sgpr_dispatch_ptr 0
		.amdhsa_user_sgpr_queue_ptr 0
		.amdhsa_user_sgpr_kernarg_segment_ptr 1
		.amdhsa_user_sgpr_dispatch_id 0
		.amdhsa_user_sgpr_flat_scratch_init 0
		.amdhsa_user_sgpr_kernarg_preload_length 0
		.amdhsa_user_sgpr_kernarg_preload_offset 0
		.amdhsa_user_sgpr_private_segment_size 0
		.amdhsa_uses_dynamic_stack 0
		.amdhsa_system_sgpr_private_segment_wavefront_offset 0
		.amdhsa_system_sgpr_workgroup_id_x 1
		.amdhsa_system_sgpr_workgroup_id_y 0
		.amdhsa_system_sgpr_workgroup_id_z 0
		.amdhsa_system_sgpr_workgroup_info 0
		.amdhsa_system_vgpr_workitem_id 1
		.amdhsa_next_free_vgpr 32
		.amdhsa_next_free_sgpr 28
		.amdhsa_accum_offset 32
		.amdhsa_reserve_vcc 1
		.amdhsa_reserve_flat_scratch 0
		.amdhsa_float_round_mode_32 0
		.amdhsa_float_round_mode_16_64 0
		.amdhsa_float_denorm_mode_32 3
		.amdhsa_float_denorm_mode_16_64 3
		.amdhsa_dx10_clamp 1
		.amdhsa_ieee_mode 1
		.amdhsa_fp16_overflow 0
		.amdhsa_tg_split 0
		.amdhsa_exception_fp_ieee_invalid_op 0
		.amdhsa_exception_fp_denorm_src 0
		.amdhsa_exception_fp_ieee_div_zero 0
		.amdhsa_exception_fp_ieee_overflow 0
		.amdhsa_exception_fp_ieee_underflow 0
		.amdhsa_exception_fp_ieee_inexact 0
		.amdhsa_exception_int_div_zero 0
	.end_amdhsa_kernel
	.section	.text._ZN4vllm3moe10topkGatingILi8ELi8ELi4ELi16ELi64Ei14__hip_bfloat16LNS0_11ScoringFuncE1EEEvPKT5_PKbPfiPT4_PiiiibPKf,"axG",@progbits,_ZN4vllm3moe10topkGatingILi8ELi8ELi4ELi16ELi64Ei14__hip_bfloat16LNS0_11ScoringFuncE1EEEvPKT5_PKbPfiPT4_PiiiibPKf,comdat
.Lfunc_end316:
	.size	_ZN4vllm3moe10topkGatingILi8ELi8ELi4ELi16ELi64Ei14__hip_bfloat16LNS0_11ScoringFuncE1EEEvPKT5_PKbPfiPT4_PiiiibPKf, .Lfunc_end316-_ZN4vllm3moe10topkGatingILi8ELi8ELi4ELi16ELi64Ei14__hip_bfloat16LNS0_11ScoringFuncE1EEEvPKT5_PKbPfiPT4_PiiiibPKf
                                        ; -- End function
	.section	.AMDGPU.csdata,"",@progbits
; Kernel info:
; codeLenInByte = 2268
; NumSgprs: 32
; NumVgprs: 32
; NumAgprs: 0
; TotalNumVgprs: 32
; ScratchSize: 0
; MemoryBound: 1
; FloatMode: 240
; IeeeMode: 1
; LDSByteSize: 0 bytes/workgroup (compile time only)
; SGPRBlocks: 3
; VGPRBlocks: 3
; NumSGPRsForWavesPerEU: 32
; NumVGPRsForWavesPerEU: 32
; AccumOffset: 32
; Occupancy: 8
; WaveLimiterHint : 0
; COMPUTE_PGM_RSRC2:SCRATCH_EN: 0
; COMPUTE_PGM_RSRC2:USER_SGPR: 6
; COMPUTE_PGM_RSRC2:TRAP_HANDLER: 0
; COMPUTE_PGM_RSRC2:TGID_X_EN: 1
; COMPUTE_PGM_RSRC2:TGID_Y_EN: 0
; COMPUTE_PGM_RSRC2:TGID_Z_EN: 0
; COMPUTE_PGM_RSRC2:TIDIG_COMP_CNT: 1
; COMPUTE_PGM_RSRC3_GFX90A:ACCUM_OFFSET: 7
; COMPUTE_PGM_RSRC3_GFX90A:TG_SPLIT: 0
	.section	.text._ZN4vllm3moe10topkGatingILi8ELi8ELi4ELi16ELi32Ei14__hip_bfloat16LNS0_11ScoringFuncE1EEEvPKT5_PKbPfiPT4_PiiiibPKf,"axG",@progbits,_ZN4vllm3moe10topkGatingILi8ELi8ELi4ELi16ELi32Ei14__hip_bfloat16LNS0_11ScoringFuncE1EEEvPKT5_PKbPfiPT4_PiiiibPKf,comdat
	.protected	_ZN4vllm3moe10topkGatingILi8ELi8ELi4ELi16ELi32Ei14__hip_bfloat16LNS0_11ScoringFuncE1EEEvPKT5_PKbPfiPT4_PiiiibPKf ; -- Begin function _ZN4vllm3moe10topkGatingILi8ELi8ELi4ELi16ELi32Ei14__hip_bfloat16LNS0_11ScoringFuncE1EEEvPKT5_PKbPfiPT4_PiiiibPKf
	.globl	_ZN4vllm3moe10topkGatingILi8ELi8ELi4ELi16ELi32Ei14__hip_bfloat16LNS0_11ScoringFuncE1EEEvPKT5_PKbPfiPT4_PiiiibPKf
	.p2align	8
	.type	_ZN4vllm3moe10topkGatingILi8ELi8ELi4ELi16ELi32Ei14__hip_bfloat16LNS0_11ScoringFuncE1EEEvPKT5_PKbPfiPT4_PiiiibPKf,@function
_ZN4vllm3moe10topkGatingILi8ELi8ELi4ELi16ELi32Ei14__hip_bfloat16LNS0_11ScoringFuncE1EEEvPKT5_PKbPfiPT4_PiiiibPKf: ; @_ZN4vllm3moe10topkGatingILi8ELi8ELi4ELi16ELi32Ei14__hip_bfloat16LNS0_11ScoringFuncE1EEEvPKT5_PKbPfiPT4_PiiiibPKf
; %bb.0:
	s_load_dword s18, s[4:5], 0x18
	v_bfe_u32 v1, v0, 10, 10
	s_lshl_b32 s0, s6, 7
	v_lshlrev_b32_e32 v1, 5, v1
	v_and_b32_e32 v0, 0x3ff, v0
	v_add3_u32 v16, v1, v0, s0
	s_waitcnt lgkmcnt(0)
	v_cmp_gt_i32_e32 vcc, s18, v16
	s_and_saveexec_b64 s[0:1], vcc
	s_cbranch_execz .LBB317_20
; %bb.1:
	s_load_dwordx4 s[0:3], s[4:5], 0x0
	s_load_dwordx2 s[12:13], s[4:5], 0x10
	s_mov_b64 s[8:9], -1
	s_mov_b64 s[14:15], -1
	s_waitcnt lgkmcnt(0)
	s_cmp_eq_u64 s[2:3], 0
	s_cbranch_scc1 .LBB317_3
; %bb.2:
	v_ashrrev_i32_e32 v1, 31, v16
	v_mov_b32_e32 v2, s3
	v_add_co_u32_e32 v0, vcc, s2, v16
	v_addc_co_u32_e32 v1, vcc, v2, v1, vcc
	global_load_ubyte v0, v[0:1], off
	s_waitcnt vmcnt(0)
	v_and_b32_e32 v0, 1, v0
	v_cmp_eq_u32_e32 vcc, 1, v0
	s_xor_b64 s[2:3], vcc, -1
	s_orn2_b64 s[14:15], s[2:3], exec
.LBB317_3:
	v_lshlrev_b32_e32 v0, 3, v16
	v_ashrrev_i32_e32 v1, 31, v0
	v_lshlrev_b64 v[0:1], 1, v[0:1]
	v_mov_b32_e32 v2, s1
	v_add_co_u32_e32 v0, vcc, s0, v0
	v_addc_co_u32_e32 v1, vcc, v2, v1, vcc
	global_load_dwordx4 v[0:3], v[0:1], off
	v_mov_b32_e32 v8, 0x207
	s_load_dwordx2 s[10:11], s[4:5], 0x40
	s_waitcnt lgkmcnt(0)
	s_cmp_eq_u64 s[10:11], 0
	s_waitcnt vmcnt(0)
	v_lshlrev_b32_e32 v4, 16, v0
	v_and_b32_e32 v0, 0xffff0000, v0
	v_lshlrev_b32_e32 v5, 16, v1
	v_and_b32_e32 v1, 0xffff0000, v1
	v_mul_f32_e32 v4, 0xbfb8aa3b, v4
	v_mul_f32_e32 v9, 0xbfb8aa3b, v0
	v_lshlrev_b32_e32 v6, 16, v2
	v_and_b32_e32 v2, 0xffff0000, v2
	v_mul_f32_e32 v10, 0xbfb8aa3b, v1
	v_exp_f32_e32 v0, v4
	v_exp_f32_e32 v1, v9
	v_mul_f32_e32 v5, 0xbfb8aa3b, v5
	v_mul_f32_e32 v6, 0xbfb8aa3b, v6
	;; [unrolled: 1-line block ×3, first 2 shown]
	v_exp_f32_e32 v2, v5
	v_exp_f32_e32 v4, v6
	;; [unrolled: 1-line block ×3, first 2 shown]
	v_lshlrev_b32_e32 v7, 16, v3
	v_and_b32_e32 v3, 0xffff0000, v3
	v_mul_f32_e32 v12, 0xbfb8aa3b, v3
	v_exp_f32_e32 v3, v10
	v_pk_add_f32 v[0:1], v[0:1], 1.0 op_sel_hi:[1,0]
	v_div_scale_f32 v9, s[0:1], v1, v1, 1.0
	v_pk_add_f32 v[4:5], v[4:5], 1.0 op_sel_hi:[1,0]
	v_rcp_f32_e32 v19, v9
	v_div_scale_f32 v11, s[0:1], v0, v0, 1.0
	v_div_scale_f32 v18, s[16:17], v5, v5, 1.0
	v_pk_add_f32 v[2:3], v[2:3], 1.0 op_sel_hi:[1,0]
	v_rcp_f32_e32 v20, v11
	v_rcp_f32_e32 v23, v18
	v_div_scale_f32 v13, s[2:3], v3, v3, 1.0
	v_rcp_f32_e32 v21, v13
	v_fma_f32 v24, -v9, v19, 1.0
	v_div_scale_f32 v10, vcc, 1.0, v1, 1.0
	v_div_scale_f32 v15, s[6:7], v2, v2, 1.0
	v_fmac_f32_e32 v19, v24, v19
	v_mul_f32_e32 v7, 0xbfb8aa3b, v7
	v_rcp_f32_e32 v22, v15
	v_fma_f32 v25, -v11, v20, 1.0
	v_fma_f32 v28, -v18, v23, 1.0
	v_mul_f32_e32 v24, v10, v19
	v_exp_f32_e32 v6, v7
	v_exp_f32_e32 v7, v12
	v_div_scale_f32 v12, s[0:1], 1.0, v0, 1.0
	v_fmac_f32_e32 v20, v25, v20
	v_fmac_f32_e32 v23, v28, v23
	v_fma_f32 v28, -v9, v24, v10
	v_fma_f32 v26, -v13, v21, 1.0
	v_mul_f32_e32 v25, v12, v20
	v_fmac_f32_e32 v24, v28, v19
	v_div_scale_f32 v14, s[2:3], 1.0, v3, 1.0
	v_fmac_f32_e32 v21, v26, v21
	v_fma_f32 v29, -v11, v25, v12
	v_fma_f32 v9, -v9, v24, v10
	v_fma_f32 v27, -v15, v22, 1.0
	v_mul_f32_e32 v26, v14, v21
	v_fmac_f32_e32 v25, v29, v20
	v_div_fmas_f32 v9, v9, v19, v24
	v_div_scale_f32 v17, s[6:7], 1.0, v2, 1.0
	v_fmac_f32_e32 v22, v27, v22
	v_fma_f32 v30, -v13, v26, v14
	v_fma_f32 v10, -v11, v25, v12
	v_div_fixup_f32 v1, v9, v1, 1.0
	s_mov_b64 vcc, s[0:1]
	v_mul_f32_e32 v27, v17, v22
	v_fmac_f32_e32 v26, v30, v21
	v_div_fmas_f32 v9, v10, v20, v25
	v_cmp_class_f32_e32 vcc, v1, v8
	v_fma_f32 v31, -v15, v27, v17
	v_fma_f32 v11, -v13, v26, v14
	v_div_fixup_f32 v0, v9, v0, 1.0
	v_cndmask_b32_e64 v1, v1, 0, vcc
	s_mov_b64 vcc, s[2:3]
	v_fmac_f32_e32 v27, v31, v22
	v_div_fmas_f32 v9, v11, v21, v26
	v_cmp_class_f32_e32 vcc, v0, v8
	v_fma_f32 v12, -v15, v27, v17
	v_cndmask_b32_e64 v0, v0, 0, vcc
	s_mov_b64 vcc, s[6:7]
	v_div_fixup_f32 v3, v9, v3, 1.0
	v_div_fmas_f32 v9, v12, v22, v27
	v_div_fixup_f32 v2, v9, v2, 1.0
	v_cmp_class_f32_e32 vcc, v3, v8
	v_cndmask_b32_e64 v3, v3, 0, vcc
	v_cmp_class_f32_e32 vcc, v2, v8
	v_cndmask_b32_e64 v2, v2, 0, vcc
	v_div_scale_f32 v9, vcc, 1.0, v5, 1.0
	v_mul_f32_e32 v10, v9, v23
	v_fma_f32 v11, -v18, v10, v9
	v_fmac_f32_e32 v10, v11, v23
	v_div_scale_f32 v11, s[0:1], v4, v4, 1.0
	v_rcp_f32_e32 v12, v11
	v_fma_f32 v9, -v18, v10, v9
	v_div_fmas_f32 v9, v9, v23, v10
	v_div_fixup_f32 v5, v9, v5, 1.0
	v_fma_f32 v9, -v11, v12, 1.0
	v_fmac_f32_e32 v12, v9, v12
	v_div_scale_f32 v9, vcc, 1.0, v4, 1.0
	v_mul_f32_e32 v10, v9, v12
	v_fma_f32 v13, -v11, v10, v9
	v_fmac_f32_e32 v10, v13, v12
	v_fma_f32 v9, -v11, v10, v9
	v_div_fmas_f32 v9, v9, v12, v10
	v_pk_add_f32 v[6:7], v[6:7], 1.0 op_sel_hi:[1,0]
	v_div_fixup_f32 v4, v9, v4, 1.0
	v_div_scale_f32 v9, s[0:1], v7, v7, 1.0
	v_rcp_f32_e32 v10, v9
	v_cmp_class_f32_e32 vcc, v5, v8
	v_cndmask_b32_e64 v5, v5, 0, vcc
	v_cmp_class_f32_e32 vcc, v4, v8
	v_fma_f32 v11, -v9, v10, 1.0
	v_cndmask_b32_e64 v4, v4, 0, vcc
	v_fmac_f32_e32 v10, v11, v10
	v_div_scale_f32 v11, vcc, 1.0, v7, 1.0
	v_mul_f32_e32 v12, v11, v10
	v_fma_f32 v13, -v9, v12, v11
	v_fmac_f32_e32 v12, v13, v10
	v_fma_f32 v9, -v9, v12, v11
	v_div_scale_f32 v11, s[0:1], v6, v6, 1.0
	v_rcp_f32_e32 v13, v11
	v_div_fmas_f32 v9, v9, v10, v12
	v_div_fixup_f32 v7, v9, v7, 1.0
	v_fma_f32 v9, -v11, v13, 1.0
	v_fmac_f32_e32 v13, v9, v13
	v_div_scale_f32 v9, vcc, 1.0, v6, 1.0
	v_mul_f32_e32 v10, v9, v13
	v_fma_f32 v12, -v11, v10, v9
	v_fmac_f32_e32 v10, v12, v13
	v_fma_f32 v9, -v11, v10, v9
	v_div_fmas_f32 v9, v9, v13, v10
	v_div_fixup_f32 v6, v9, v6, 1.0
	v_cmp_class_f32_e32 vcc, v7, v8
	v_cndmask_b32_e64 v7, v7, 0, vcc
	v_cmp_class_f32_e32 vcc, v6, v8
	v_cndmask_b32_e64 v6, v6, 0, vcc
	s_cbranch_scc1 .LBB317_10
; %bb.4:
	s_load_dwordx8 s[20:27], s[10:11], 0x0
	s_waitcnt lgkmcnt(0)
	v_pk_add_f32 v[8:9], s[20:21], v[0:1]
	v_pk_add_f32 v[10:11], s[22:23], v[2:3]
	v_pk_add_f32 v[12:13], s[24:25], v[4:5]
	v_pk_add_f32 v[14:15], s[26:27], v[6:7]
	s_cbranch_execnz .LBB317_6
.LBB317_5:
	v_pk_mov_b32 v[14:15], v[6:7], v[6:7] op_sel:[0,1]
	v_pk_mov_b32 v[12:13], v[4:5], v[4:5] op_sel:[0,1]
	;; [unrolled: 1-line block ×4, first 2 shown]
.LBB317_6:
	s_load_dwordx4 s[8:11], s[4:5], 0x30
	s_waitcnt lgkmcnt(0)
	s_bitcmp1_b32 s11, 0
	s_cselect_b64 vcc, -1, 0
	s_cmp_gt_i32 s8, 0
	s_cselect_b64 s[16:17], -1, 0
	s_cmp_lt_i32 s8, 1
	s_mov_b32 s11, 0
	s_cbranch_scc1 .LBB317_11
; %bb.7:
	s_load_dwordx4 s[4:7], s[4:5], 0x20
	v_mul_lo_u32 v18, v16, s8
	v_mov_b32_e32 v17, 0
	v_mov_b32_e32 v19, s13
	;; [unrolled: 1-line block ×3, first 2 shown]
	s_waitcnt lgkmcnt(0)
	v_mov_b32_e32 v20, s5
	v_mov_b32_e32 v21, s7
	;; [unrolled: 1-line block ×3, first 2 shown]
.LBB317_8:                              ; =>This Inner Loop Header: Depth=1
	v_cmp_gt_f32_e64 s[0:1], v9, v8
	v_cndmask_b32_e64 v26, v8, v9, s[0:1]
	v_cndmask_b32_e64 v24, 0, 1, s[0:1]
	v_cndmask_b32_e64 v25, v0, v1, s[0:1]
	v_cmp_gt_f32_e64 s[0:1], v10, v26
	v_cndmask_b32_e64 v26, v26, v10, s[0:1]
	v_cndmask_b32_e64 v24, v24, 2, s[0:1]
	v_cndmask_b32_e64 v25, v25, v2, s[0:1]
	;; [unrolled: 4-line block ×6, first 2 shown]
	v_cmp_gt_f32_e64 s[0:1], v15, v26
	v_cndmask_b32_e64 v28, v24, 7, s[0:1]
	v_add_u32_e32 v24, s11, v18
	v_cndmask_b32_e64 v29, v25, v7, s[0:1]
	v_ashrrev_i32_e32 v25, 31, v24
	v_cmp_le_i32_e64 s[0:1], s9, v28
	v_cmp_gt_i32_e64 s[2:3], s10, v28
	v_lshlrev_b64 v[24:25], 2, v[24:25]
	s_and_b64 s[2:3], s[0:1], s[2:3]
	v_add_co_u32_e64 v26, s[0:1], s12, v24
	v_addc_co_u32_e64 v27, s[0:1], v19, v25, s[0:1]
	global_store_dword v[26:27], v29, off
	v_subrev_u32_e32 v26, s9, v28
	s_and_b64 s[0:1], s[14:15], s[2:3]
	v_cndmask_b32_e64 v30, 8, v26, s[0:1]
	v_add_co_u32_e64 v26, s[0:1], s4, v24
	v_addc_co_u32_e64 v27, s[0:1], v20, v25, s[0:1]
	v_add_co_u32_e64 v24, s[0:1], s6, v24
	v_addc_co_u32_e64 v25, s[0:1], v21, v25, s[0:1]
	global_store_dword v[26:27], v30, off
	global_store_dword v[24:25], v23, off
	v_add_f32_e32 v24, v17, v29
	v_cmp_ne_u32_e64 s[0:1], 0, v28
	v_cndmask_b32_e32 v17, v17, v24, vcc
	v_cndmask_b32_e64 v24, v22, v8, s[0:1]
	v_cmp_ne_u32_e64 s[0:1], 1, v28
	v_cndmask_b32_e64 v25, v22, v9, s[0:1]
	v_cmp_ne_u32_e64 s[0:1], 2, v28
	;; [unrolled: 2-line block ×5, first 2 shown]
	s_add_i32 s11, s11, 1
	v_cndmask_b32_e64 v30, v22, v13, s[0:1]
	v_cmp_ne_u32_e64 s[0:1], 6, v28
	s_cmp_lt_i32 s11, s8
	v_cndmask_b32_e64 v31, v22, v14, s[0:1]
	v_cmp_ne_u32_e64 s[0:1], 7, v28
	v_cndmask_b32_e64 v28, v22, v15, s[0:1]
	s_cselect_b64 s[0:1], -1, 0
	v_cndmask_b32_e64 v15, v15, v28, s[0:1]
	v_cndmask_b32_e64 v14, v14, v31, s[0:1]
	;; [unrolled: 1-line block ×8, first 2 shown]
	s_cmp_eq_u32 s8, s11
	v_add_u32_e32 v23, s18, v23
	s_cbranch_scc0 .LBB317_8
; %bb.9:
	s_and_b64 vcc, exec, vcc
	s_cbranch_vccnz .LBB317_12
	s_branch .LBB317_20
.LBB317_10:
                                        ; implicit-def: $vgpr8_vgpr9_vgpr10_vgpr11_vgpr12_vgpr13_vgpr14_vgpr15
	s_andn2_b64 vcc, exec, s[8:9]
	s_cbranch_vccz .LBB317_5
	s_branch .LBB317_6
.LBB317_11:
	v_mov_b32_e32 v17, 0
	s_and_b64 vcc, exec, vcc
	s_cbranch_vccz .LBB317_20
.LBB317_12:
	s_andn2_b64 vcc, exec, s[16:17]
	s_cbranch_vccnz .LBB317_20
; %bb.13:
	v_cmp_lt_f32_e32 vcc, 0, v17
	s_mov_b32 s2, 0
	v_cndmask_b32_e32 v0, 1.0, v17, vcc
	v_mul_lo_u32 v4, v16, s8
	s_cmp_eq_u32 s8, 1
	s_mov_b64 s[0:1], -1
	s_cbranch_scc1 .LBB317_17
; %bb.14:
	s_and_b32 s2, s8, 0x7ffffffe
	v_mov_b32_e32 v1, v0
	v_mov_b32_e32 v5, s13
	s_mov_b32 s3, s2
	v_mov_b32_e32 v2, v4
.LBB317_15:                             ; =>This Inner Loop Header: Depth=1
	v_ashrrev_i32_e32 v3, 31, v2
	v_lshlrev_b64 v[6:7], 2, v[2:3]
	v_add_co_u32_e32 v6, vcc, s12, v6
	v_addc_co_u32_e32 v7, vcc, v5, v7, vcc
	global_load_dwordx2 v[8:9], v[6:7], off
	s_add_i32 s3, s3, -2
	s_cmp_lg_u32 s3, 0
	v_add_u32_e32 v2, 2, v2
	s_waitcnt vmcnt(0)
	v_div_scale_f32 v3, s[0:1], v1, v1, v9
	v_div_scale_f32 v11, s[0:1], v0, v0, v8
	v_rcp_f32_e32 v12, v3
	v_rcp_f32_e32 v13, v11
	v_div_scale_f32 v10, vcc, v9, v1, v9
	v_fma_f32 v15, -v3, v12, 1.0
	v_fma_f32 v16, -v11, v13, 1.0
	v_fmac_f32_e32 v12, v15, v12
	v_div_scale_f32 v14, s[0:1], v8, v0, v8
	v_fmac_f32_e32 v13, v16, v13
	v_mul_f32_e32 v15, v10, v12
	v_mul_f32_e32 v16, v14, v13
	v_fma_f32 v17, -v3, v15, v10
	v_fma_f32 v18, -v11, v16, v14
	v_fmac_f32_e32 v15, v17, v12
	v_fmac_f32_e32 v16, v18, v13
	v_fma_f32 v3, -v3, v15, v10
	v_fma_f32 v10, -v11, v16, v14
	v_div_fmas_f32 v3, v3, v12, v15
	s_mov_b64 vcc, s[0:1]
	v_div_fixup_f32 v9, v3, v1, v9
	v_div_fmas_f32 v3, v10, v13, v16
	v_div_fixup_f32 v8, v3, v0, v8
	global_store_dwordx2 v[6:7], v[8:9], off
	s_cbranch_scc1 .LBB317_15
; %bb.16:
	s_cmp_lg_u32 s2, s8
	s_cselect_b64 s[0:1], -1, 0
.LBB317_17:
	s_and_b64 vcc, exec, s[0:1]
	s_cbranch_vccz .LBB317_20
; %bb.18:
	v_ashrrev_i32_e32 v1, 31, v4
	v_add_co_u32_e32 v2, vcc, s2, v4
	v_addc_co_u32_e32 v3, vcc, 0, v1, vcc
	v_lshlrev_b64 v[2:3], 2, v[2:3]
	v_mov_b32_e32 v1, s13
	v_add_co_u32_e32 v2, vcc, s12, v2
	s_sub_i32 s0, s8, s2
	v_addc_co_u32_e32 v3, vcc, v1, v3, vcc
.LBB317_19:                             ; =>This Inner Loop Header: Depth=1
	global_load_dword v1, v[2:3], off
	s_add_i32 s0, s0, -1
	s_cmp_lg_u32 s0, 0
	s_waitcnt vmcnt(0)
	v_div_scale_f32 v4, s[2:3], v0, v0, v1
	v_rcp_f32_e32 v5, v4
	v_div_scale_f32 v6, vcc, v1, v0, v1
	v_fma_f32 v7, -v4, v5, 1.0
	v_fmac_f32_e32 v5, v7, v5
	v_mul_f32_e32 v7, v6, v5
	v_fma_f32 v8, -v4, v7, v6
	v_fmac_f32_e32 v7, v8, v5
	v_fma_f32 v4, -v4, v7, v6
	v_div_fmas_f32 v4, v4, v5, v7
	v_div_fixup_f32 v1, v4, v0, v1
	global_store_dword v[2:3], v1, off
	v_add_co_u32_e32 v2, vcc, 4, v2
	v_addc_co_u32_e32 v3, vcc, 0, v3, vcc
	s_cbranch_scc1 .LBB317_19
.LBB317_20:
	s_endpgm
	.section	.rodata,"a",@progbits
	.p2align	6, 0x0
	.amdhsa_kernel _ZN4vllm3moe10topkGatingILi8ELi8ELi4ELi16ELi32Ei14__hip_bfloat16LNS0_11ScoringFuncE1EEEvPKT5_PKbPfiPT4_PiiiibPKf
		.amdhsa_group_segment_fixed_size 0
		.amdhsa_private_segment_fixed_size 0
		.amdhsa_kernarg_size 72
		.amdhsa_user_sgpr_count 6
		.amdhsa_user_sgpr_private_segment_buffer 1
		.amdhsa_user_sgpr_dispatch_ptr 0
		.amdhsa_user_sgpr_queue_ptr 0
		.amdhsa_user_sgpr_kernarg_segment_ptr 1
		.amdhsa_user_sgpr_dispatch_id 0
		.amdhsa_user_sgpr_flat_scratch_init 0
		.amdhsa_user_sgpr_kernarg_preload_length 0
		.amdhsa_user_sgpr_kernarg_preload_offset 0
		.amdhsa_user_sgpr_private_segment_size 0
		.amdhsa_uses_dynamic_stack 0
		.amdhsa_system_sgpr_private_segment_wavefront_offset 0
		.amdhsa_system_sgpr_workgroup_id_x 1
		.amdhsa_system_sgpr_workgroup_id_y 0
		.amdhsa_system_sgpr_workgroup_id_z 0
		.amdhsa_system_sgpr_workgroup_info 0
		.amdhsa_system_vgpr_workitem_id 1
		.amdhsa_next_free_vgpr 32
		.amdhsa_next_free_sgpr 28
		.amdhsa_accum_offset 32
		.amdhsa_reserve_vcc 1
		.amdhsa_reserve_flat_scratch 0
		.amdhsa_float_round_mode_32 0
		.amdhsa_float_round_mode_16_64 0
		.amdhsa_float_denorm_mode_32 3
		.amdhsa_float_denorm_mode_16_64 3
		.amdhsa_dx10_clamp 1
		.amdhsa_ieee_mode 1
		.amdhsa_fp16_overflow 0
		.amdhsa_tg_split 0
		.amdhsa_exception_fp_ieee_invalid_op 0
		.amdhsa_exception_fp_denorm_src 0
		.amdhsa_exception_fp_ieee_div_zero 0
		.amdhsa_exception_fp_ieee_overflow 0
		.amdhsa_exception_fp_ieee_underflow 0
		.amdhsa_exception_fp_ieee_inexact 0
		.amdhsa_exception_int_div_zero 0
	.end_amdhsa_kernel
	.section	.text._ZN4vllm3moe10topkGatingILi8ELi8ELi4ELi16ELi32Ei14__hip_bfloat16LNS0_11ScoringFuncE1EEEvPKT5_PKbPfiPT4_PiiiibPKf,"axG",@progbits,_ZN4vllm3moe10topkGatingILi8ELi8ELi4ELi16ELi32Ei14__hip_bfloat16LNS0_11ScoringFuncE1EEEvPKT5_PKbPfiPT4_PiiiibPKf,comdat
.Lfunc_end317:
	.size	_ZN4vllm3moe10topkGatingILi8ELi8ELi4ELi16ELi32Ei14__hip_bfloat16LNS0_11ScoringFuncE1EEEvPKT5_PKbPfiPT4_PiiiibPKf, .Lfunc_end317-_ZN4vllm3moe10topkGatingILi8ELi8ELi4ELi16ELi32Ei14__hip_bfloat16LNS0_11ScoringFuncE1EEEvPKT5_PKbPfiPT4_PiiiibPKf
                                        ; -- End function
	.section	.AMDGPU.csdata,"",@progbits
; Kernel info:
; codeLenInByte = 2268
; NumSgprs: 32
; NumVgprs: 32
; NumAgprs: 0
; TotalNumVgprs: 32
; ScratchSize: 0
; MemoryBound: 1
; FloatMode: 240
; IeeeMode: 1
; LDSByteSize: 0 bytes/workgroup (compile time only)
; SGPRBlocks: 3
; VGPRBlocks: 3
; NumSGPRsForWavesPerEU: 32
; NumVGPRsForWavesPerEU: 32
; AccumOffset: 32
; Occupancy: 8
; WaveLimiterHint : 0
; COMPUTE_PGM_RSRC2:SCRATCH_EN: 0
; COMPUTE_PGM_RSRC2:USER_SGPR: 6
; COMPUTE_PGM_RSRC2:TRAP_HANDLER: 0
; COMPUTE_PGM_RSRC2:TGID_X_EN: 1
; COMPUTE_PGM_RSRC2:TGID_Y_EN: 0
; COMPUTE_PGM_RSRC2:TGID_Z_EN: 0
; COMPUTE_PGM_RSRC2:TIDIG_COMP_CNT: 1
; COMPUTE_PGM_RSRC3_GFX90A:ACCUM_OFFSET: 7
; COMPUTE_PGM_RSRC3_GFX90A:TG_SPLIT: 0
	.section	.text._ZN4vllm3moe10topkGatingILi8ELi16ELi4ELi16ELi64Ei14__hip_bfloat16LNS0_11ScoringFuncE1EEEvPKT5_PKbPfiPT4_PiiiibPKf,"axG",@progbits,_ZN4vllm3moe10topkGatingILi8ELi16ELi4ELi16ELi64Ei14__hip_bfloat16LNS0_11ScoringFuncE1EEEvPKT5_PKbPfiPT4_PiiiibPKf,comdat
	.protected	_ZN4vllm3moe10topkGatingILi8ELi16ELi4ELi16ELi64Ei14__hip_bfloat16LNS0_11ScoringFuncE1EEEvPKT5_PKbPfiPT4_PiiiibPKf ; -- Begin function _ZN4vllm3moe10topkGatingILi8ELi16ELi4ELi16ELi64Ei14__hip_bfloat16LNS0_11ScoringFuncE1EEEvPKT5_PKbPfiPT4_PiiiibPKf
	.globl	_ZN4vllm3moe10topkGatingILi8ELi16ELi4ELi16ELi64Ei14__hip_bfloat16LNS0_11ScoringFuncE1EEEvPKT5_PKbPfiPT4_PiiiibPKf
	.p2align	8
	.type	_ZN4vllm3moe10topkGatingILi8ELi16ELi4ELi16ELi64Ei14__hip_bfloat16LNS0_11ScoringFuncE1EEEvPKT5_PKbPfiPT4_PiiiibPKf,@function
_ZN4vllm3moe10topkGatingILi8ELi16ELi4ELi16ELi64Ei14__hip_bfloat16LNS0_11ScoringFuncE1EEEvPKT5_PKbPfiPT4_PiiiibPKf: ; @_ZN4vllm3moe10topkGatingILi8ELi16ELi4ELi16ELi64Ei14__hip_bfloat16LNS0_11ScoringFuncE1EEEvPKT5_PKbPfiPT4_PiiiibPKf
; %bb.0:
	s_load_dword s24, s[4:5], 0x18
	v_bfe_u32 v1, v0, 10, 10
	v_and_b32_e32 v0, 0x3ff, v0
	s_lshl_b32 s0, s6, 7
	v_lshlrev_b32_e32 v1, 5, v1
	v_lshrrev_b32_e32 v2, 1, v0
	v_add3_u32 v16, s0, v1, v2
	s_waitcnt lgkmcnt(0)
	v_cmp_gt_i32_e32 vcc, s24, v16
	s_and_saveexec_b64 s[0:1], vcc
	s_cbranch_execz .LBB318_30
; %bb.1:
	s_load_dwordx4 s[0:3], s[4:5], 0x0
	s_load_dwordx2 s[16:17], s[4:5], 0x10
	s_mov_b64 s[8:9], -1
	s_mov_b64 s[18:19], -1
	s_waitcnt lgkmcnt(0)
	s_cmp_eq_u64 s[2:3], 0
	s_cbranch_scc1 .LBB318_3
; %bb.2:
	v_ashrrev_i32_e32 v1, 31, v16
	v_mov_b32_e32 v3, s3
	v_add_co_u32_e32 v2, vcc, s2, v16
	v_addc_co_u32_e32 v3, vcc, v3, v1, vcc
	global_load_ubyte v1, v[2:3], off
	s_waitcnt vmcnt(0)
	v_and_b32_e32 v1, 1, v1
	v_cmp_eq_u32_e32 vcc, 1, v1
	s_xor_b64 s[2:3], vcc, -1
	s_orn2_b64 s[18:19], s[2:3], exec
.LBB318_3:
	v_lshlrev_b32_e32 v2, 4, v16
	v_ashrrev_i32_e32 v3, 31, v2
	v_lshlrev_b64 v[2:3], 1, v[2:3]
	v_mov_b32_e32 v1, s1
	v_add_co_u32_e32 v2, vcc, s0, v2
	v_and_b32_e32 v17, 1, v0
	v_addc_co_u32_e32 v1, vcc, v1, v3, vcc
	v_lshlrev_b32_e32 v0, 4, v17
	v_add_co_u32_e32 v0, vcc, v2, v0
	v_addc_co_u32_e32 v1, vcc, 0, v1, vcc
	global_load_dwordx4 v[0:3], v[0:1], off
	v_mov_b32_e32 v8, 0x207
	s_load_dwordx2 s[10:11], s[4:5], 0x40
	v_lshlrev_b32_e32 v18, 3, v17
	s_waitcnt lgkmcnt(0)
	s_cmp_eq_u64 s[10:11], 0
	s_waitcnt vmcnt(0)
	v_lshlrev_b32_e32 v4, 16, v0
	v_and_b32_e32 v0, 0xffff0000, v0
	v_lshlrev_b32_e32 v5, 16, v1
	v_and_b32_e32 v1, 0xffff0000, v1
	v_mul_f32_e32 v4, 0xbfb8aa3b, v4
	v_mul_f32_e32 v9, 0xbfb8aa3b, v0
	;; [unrolled: 1-line block ×3, first 2 shown]
	v_exp_f32_e32 v0, v4
	v_exp_f32_e32 v1, v9
	v_lshlrev_b32_e32 v6, 16, v2
	v_and_b32_e32 v2, 0xffff0000, v2
	v_lshlrev_b32_e32 v7, 16, v3
	v_and_b32_e32 v3, 0xffff0000, v3
	v_mul_f32_e32 v5, 0xbfb8aa3b, v5
	v_mul_f32_e32 v11, 0xbfb8aa3b, v2
	;; [unrolled: 1-line block ×3, first 2 shown]
	v_exp_f32_e32 v2, v5
	v_exp_f32_e32 v3, v10
	v_pk_add_f32 v[0:1], v[0:1], 1.0 op_sel_hi:[1,0]
	v_div_scale_f32 v9, s[0:1], v1, v1, 1.0
	v_rcp_f32_e32 v21, v9
	v_exp_f32_e32 v5, v11
	v_div_scale_f32 v11, s[0:1], v0, v0, 1.0
	v_pk_add_f32 v[2:3], v[2:3], 1.0 op_sel_hi:[1,0]
	v_rcp_f32_e32 v22, v11
	v_div_scale_f32 v13, s[2:3], v3, v3, 1.0
	v_rcp_f32_e32 v23, v13
	v_fma_f32 v26, -v9, v21, 1.0
	v_div_scale_f32 v10, vcc, 1.0, v1, 1.0
	v_div_scale_f32 v15, s[6:7], v2, v2, 1.0
	v_fmac_f32_e32 v21, v26, v21
	v_mul_f32_e32 v6, 0xbfb8aa3b, v6
	v_mul_f32_e32 v7, 0xbfb8aa3b, v7
	v_rcp_f32_e32 v24, v15
	v_fma_f32 v27, -v11, v22, 1.0
	v_mul_f32_e32 v26, v10, v21
	v_exp_f32_e32 v4, v6
	v_exp_f32_e32 v6, v7
	;; [unrolled: 1-line block ×3, first 2 shown]
	v_div_scale_f32 v12, s[0:1], 1.0, v0, 1.0
	v_fmac_f32_e32 v22, v27, v22
	v_fma_f32 v30, -v9, v26, v10
	v_fma_f32 v28, -v13, v23, 1.0
	v_mul_f32_e32 v27, v12, v22
	v_fmac_f32_e32 v26, v30, v21
	v_div_scale_f32 v14, s[2:3], 1.0, v3, 1.0
	v_fmac_f32_e32 v23, v28, v23
	v_fma_f32 v31, -v11, v27, v12
	v_fma_f32 v9, -v9, v26, v10
	v_fma_f32 v29, -v15, v24, 1.0
	v_mul_f32_e32 v28, v14, v23
	v_fmac_f32_e32 v27, v31, v22
	v_div_fmas_f32 v9, v9, v21, v26
	v_div_scale_f32 v19, s[6:7], 1.0, v2, 1.0
	v_fmac_f32_e32 v24, v29, v24
	v_fma_f32 v32, -v13, v28, v14
	v_fma_f32 v10, -v11, v27, v12
	v_div_fixup_f32 v1, v9, v1, 1.0
	s_mov_b64 vcc, s[0:1]
	v_pk_add_f32 v[4:5], v[4:5], 1.0 op_sel_hi:[1,0]
	v_mul_f32_e32 v29, v19, v24
	v_fmac_f32_e32 v28, v32, v23
	v_div_fmas_f32 v9, v10, v22, v27
	v_cmp_class_f32_e32 vcc, v1, v8
	v_div_scale_f32 v20, s[12:13], v5, v5, 1.0
	v_fma_f32 v33, -v15, v29, v19
	v_fma_f32 v11, -v13, v28, v14
	v_div_fixup_f32 v0, v9, v0, 1.0
	v_cndmask_b32_e64 v1, v1, 0, vcc
	s_mov_b64 vcc, s[2:3]
	v_rcp_f32_e32 v25, v20
	v_fmac_f32_e32 v29, v33, v24
	v_div_fmas_f32 v9, v11, v23, v28
	v_cmp_class_f32_e32 vcc, v0, v8
	v_fma_f32 v12, -v15, v29, v19
	v_cndmask_b32_e64 v0, v0, 0, vcc
	s_mov_b64 vcc, s[6:7]
	v_div_fixup_f32 v3, v9, v3, 1.0
	v_div_fmas_f32 v9, v12, v24, v29
	v_div_fixup_f32 v2, v9, v2, 1.0
	v_cmp_class_f32_e32 vcc, v3, v8
	v_cndmask_b32_e64 v3, v3, 0, vcc
	v_cmp_class_f32_e32 vcc, v2, v8
	v_fma_f32 v9, -v20, v25, 1.0
	v_cndmask_b32_e64 v2, v2, 0, vcc
	v_fmac_f32_e32 v25, v9, v25
	v_div_scale_f32 v9, vcc, 1.0, v5, 1.0
	v_mul_f32_e32 v10, v9, v25
	v_fma_f32 v11, -v20, v10, v9
	v_fmac_f32_e32 v10, v11, v25
	v_div_scale_f32 v11, s[0:1], v4, v4, 1.0
	v_rcp_f32_e32 v12, v11
	v_fma_f32 v9, -v20, v10, v9
	v_div_fmas_f32 v9, v9, v25, v10
	v_div_fixup_f32 v5, v9, v5, 1.0
	v_fma_f32 v9, -v11, v12, 1.0
	v_fmac_f32_e32 v12, v9, v12
	v_div_scale_f32 v9, vcc, 1.0, v4, 1.0
	v_mul_f32_e32 v10, v9, v12
	v_fma_f32 v13, -v11, v10, v9
	v_fmac_f32_e32 v10, v13, v12
	v_fma_f32 v9, -v11, v10, v9
	v_div_fmas_f32 v9, v9, v12, v10
	v_pk_add_f32 v[6:7], v[6:7], 1.0 op_sel_hi:[1,0]
	v_div_fixup_f32 v4, v9, v4, 1.0
	v_div_scale_f32 v9, s[0:1], v7, v7, 1.0
	v_rcp_f32_e32 v10, v9
	v_cmp_class_f32_e32 vcc, v5, v8
	v_cndmask_b32_e64 v5, v5, 0, vcc
	v_cmp_class_f32_e32 vcc, v4, v8
	v_fma_f32 v11, -v9, v10, 1.0
	v_cndmask_b32_e64 v4, v4, 0, vcc
	v_fmac_f32_e32 v10, v11, v10
	v_div_scale_f32 v11, vcc, 1.0, v7, 1.0
	v_mul_f32_e32 v12, v11, v10
	v_fma_f32 v13, -v9, v12, v11
	v_fmac_f32_e32 v12, v13, v10
	v_fma_f32 v9, -v9, v12, v11
	v_div_scale_f32 v11, s[0:1], v6, v6, 1.0
	v_rcp_f32_e32 v13, v11
	v_div_fmas_f32 v9, v9, v10, v12
	v_div_fixup_f32 v7, v9, v7, 1.0
	v_fma_f32 v9, -v11, v13, 1.0
	v_fmac_f32_e32 v13, v9, v13
	v_div_scale_f32 v9, vcc, 1.0, v6, 1.0
	v_mul_f32_e32 v10, v9, v13
	v_fma_f32 v12, -v11, v10, v9
	v_fmac_f32_e32 v10, v12, v13
	v_fma_f32 v9, -v11, v10, v9
	v_div_fmas_f32 v9, v9, v13, v10
	v_div_fixup_f32 v6, v9, v6, 1.0
	v_cmp_class_f32_e32 vcc, v7, v8
	v_cndmask_b32_e64 v7, v7, 0, vcc
	v_cmp_class_f32_e32 vcc, v6, v8
	v_cndmask_b32_e64 v6, v6, 0, vcc
	s_cbranch_scc1 .LBB318_19
; %bb.4:
	v_lshlrev_b32_e32 v19, 2, v18
	global_load_dwordx4 v[8:11], v19, s[10:11]
	global_load_dwordx4 v[12:15], v19, s[10:11] offset:16
	s_waitcnt vmcnt(1)
	v_pk_add_f32 v[8:9], v[8:9], v[0:1]
	v_pk_add_f32 v[10:11], v[10:11], v[2:3]
	s_waitcnt vmcnt(0)
	v_pk_add_f32 v[12:13], v[12:13], v[4:5]
	v_pk_add_f32 v[14:15], v[14:15], v[6:7]
	s_cbranch_execnz .LBB318_6
.LBB318_5:
	v_pk_mov_b32 v[14:15], v[6:7], v[6:7] op_sel:[0,1]
	v_pk_mov_b32 v[12:13], v[4:5], v[4:5] op_sel:[0,1]
	;; [unrolled: 1-line block ×4, first 2 shown]
.LBB318_6:
	s_load_dwordx4 s[8:11], s[4:5], 0x30
	s_mov_b32 s25, 0
	v_cmp_eq_u32_e64 s[0:1], 0, v17
	s_waitcnt lgkmcnt(0)
	s_bitcmp1_b32 s11, 0
	s_cselect_b64 vcc, -1, 0
	s_cmp_gt_i32 s8, 0
	s_cselect_b64 s[6:7], -1, 0
	s_cmp_lt_i32 s8, 1
	s_cbranch_scc1 .LBB318_20
; %bb.7:
	v_mbcnt_lo_u32_b32 v19, -1, 0
	v_mbcnt_hi_u32_b32 v19, -1, v19
	s_load_dwordx4 s[12:15], s[4:5], 0x20
	v_and_b32_e32 v21, 0x7e, v19
	v_xor_b32_e32 v20, 1, v19
	v_add_u32_e32 v21, 2, v21
	v_cmp_lt_i32_e64 s[2:3], v20, v21
	v_cndmask_b32_e64 v19, v19, v20, s[2:3]
	v_lshlrev_b32_e32 v20, 2, v19
	v_mul_lo_u32 v21, v16, s8
	v_mov_b32_e32 v19, 0
	v_mov_b32_e32 v22, 0xc61c4000
	;; [unrolled: 1-line block ×3, first 2 shown]
	s_branch .LBB318_10
.LBB318_8:                              ;   in Loop: Header=BB318_10 Depth=1
	s_or_b64 exec, exec, s[4:5]
.LBB318_9:                              ;   in Loop: Header=BB318_10 Depth=1
	s_cmp_eq_u32 s8, s25
	v_add_u32_e32 v23, s24, v23
	s_cbranch_scc1 .LBB318_21
.LBB318_10:                             ; =>This Inner Loop Header: Depth=1
	v_cmp_gt_f32_e64 s[2:3], v9, v8
	v_cndmask_b32_e64 v26, v8, v9, s[2:3]
	v_cndmask_b32_e64 v24, 0, 1, s[2:3]
	v_cndmask_b32_e64 v25, v0, v1, s[2:3]
	v_cmp_gt_f32_e64 s[2:3], v10, v26
	v_cndmask_b32_e64 v26, v26, v10, s[2:3]
	v_cndmask_b32_e64 v24, v24, 2, s[2:3]
	v_cndmask_b32_e64 v25, v25, v2, s[2:3]
	;; [unrolled: 4-line block ×6, first 2 shown]
	v_cmp_gt_f32_e64 s[2:3], v15, v26
	v_cndmask_b32_e64 v24, v24, 7, s[2:3]
	v_cndmask_b32_e64 v28, v26, v15, s[2:3]
	v_or_b32_e32 v24, v18, v24
	v_cndmask_b32_e64 v25, v25, v7, s[2:3]
	ds_bpermute_b32 v29, v20, v28
	ds_bpermute_b32 v26, v20, v25
	;; [unrolled: 1-line block ×3, first 2 shown]
	s_waitcnt lgkmcnt(0)
	v_cmp_lt_f32_e64 s[20:21], v28, v29
	v_cmp_nlt_f32_e64 s[2:3], v28, v29
	s_and_saveexec_b64 s[22:23], s[2:3]
	s_cbranch_execnz .LBB318_14
; %bb.11:                               ;   in Loop: Header=BB318_10 Depth=1
	s_or_b64 exec, exec, s[22:23]
	s_and_saveexec_b64 s[2:3], s[20:21]
	s_cbranch_execnz .LBB318_15
.LBB318_12:                             ;   in Loop: Header=BB318_10 Depth=1
	s_or_b64 exec, exec, s[2:3]
	s_and_saveexec_b64 s[20:21], s[0:1]
	s_cbranch_execnz .LBB318_16
.LBB318_13:                             ;   in Loop: Header=BB318_10 Depth=1
	s_or_b64 exec, exec, s[20:21]
	s_add_i32 s25, s25, 1
	s_cmp_ge_i32 s25, s8
	s_cbranch_scc1 .LBB318_9
	s_branch .LBB318_17
.LBB318_14:                             ;   in Loop: Header=BB318_10 Depth=1
	v_cmp_eq_f32_e64 s[2:3], v28, v29
	v_cmp_lt_i32_e64 s[4:5], v27, v24
	s_and_b64 s[2:3], s[2:3], s[4:5]
	s_andn2_b64 s[4:5], s[20:21], exec
	s_and_b64 s[2:3], s[2:3], exec
	s_or_b64 s[20:21], s[4:5], s[2:3]
	s_or_b64 exec, exec, s[22:23]
	s_and_saveexec_b64 s[2:3], s[20:21]
	s_cbranch_execz .LBB318_12
.LBB318_15:                             ;   in Loop: Header=BB318_10 Depth=1
	v_mov_b32_e32 v24, v27
	v_mov_b32_e32 v25, v26
	s_or_b64 exec, exec, s[2:3]
	s_and_saveexec_b64 s[20:21], s[0:1]
	s_cbranch_execz .LBB318_13
.LBB318_16:                             ;   in Loop: Header=BB318_10 Depth=1
	v_add_u32_e32 v26, s25, v21
	v_ashrrev_i32_e32 v27, 31, v26
	v_cmp_le_i32_e64 s[2:3], s9, v24
	v_cmp_gt_i32_e64 s[4:5], s10, v24
	v_lshlrev_b64 v[26:27], 2, v[26:27]
	s_and_b64 s[4:5], s[2:3], s[4:5]
	v_mov_b32_e32 v29, s17
	v_add_co_u32_e64 v28, s[2:3], s16, v26
	v_addc_co_u32_e64 v29, s[2:3], v29, v27, s[2:3]
	global_store_dword v[28:29], v25, off
	v_subrev_u32_e32 v28, s9, v24
	s_and_b64 s[2:3], s[18:19], s[4:5]
	v_cndmask_b32_e64 v30, 16, v28, s[2:3]
	v_mov_b32_e32 v29, s13
	v_add_co_u32_e64 v28, s[2:3], s12, v26
	v_addc_co_u32_e64 v29, s[2:3], v29, v27, s[2:3]
	global_store_dword v[28:29], v30, off
	v_mov_b32_e32 v28, s15
	v_add_co_u32_e64 v26, s[2:3], s14, v26
	v_add_f32_e32 v25, v19, v25
	v_addc_co_u32_e64 v27, s[2:3], v28, v27, s[2:3]
	v_cndmask_b32_e32 v19, v19, v25, vcc
	global_store_dword v[26:27], v23, off
	s_or_b64 exec, exec, s[20:21]
	s_add_i32 s25, s25, 1
	s_cmp_ge_i32 s25, s8
	s_cbranch_scc1 .LBB318_9
.LBB318_17:                             ;   in Loop: Header=BB318_10 Depth=1
	v_ashrrev_i32_e32 v26, 31, v24
	v_lshrrev_b32_e32 v25, 29, v26
	v_add_u32_e32 v27, v24, v25
	v_ashrrev_i32_e32 v25, 3, v27
	v_lshrrev_b32_e32 v27, 31, v27
	v_add_u32_e32 v27, v25, v27
	v_and_b32_e32 v27, -2, v27
	v_sub_u32_e32 v27, v25, v27
	v_cmp_eq_u32_e64 s[2:3], v17, v27
	s_and_saveexec_b64 s[4:5], s[2:3]
	s_cbranch_execz .LBB318_8
; %bb.18:                               ;   in Loop: Header=BB318_10 Depth=1
	v_lshrrev_b32_e32 v26, 28, v26
	v_add_u32_e32 v26, v24, v26
	v_lshlrev_b32_e32 v25, 3, v25
	v_ashrrev_i32_e32 v26, 4, v26
	v_sub_u32_e32 v24, v24, v25
	v_lshl_add_u32 v24, v26, 3, v24
	v_cmp_ne_u32_e64 s[2:3], 7, v24
	v_cndmask_b32_e64 v15, v22, v15, s[2:3]
	v_cmp_ne_u32_e64 s[2:3], 6, v24
	v_cndmask_b32_e64 v14, v22, v14, s[2:3]
	;; [unrolled: 2-line block ×8, first 2 shown]
	s_branch .LBB318_8
.LBB318_19:
                                        ; implicit-def: $vgpr8_vgpr9_vgpr10_vgpr11_vgpr12_vgpr13_vgpr14_vgpr15
	s_andn2_b64 vcc, exec, s[8:9]
	s_cbranch_vccz .LBB318_5
	s_branch .LBB318_6
.LBB318_20:
	v_mov_b32_e32 v19, 0
.LBB318_21:
	v_cmp_eq_u32_e64 s[0:1], 0, v17
	s_and_b64 s[0:1], s[0:1], vcc
	s_and_b64 exec, exec, s[0:1]
	s_cbranch_execz .LBB318_30
; %bb.22:
	s_andn2_b64 vcc, exec, s[6:7]
	s_cbranch_vccnz .LBB318_30
; %bb.23:
	v_cmp_lt_f32_e32 vcc, 0, v19
	s_mov_b32 s2, 0
	v_cndmask_b32_e32 v0, 1.0, v19, vcc
	v_mul_lo_u32 v4, v16, s8
	s_cmp_eq_u32 s8, 1
	s_mov_b64 s[0:1], -1
	s_cbranch_scc1 .LBB318_27
; %bb.24:
	s_and_b32 s2, s8, 0x7ffffffe
	v_mov_b32_e32 v1, v0
	v_mov_b32_e32 v5, s17
	s_mov_b32 s3, s2
	v_mov_b32_e32 v2, v4
.LBB318_25:                             ; =>This Inner Loop Header: Depth=1
	v_ashrrev_i32_e32 v3, 31, v2
	v_lshlrev_b64 v[6:7], 2, v[2:3]
	v_add_co_u32_e32 v6, vcc, s16, v6
	v_addc_co_u32_e32 v7, vcc, v5, v7, vcc
	global_load_dwordx2 v[8:9], v[6:7], off
	s_add_i32 s3, s3, -2
	s_cmp_lg_u32 s3, 0
	v_add_u32_e32 v2, 2, v2
	s_waitcnt vmcnt(0)
	v_div_scale_f32 v3, s[0:1], v1, v1, v9
	v_div_scale_f32 v11, s[0:1], v0, v0, v8
	v_rcp_f32_e32 v12, v3
	v_rcp_f32_e32 v13, v11
	v_div_scale_f32 v10, vcc, v9, v1, v9
	v_fma_f32 v15, -v3, v12, 1.0
	v_fma_f32 v16, -v11, v13, 1.0
	v_fmac_f32_e32 v12, v15, v12
	v_div_scale_f32 v14, s[0:1], v8, v0, v8
	v_fmac_f32_e32 v13, v16, v13
	v_mul_f32_e32 v15, v10, v12
	v_mul_f32_e32 v16, v14, v13
	v_fma_f32 v17, -v3, v15, v10
	v_fma_f32 v18, -v11, v16, v14
	v_fmac_f32_e32 v15, v17, v12
	v_fmac_f32_e32 v16, v18, v13
	v_fma_f32 v3, -v3, v15, v10
	v_fma_f32 v10, -v11, v16, v14
	v_div_fmas_f32 v3, v3, v12, v15
	s_mov_b64 vcc, s[0:1]
	v_div_fixup_f32 v9, v3, v1, v9
	v_div_fmas_f32 v3, v10, v13, v16
	v_div_fixup_f32 v8, v3, v0, v8
	global_store_dwordx2 v[6:7], v[8:9], off
	s_cbranch_scc1 .LBB318_25
; %bb.26:
	s_cmp_lg_u32 s2, s8
	s_cselect_b64 s[0:1], -1, 0
.LBB318_27:
	s_and_b64 vcc, exec, s[0:1]
	s_cbranch_vccz .LBB318_30
; %bb.28:
	v_ashrrev_i32_e32 v1, 31, v4
	v_add_co_u32_e32 v2, vcc, s2, v4
	v_addc_co_u32_e32 v3, vcc, 0, v1, vcc
	v_lshlrev_b64 v[2:3], 2, v[2:3]
	v_mov_b32_e32 v1, s17
	v_add_co_u32_e32 v2, vcc, s16, v2
	s_sub_i32 s0, s8, s2
	v_addc_co_u32_e32 v3, vcc, v1, v3, vcc
.LBB318_29:                             ; =>This Inner Loop Header: Depth=1
	global_load_dword v1, v[2:3], off
	s_add_i32 s0, s0, -1
	s_cmp_lg_u32 s0, 0
	s_waitcnt vmcnt(0)
	v_div_scale_f32 v4, s[2:3], v0, v0, v1
	v_rcp_f32_e32 v5, v4
	v_div_scale_f32 v6, vcc, v1, v0, v1
	v_fma_f32 v7, -v4, v5, 1.0
	v_fmac_f32_e32 v5, v7, v5
	v_mul_f32_e32 v7, v6, v5
	v_fma_f32 v8, -v4, v7, v6
	v_fmac_f32_e32 v7, v8, v5
	v_fma_f32 v4, -v4, v7, v6
	v_div_fmas_f32 v4, v4, v5, v7
	v_div_fixup_f32 v1, v4, v0, v1
	global_store_dword v[2:3], v1, off
	v_add_co_u32_e32 v2, vcc, 4, v2
	v_addc_co_u32_e32 v3, vcc, 0, v3, vcc
	s_cbranch_scc1 .LBB318_29
.LBB318_30:
	s_endpgm
	.section	.rodata,"a",@progbits
	.p2align	6, 0x0
	.amdhsa_kernel _ZN4vllm3moe10topkGatingILi8ELi16ELi4ELi16ELi64Ei14__hip_bfloat16LNS0_11ScoringFuncE1EEEvPKT5_PKbPfiPT4_PiiiibPKf
		.amdhsa_group_segment_fixed_size 0
		.amdhsa_private_segment_fixed_size 0
		.amdhsa_kernarg_size 72
		.amdhsa_user_sgpr_count 6
		.amdhsa_user_sgpr_private_segment_buffer 1
		.amdhsa_user_sgpr_dispatch_ptr 0
		.amdhsa_user_sgpr_queue_ptr 0
		.amdhsa_user_sgpr_kernarg_segment_ptr 1
		.amdhsa_user_sgpr_dispatch_id 0
		.amdhsa_user_sgpr_flat_scratch_init 0
		.amdhsa_user_sgpr_kernarg_preload_length 0
		.amdhsa_user_sgpr_kernarg_preload_offset 0
		.amdhsa_user_sgpr_private_segment_size 0
		.amdhsa_uses_dynamic_stack 0
		.amdhsa_system_sgpr_private_segment_wavefront_offset 0
		.amdhsa_system_sgpr_workgroup_id_x 1
		.amdhsa_system_sgpr_workgroup_id_y 0
		.amdhsa_system_sgpr_workgroup_id_z 0
		.amdhsa_system_sgpr_workgroup_info 0
		.amdhsa_system_vgpr_workitem_id 1
		.amdhsa_next_free_vgpr 34
		.amdhsa_next_free_sgpr 26
		.amdhsa_accum_offset 36
		.amdhsa_reserve_vcc 1
		.amdhsa_reserve_flat_scratch 0
		.amdhsa_float_round_mode_32 0
		.amdhsa_float_round_mode_16_64 0
		.amdhsa_float_denorm_mode_32 3
		.amdhsa_float_denorm_mode_16_64 3
		.amdhsa_dx10_clamp 1
		.amdhsa_ieee_mode 1
		.amdhsa_fp16_overflow 0
		.amdhsa_tg_split 0
		.amdhsa_exception_fp_ieee_invalid_op 0
		.amdhsa_exception_fp_denorm_src 0
		.amdhsa_exception_fp_ieee_div_zero 0
		.amdhsa_exception_fp_ieee_overflow 0
		.amdhsa_exception_fp_ieee_underflow 0
		.amdhsa_exception_fp_ieee_inexact 0
		.amdhsa_exception_int_div_zero 0
	.end_amdhsa_kernel
	.section	.text._ZN4vllm3moe10topkGatingILi8ELi16ELi4ELi16ELi64Ei14__hip_bfloat16LNS0_11ScoringFuncE1EEEvPKT5_PKbPfiPT4_PiiiibPKf,"axG",@progbits,_ZN4vllm3moe10topkGatingILi8ELi16ELi4ELi16ELi64Ei14__hip_bfloat16LNS0_11ScoringFuncE1EEEvPKT5_PKbPfiPT4_PiiiibPKf,comdat
.Lfunc_end318:
	.size	_ZN4vllm3moe10topkGatingILi8ELi16ELi4ELi16ELi64Ei14__hip_bfloat16LNS0_11ScoringFuncE1EEEvPKT5_PKbPfiPT4_PiiiibPKf, .Lfunc_end318-_ZN4vllm3moe10topkGatingILi8ELi16ELi4ELi16ELi64Ei14__hip_bfloat16LNS0_11ScoringFuncE1EEEvPKT5_PKbPfiPT4_PiiiibPKf
                                        ; -- End function
	.section	.AMDGPU.csdata,"",@progbits
; Kernel info:
; codeLenInByte = 2564
; NumSgprs: 30
; NumVgprs: 34
; NumAgprs: 0
; TotalNumVgprs: 34
; ScratchSize: 0
; MemoryBound: 0
; FloatMode: 240
; IeeeMode: 1
; LDSByteSize: 0 bytes/workgroup (compile time only)
; SGPRBlocks: 3
; VGPRBlocks: 4
; NumSGPRsForWavesPerEU: 30
; NumVGPRsForWavesPerEU: 34
; AccumOffset: 36
; Occupancy: 8
; WaveLimiterHint : 0
; COMPUTE_PGM_RSRC2:SCRATCH_EN: 0
; COMPUTE_PGM_RSRC2:USER_SGPR: 6
; COMPUTE_PGM_RSRC2:TRAP_HANDLER: 0
; COMPUTE_PGM_RSRC2:TGID_X_EN: 1
; COMPUTE_PGM_RSRC2:TGID_Y_EN: 0
; COMPUTE_PGM_RSRC2:TGID_Z_EN: 0
; COMPUTE_PGM_RSRC2:TIDIG_COMP_CNT: 1
; COMPUTE_PGM_RSRC3_GFX90A:ACCUM_OFFSET: 8
; COMPUTE_PGM_RSRC3_GFX90A:TG_SPLIT: 0
	.section	.text._ZN4vllm3moe10topkGatingILi8ELi16ELi4ELi16ELi32Ei14__hip_bfloat16LNS0_11ScoringFuncE1EEEvPKT5_PKbPfiPT4_PiiiibPKf,"axG",@progbits,_ZN4vllm3moe10topkGatingILi8ELi16ELi4ELi16ELi32Ei14__hip_bfloat16LNS0_11ScoringFuncE1EEEvPKT5_PKbPfiPT4_PiiiibPKf,comdat
	.protected	_ZN4vllm3moe10topkGatingILi8ELi16ELi4ELi16ELi32Ei14__hip_bfloat16LNS0_11ScoringFuncE1EEEvPKT5_PKbPfiPT4_PiiiibPKf ; -- Begin function _ZN4vllm3moe10topkGatingILi8ELi16ELi4ELi16ELi32Ei14__hip_bfloat16LNS0_11ScoringFuncE1EEEvPKT5_PKbPfiPT4_PiiiibPKf
	.globl	_ZN4vllm3moe10topkGatingILi8ELi16ELi4ELi16ELi32Ei14__hip_bfloat16LNS0_11ScoringFuncE1EEEvPKT5_PKbPfiPT4_PiiiibPKf
	.p2align	8
	.type	_ZN4vllm3moe10topkGatingILi8ELi16ELi4ELi16ELi32Ei14__hip_bfloat16LNS0_11ScoringFuncE1EEEvPKT5_PKbPfiPT4_PiiiibPKf,@function
_ZN4vllm3moe10topkGatingILi8ELi16ELi4ELi16ELi32Ei14__hip_bfloat16LNS0_11ScoringFuncE1EEEvPKT5_PKbPfiPT4_PiiiibPKf: ; @_ZN4vllm3moe10topkGatingILi8ELi16ELi4ELi16ELi32Ei14__hip_bfloat16LNS0_11ScoringFuncE1EEEvPKT5_PKbPfiPT4_PiiiibPKf
; %bb.0:
	s_load_dword s24, s[4:5], 0x18
	v_bfe_u32 v1, v0, 10, 10
	v_and_b32_e32 v0, 0x3ff, v0
	s_lshl_b32 s0, s6, 6
	v_lshlrev_b32_e32 v1, 4, v1
	v_lshrrev_b32_e32 v2, 1, v0
	v_add3_u32 v16, s0, v1, v2
	s_waitcnt lgkmcnt(0)
	v_cmp_gt_i32_e32 vcc, s24, v16
	s_and_saveexec_b64 s[0:1], vcc
	s_cbranch_execz .LBB319_30
; %bb.1:
	s_load_dwordx4 s[0:3], s[4:5], 0x0
	s_load_dwordx2 s[16:17], s[4:5], 0x10
	s_mov_b64 s[8:9], -1
	s_mov_b64 s[18:19], -1
	s_waitcnt lgkmcnt(0)
	s_cmp_eq_u64 s[2:3], 0
	s_cbranch_scc1 .LBB319_3
; %bb.2:
	v_ashrrev_i32_e32 v1, 31, v16
	v_mov_b32_e32 v3, s3
	v_add_co_u32_e32 v2, vcc, s2, v16
	v_addc_co_u32_e32 v3, vcc, v3, v1, vcc
	global_load_ubyte v1, v[2:3], off
	s_waitcnt vmcnt(0)
	v_and_b32_e32 v1, 1, v1
	v_cmp_eq_u32_e32 vcc, 1, v1
	s_xor_b64 s[2:3], vcc, -1
	s_orn2_b64 s[18:19], s[2:3], exec
.LBB319_3:
	v_lshlrev_b32_e32 v2, 4, v16
	v_ashrrev_i32_e32 v3, 31, v2
	v_lshlrev_b64 v[2:3], 1, v[2:3]
	v_mov_b32_e32 v1, s1
	v_add_co_u32_e32 v2, vcc, s0, v2
	v_and_b32_e32 v17, 1, v0
	v_addc_co_u32_e32 v1, vcc, v1, v3, vcc
	v_lshlrev_b32_e32 v0, 4, v17
	v_add_co_u32_e32 v0, vcc, v2, v0
	v_addc_co_u32_e32 v1, vcc, 0, v1, vcc
	global_load_dwordx4 v[0:3], v[0:1], off
	v_mov_b32_e32 v8, 0x207
	s_load_dwordx2 s[10:11], s[4:5], 0x40
	v_lshlrev_b32_e32 v18, 3, v17
	s_waitcnt lgkmcnt(0)
	s_cmp_eq_u64 s[10:11], 0
	s_waitcnt vmcnt(0)
	v_lshlrev_b32_e32 v4, 16, v0
	v_and_b32_e32 v0, 0xffff0000, v0
	v_lshlrev_b32_e32 v5, 16, v1
	v_and_b32_e32 v1, 0xffff0000, v1
	v_mul_f32_e32 v4, 0xbfb8aa3b, v4
	v_mul_f32_e32 v9, 0xbfb8aa3b, v0
	;; [unrolled: 1-line block ×3, first 2 shown]
	v_exp_f32_e32 v0, v4
	v_exp_f32_e32 v1, v9
	v_lshlrev_b32_e32 v6, 16, v2
	v_and_b32_e32 v2, 0xffff0000, v2
	v_lshlrev_b32_e32 v7, 16, v3
	v_and_b32_e32 v3, 0xffff0000, v3
	v_mul_f32_e32 v5, 0xbfb8aa3b, v5
	v_mul_f32_e32 v11, 0xbfb8aa3b, v2
	;; [unrolled: 1-line block ×3, first 2 shown]
	v_exp_f32_e32 v2, v5
	v_exp_f32_e32 v3, v10
	v_pk_add_f32 v[0:1], v[0:1], 1.0 op_sel_hi:[1,0]
	v_div_scale_f32 v9, s[0:1], v1, v1, 1.0
	v_rcp_f32_e32 v21, v9
	v_exp_f32_e32 v5, v11
	v_div_scale_f32 v11, s[0:1], v0, v0, 1.0
	v_pk_add_f32 v[2:3], v[2:3], 1.0 op_sel_hi:[1,0]
	v_rcp_f32_e32 v22, v11
	v_div_scale_f32 v13, s[2:3], v3, v3, 1.0
	v_rcp_f32_e32 v23, v13
	v_fma_f32 v26, -v9, v21, 1.0
	v_div_scale_f32 v10, vcc, 1.0, v1, 1.0
	v_div_scale_f32 v15, s[6:7], v2, v2, 1.0
	v_fmac_f32_e32 v21, v26, v21
	v_mul_f32_e32 v6, 0xbfb8aa3b, v6
	v_mul_f32_e32 v7, 0xbfb8aa3b, v7
	v_rcp_f32_e32 v24, v15
	v_fma_f32 v27, -v11, v22, 1.0
	v_mul_f32_e32 v26, v10, v21
	v_exp_f32_e32 v4, v6
	v_exp_f32_e32 v6, v7
	;; [unrolled: 1-line block ×3, first 2 shown]
	v_div_scale_f32 v12, s[0:1], 1.0, v0, 1.0
	v_fmac_f32_e32 v22, v27, v22
	v_fma_f32 v30, -v9, v26, v10
	v_fma_f32 v28, -v13, v23, 1.0
	v_mul_f32_e32 v27, v12, v22
	v_fmac_f32_e32 v26, v30, v21
	v_div_scale_f32 v14, s[2:3], 1.0, v3, 1.0
	v_fmac_f32_e32 v23, v28, v23
	v_fma_f32 v31, -v11, v27, v12
	v_fma_f32 v9, -v9, v26, v10
	v_fma_f32 v29, -v15, v24, 1.0
	v_mul_f32_e32 v28, v14, v23
	v_fmac_f32_e32 v27, v31, v22
	v_div_fmas_f32 v9, v9, v21, v26
	v_div_scale_f32 v19, s[6:7], 1.0, v2, 1.0
	v_fmac_f32_e32 v24, v29, v24
	v_fma_f32 v32, -v13, v28, v14
	v_fma_f32 v10, -v11, v27, v12
	v_div_fixup_f32 v1, v9, v1, 1.0
	s_mov_b64 vcc, s[0:1]
	v_pk_add_f32 v[4:5], v[4:5], 1.0 op_sel_hi:[1,0]
	v_mul_f32_e32 v29, v19, v24
	v_fmac_f32_e32 v28, v32, v23
	v_div_fmas_f32 v9, v10, v22, v27
	v_cmp_class_f32_e32 vcc, v1, v8
	v_div_scale_f32 v20, s[12:13], v5, v5, 1.0
	v_fma_f32 v33, -v15, v29, v19
	v_fma_f32 v11, -v13, v28, v14
	v_div_fixup_f32 v0, v9, v0, 1.0
	v_cndmask_b32_e64 v1, v1, 0, vcc
	s_mov_b64 vcc, s[2:3]
	v_rcp_f32_e32 v25, v20
	v_fmac_f32_e32 v29, v33, v24
	v_div_fmas_f32 v9, v11, v23, v28
	v_cmp_class_f32_e32 vcc, v0, v8
	v_fma_f32 v12, -v15, v29, v19
	v_cndmask_b32_e64 v0, v0, 0, vcc
	s_mov_b64 vcc, s[6:7]
	v_div_fixup_f32 v3, v9, v3, 1.0
	v_div_fmas_f32 v9, v12, v24, v29
	v_div_fixup_f32 v2, v9, v2, 1.0
	v_cmp_class_f32_e32 vcc, v3, v8
	v_cndmask_b32_e64 v3, v3, 0, vcc
	v_cmp_class_f32_e32 vcc, v2, v8
	v_fma_f32 v9, -v20, v25, 1.0
	v_cndmask_b32_e64 v2, v2, 0, vcc
	v_fmac_f32_e32 v25, v9, v25
	v_div_scale_f32 v9, vcc, 1.0, v5, 1.0
	v_mul_f32_e32 v10, v9, v25
	v_fma_f32 v11, -v20, v10, v9
	v_fmac_f32_e32 v10, v11, v25
	v_div_scale_f32 v11, s[0:1], v4, v4, 1.0
	v_rcp_f32_e32 v12, v11
	v_fma_f32 v9, -v20, v10, v9
	v_div_fmas_f32 v9, v9, v25, v10
	v_div_fixup_f32 v5, v9, v5, 1.0
	v_fma_f32 v9, -v11, v12, 1.0
	v_fmac_f32_e32 v12, v9, v12
	v_div_scale_f32 v9, vcc, 1.0, v4, 1.0
	v_mul_f32_e32 v10, v9, v12
	v_fma_f32 v13, -v11, v10, v9
	v_fmac_f32_e32 v10, v13, v12
	v_fma_f32 v9, -v11, v10, v9
	v_div_fmas_f32 v9, v9, v12, v10
	v_pk_add_f32 v[6:7], v[6:7], 1.0 op_sel_hi:[1,0]
	v_div_fixup_f32 v4, v9, v4, 1.0
	v_div_scale_f32 v9, s[0:1], v7, v7, 1.0
	v_rcp_f32_e32 v10, v9
	v_cmp_class_f32_e32 vcc, v5, v8
	v_cndmask_b32_e64 v5, v5, 0, vcc
	v_cmp_class_f32_e32 vcc, v4, v8
	v_fma_f32 v11, -v9, v10, 1.0
	v_cndmask_b32_e64 v4, v4, 0, vcc
	v_fmac_f32_e32 v10, v11, v10
	v_div_scale_f32 v11, vcc, 1.0, v7, 1.0
	v_mul_f32_e32 v12, v11, v10
	v_fma_f32 v13, -v9, v12, v11
	v_fmac_f32_e32 v12, v13, v10
	v_fma_f32 v9, -v9, v12, v11
	v_div_scale_f32 v11, s[0:1], v6, v6, 1.0
	v_rcp_f32_e32 v13, v11
	v_div_fmas_f32 v9, v9, v10, v12
	v_div_fixup_f32 v7, v9, v7, 1.0
	v_fma_f32 v9, -v11, v13, 1.0
	v_fmac_f32_e32 v13, v9, v13
	v_div_scale_f32 v9, vcc, 1.0, v6, 1.0
	v_mul_f32_e32 v10, v9, v13
	v_fma_f32 v12, -v11, v10, v9
	v_fmac_f32_e32 v10, v12, v13
	v_fma_f32 v9, -v11, v10, v9
	v_div_fmas_f32 v9, v9, v13, v10
	v_div_fixup_f32 v6, v9, v6, 1.0
	v_cmp_class_f32_e32 vcc, v7, v8
	v_cndmask_b32_e64 v7, v7, 0, vcc
	v_cmp_class_f32_e32 vcc, v6, v8
	v_cndmask_b32_e64 v6, v6, 0, vcc
	s_cbranch_scc1 .LBB319_19
; %bb.4:
	v_lshlrev_b32_e32 v19, 2, v18
	global_load_dwordx4 v[8:11], v19, s[10:11]
	global_load_dwordx4 v[12:15], v19, s[10:11] offset:16
	s_waitcnt vmcnt(1)
	v_pk_add_f32 v[8:9], v[8:9], v[0:1]
	v_pk_add_f32 v[10:11], v[10:11], v[2:3]
	s_waitcnt vmcnt(0)
	v_pk_add_f32 v[12:13], v[12:13], v[4:5]
	v_pk_add_f32 v[14:15], v[14:15], v[6:7]
	s_cbranch_execnz .LBB319_6
.LBB319_5:
	v_pk_mov_b32 v[14:15], v[6:7], v[6:7] op_sel:[0,1]
	v_pk_mov_b32 v[12:13], v[4:5], v[4:5] op_sel:[0,1]
	;; [unrolled: 1-line block ×4, first 2 shown]
.LBB319_6:
	s_load_dwordx4 s[8:11], s[4:5], 0x30
	s_mov_b32 s25, 0
	v_cmp_eq_u32_e64 s[0:1], 0, v17
	s_waitcnt lgkmcnt(0)
	s_bitcmp1_b32 s11, 0
	s_cselect_b64 vcc, -1, 0
	s_cmp_gt_i32 s8, 0
	s_cselect_b64 s[6:7], -1, 0
	s_cmp_lt_i32 s8, 1
	s_cbranch_scc1 .LBB319_20
; %bb.7:
	v_mbcnt_lo_u32_b32 v19, -1, 0
	v_mbcnt_hi_u32_b32 v19, -1, v19
	s_load_dwordx4 s[12:15], s[4:5], 0x20
	v_and_b32_e32 v21, 0x7e, v19
	v_xor_b32_e32 v20, 1, v19
	v_add_u32_e32 v21, 2, v21
	v_cmp_lt_i32_e64 s[2:3], v20, v21
	v_cndmask_b32_e64 v19, v19, v20, s[2:3]
	v_lshlrev_b32_e32 v20, 2, v19
	v_mul_lo_u32 v21, v16, s8
	v_mov_b32_e32 v19, 0
	v_mov_b32_e32 v22, 0xc61c4000
	;; [unrolled: 1-line block ×3, first 2 shown]
	s_branch .LBB319_10
.LBB319_8:                              ;   in Loop: Header=BB319_10 Depth=1
	s_or_b64 exec, exec, s[4:5]
.LBB319_9:                              ;   in Loop: Header=BB319_10 Depth=1
	s_cmp_eq_u32 s8, s25
	v_add_u32_e32 v23, s24, v23
	s_cbranch_scc1 .LBB319_21
.LBB319_10:                             ; =>This Inner Loop Header: Depth=1
	v_cmp_gt_f32_e64 s[2:3], v9, v8
	v_cndmask_b32_e64 v26, v8, v9, s[2:3]
	v_cndmask_b32_e64 v24, 0, 1, s[2:3]
	v_cndmask_b32_e64 v25, v0, v1, s[2:3]
	v_cmp_gt_f32_e64 s[2:3], v10, v26
	v_cndmask_b32_e64 v26, v26, v10, s[2:3]
	v_cndmask_b32_e64 v24, v24, 2, s[2:3]
	v_cndmask_b32_e64 v25, v25, v2, s[2:3]
	;; [unrolled: 4-line block ×6, first 2 shown]
	v_cmp_gt_f32_e64 s[2:3], v15, v26
	v_cndmask_b32_e64 v24, v24, 7, s[2:3]
	v_cndmask_b32_e64 v28, v26, v15, s[2:3]
	v_or_b32_e32 v24, v18, v24
	v_cndmask_b32_e64 v25, v25, v7, s[2:3]
	ds_bpermute_b32 v29, v20, v28
	ds_bpermute_b32 v26, v20, v25
	;; [unrolled: 1-line block ×3, first 2 shown]
	s_waitcnt lgkmcnt(0)
	v_cmp_lt_f32_e64 s[20:21], v28, v29
	v_cmp_nlt_f32_e64 s[2:3], v28, v29
	s_and_saveexec_b64 s[22:23], s[2:3]
	s_cbranch_execnz .LBB319_14
; %bb.11:                               ;   in Loop: Header=BB319_10 Depth=1
	s_or_b64 exec, exec, s[22:23]
	s_and_saveexec_b64 s[2:3], s[20:21]
	s_cbranch_execnz .LBB319_15
.LBB319_12:                             ;   in Loop: Header=BB319_10 Depth=1
	s_or_b64 exec, exec, s[2:3]
	s_and_saveexec_b64 s[20:21], s[0:1]
	s_cbranch_execnz .LBB319_16
.LBB319_13:                             ;   in Loop: Header=BB319_10 Depth=1
	s_or_b64 exec, exec, s[20:21]
	s_add_i32 s25, s25, 1
	s_cmp_ge_i32 s25, s8
	s_cbranch_scc1 .LBB319_9
	s_branch .LBB319_17
.LBB319_14:                             ;   in Loop: Header=BB319_10 Depth=1
	v_cmp_eq_f32_e64 s[2:3], v28, v29
	v_cmp_lt_i32_e64 s[4:5], v27, v24
	s_and_b64 s[2:3], s[2:3], s[4:5]
	s_andn2_b64 s[4:5], s[20:21], exec
	s_and_b64 s[2:3], s[2:3], exec
	s_or_b64 s[20:21], s[4:5], s[2:3]
	s_or_b64 exec, exec, s[22:23]
	s_and_saveexec_b64 s[2:3], s[20:21]
	s_cbranch_execz .LBB319_12
.LBB319_15:                             ;   in Loop: Header=BB319_10 Depth=1
	v_mov_b32_e32 v24, v27
	v_mov_b32_e32 v25, v26
	s_or_b64 exec, exec, s[2:3]
	s_and_saveexec_b64 s[20:21], s[0:1]
	s_cbranch_execz .LBB319_13
.LBB319_16:                             ;   in Loop: Header=BB319_10 Depth=1
	v_add_u32_e32 v26, s25, v21
	v_ashrrev_i32_e32 v27, 31, v26
	v_cmp_le_i32_e64 s[2:3], s9, v24
	v_cmp_gt_i32_e64 s[4:5], s10, v24
	v_lshlrev_b64 v[26:27], 2, v[26:27]
	s_and_b64 s[4:5], s[2:3], s[4:5]
	v_mov_b32_e32 v29, s17
	v_add_co_u32_e64 v28, s[2:3], s16, v26
	v_addc_co_u32_e64 v29, s[2:3], v29, v27, s[2:3]
	global_store_dword v[28:29], v25, off
	v_subrev_u32_e32 v28, s9, v24
	s_and_b64 s[2:3], s[18:19], s[4:5]
	v_cndmask_b32_e64 v30, 16, v28, s[2:3]
	v_mov_b32_e32 v29, s13
	v_add_co_u32_e64 v28, s[2:3], s12, v26
	v_addc_co_u32_e64 v29, s[2:3], v29, v27, s[2:3]
	global_store_dword v[28:29], v30, off
	v_mov_b32_e32 v28, s15
	v_add_co_u32_e64 v26, s[2:3], s14, v26
	v_add_f32_e32 v25, v19, v25
	v_addc_co_u32_e64 v27, s[2:3], v28, v27, s[2:3]
	v_cndmask_b32_e32 v19, v19, v25, vcc
	global_store_dword v[26:27], v23, off
	s_or_b64 exec, exec, s[20:21]
	s_add_i32 s25, s25, 1
	s_cmp_ge_i32 s25, s8
	s_cbranch_scc1 .LBB319_9
.LBB319_17:                             ;   in Loop: Header=BB319_10 Depth=1
	v_ashrrev_i32_e32 v26, 31, v24
	v_lshrrev_b32_e32 v25, 29, v26
	v_add_u32_e32 v27, v24, v25
	v_ashrrev_i32_e32 v25, 3, v27
	v_lshrrev_b32_e32 v27, 31, v27
	v_add_u32_e32 v27, v25, v27
	v_and_b32_e32 v27, -2, v27
	v_sub_u32_e32 v27, v25, v27
	v_cmp_eq_u32_e64 s[2:3], v17, v27
	s_and_saveexec_b64 s[4:5], s[2:3]
	s_cbranch_execz .LBB319_8
; %bb.18:                               ;   in Loop: Header=BB319_10 Depth=1
	v_lshrrev_b32_e32 v26, 28, v26
	v_add_u32_e32 v26, v24, v26
	v_lshlrev_b32_e32 v25, 3, v25
	v_ashrrev_i32_e32 v26, 4, v26
	v_sub_u32_e32 v24, v24, v25
	v_lshl_add_u32 v24, v26, 3, v24
	v_cmp_ne_u32_e64 s[2:3], 7, v24
	v_cndmask_b32_e64 v15, v22, v15, s[2:3]
	v_cmp_ne_u32_e64 s[2:3], 6, v24
	v_cndmask_b32_e64 v14, v22, v14, s[2:3]
	;; [unrolled: 2-line block ×8, first 2 shown]
	s_branch .LBB319_8
.LBB319_19:
                                        ; implicit-def: $vgpr8_vgpr9_vgpr10_vgpr11_vgpr12_vgpr13_vgpr14_vgpr15
	s_andn2_b64 vcc, exec, s[8:9]
	s_cbranch_vccz .LBB319_5
	s_branch .LBB319_6
.LBB319_20:
	v_mov_b32_e32 v19, 0
.LBB319_21:
	v_cmp_eq_u32_e64 s[0:1], 0, v17
	s_and_b64 s[0:1], s[0:1], vcc
	s_and_b64 exec, exec, s[0:1]
	s_cbranch_execz .LBB319_30
; %bb.22:
	s_andn2_b64 vcc, exec, s[6:7]
	s_cbranch_vccnz .LBB319_30
; %bb.23:
	v_cmp_lt_f32_e32 vcc, 0, v19
	s_mov_b32 s2, 0
	v_cndmask_b32_e32 v0, 1.0, v19, vcc
	v_mul_lo_u32 v4, v16, s8
	s_cmp_eq_u32 s8, 1
	s_mov_b64 s[0:1], -1
	s_cbranch_scc1 .LBB319_27
; %bb.24:
	s_and_b32 s2, s8, 0x7ffffffe
	v_mov_b32_e32 v1, v0
	v_mov_b32_e32 v5, s17
	s_mov_b32 s3, s2
	v_mov_b32_e32 v2, v4
.LBB319_25:                             ; =>This Inner Loop Header: Depth=1
	v_ashrrev_i32_e32 v3, 31, v2
	v_lshlrev_b64 v[6:7], 2, v[2:3]
	v_add_co_u32_e32 v6, vcc, s16, v6
	v_addc_co_u32_e32 v7, vcc, v5, v7, vcc
	global_load_dwordx2 v[8:9], v[6:7], off
	s_add_i32 s3, s3, -2
	s_cmp_lg_u32 s3, 0
	v_add_u32_e32 v2, 2, v2
	s_waitcnt vmcnt(0)
	v_div_scale_f32 v3, s[0:1], v1, v1, v9
	v_div_scale_f32 v11, s[0:1], v0, v0, v8
	v_rcp_f32_e32 v12, v3
	v_rcp_f32_e32 v13, v11
	v_div_scale_f32 v10, vcc, v9, v1, v9
	v_fma_f32 v15, -v3, v12, 1.0
	v_fma_f32 v16, -v11, v13, 1.0
	v_fmac_f32_e32 v12, v15, v12
	v_div_scale_f32 v14, s[0:1], v8, v0, v8
	v_fmac_f32_e32 v13, v16, v13
	v_mul_f32_e32 v15, v10, v12
	v_mul_f32_e32 v16, v14, v13
	v_fma_f32 v17, -v3, v15, v10
	v_fma_f32 v18, -v11, v16, v14
	v_fmac_f32_e32 v15, v17, v12
	v_fmac_f32_e32 v16, v18, v13
	v_fma_f32 v3, -v3, v15, v10
	v_fma_f32 v10, -v11, v16, v14
	v_div_fmas_f32 v3, v3, v12, v15
	s_mov_b64 vcc, s[0:1]
	v_div_fixup_f32 v9, v3, v1, v9
	v_div_fmas_f32 v3, v10, v13, v16
	v_div_fixup_f32 v8, v3, v0, v8
	global_store_dwordx2 v[6:7], v[8:9], off
	s_cbranch_scc1 .LBB319_25
; %bb.26:
	s_cmp_lg_u32 s2, s8
	s_cselect_b64 s[0:1], -1, 0
.LBB319_27:
	s_and_b64 vcc, exec, s[0:1]
	s_cbranch_vccz .LBB319_30
; %bb.28:
	v_ashrrev_i32_e32 v1, 31, v4
	v_add_co_u32_e32 v2, vcc, s2, v4
	v_addc_co_u32_e32 v3, vcc, 0, v1, vcc
	v_lshlrev_b64 v[2:3], 2, v[2:3]
	v_mov_b32_e32 v1, s17
	v_add_co_u32_e32 v2, vcc, s16, v2
	s_sub_i32 s0, s8, s2
	v_addc_co_u32_e32 v3, vcc, v1, v3, vcc
.LBB319_29:                             ; =>This Inner Loop Header: Depth=1
	global_load_dword v1, v[2:3], off
	s_add_i32 s0, s0, -1
	s_cmp_lg_u32 s0, 0
	s_waitcnt vmcnt(0)
	v_div_scale_f32 v4, s[2:3], v0, v0, v1
	v_rcp_f32_e32 v5, v4
	v_div_scale_f32 v6, vcc, v1, v0, v1
	v_fma_f32 v7, -v4, v5, 1.0
	v_fmac_f32_e32 v5, v7, v5
	v_mul_f32_e32 v7, v6, v5
	v_fma_f32 v8, -v4, v7, v6
	v_fmac_f32_e32 v7, v8, v5
	v_fma_f32 v4, -v4, v7, v6
	v_div_fmas_f32 v4, v4, v5, v7
	v_div_fixup_f32 v1, v4, v0, v1
	global_store_dword v[2:3], v1, off
	v_add_co_u32_e32 v2, vcc, 4, v2
	v_addc_co_u32_e32 v3, vcc, 0, v3, vcc
	s_cbranch_scc1 .LBB319_29
.LBB319_30:
	s_endpgm
	.section	.rodata,"a",@progbits
	.p2align	6, 0x0
	.amdhsa_kernel _ZN4vllm3moe10topkGatingILi8ELi16ELi4ELi16ELi32Ei14__hip_bfloat16LNS0_11ScoringFuncE1EEEvPKT5_PKbPfiPT4_PiiiibPKf
		.amdhsa_group_segment_fixed_size 0
		.amdhsa_private_segment_fixed_size 0
		.amdhsa_kernarg_size 72
		.amdhsa_user_sgpr_count 6
		.amdhsa_user_sgpr_private_segment_buffer 1
		.amdhsa_user_sgpr_dispatch_ptr 0
		.amdhsa_user_sgpr_queue_ptr 0
		.amdhsa_user_sgpr_kernarg_segment_ptr 1
		.amdhsa_user_sgpr_dispatch_id 0
		.amdhsa_user_sgpr_flat_scratch_init 0
		.amdhsa_user_sgpr_kernarg_preload_length 0
		.amdhsa_user_sgpr_kernarg_preload_offset 0
		.amdhsa_user_sgpr_private_segment_size 0
		.amdhsa_uses_dynamic_stack 0
		.amdhsa_system_sgpr_private_segment_wavefront_offset 0
		.amdhsa_system_sgpr_workgroup_id_x 1
		.amdhsa_system_sgpr_workgroup_id_y 0
		.amdhsa_system_sgpr_workgroup_id_z 0
		.amdhsa_system_sgpr_workgroup_info 0
		.amdhsa_system_vgpr_workitem_id 1
		.amdhsa_next_free_vgpr 34
		.amdhsa_next_free_sgpr 26
		.amdhsa_accum_offset 36
		.amdhsa_reserve_vcc 1
		.amdhsa_reserve_flat_scratch 0
		.amdhsa_float_round_mode_32 0
		.amdhsa_float_round_mode_16_64 0
		.amdhsa_float_denorm_mode_32 3
		.amdhsa_float_denorm_mode_16_64 3
		.amdhsa_dx10_clamp 1
		.amdhsa_ieee_mode 1
		.amdhsa_fp16_overflow 0
		.amdhsa_tg_split 0
		.amdhsa_exception_fp_ieee_invalid_op 0
		.amdhsa_exception_fp_denorm_src 0
		.amdhsa_exception_fp_ieee_div_zero 0
		.amdhsa_exception_fp_ieee_overflow 0
		.amdhsa_exception_fp_ieee_underflow 0
		.amdhsa_exception_fp_ieee_inexact 0
		.amdhsa_exception_int_div_zero 0
	.end_amdhsa_kernel
	.section	.text._ZN4vllm3moe10topkGatingILi8ELi16ELi4ELi16ELi32Ei14__hip_bfloat16LNS0_11ScoringFuncE1EEEvPKT5_PKbPfiPT4_PiiiibPKf,"axG",@progbits,_ZN4vllm3moe10topkGatingILi8ELi16ELi4ELi16ELi32Ei14__hip_bfloat16LNS0_11ScoringFuncE1EEEvPKT5_PKbPfiPT4_PiiiibPKf,comdat
.Lfunc_end319:
	.size	_ZN4vllm3moe10topkGatingILi8ELi16ELi4ELi16ELi32Ei14__hip_bfloat16LNS0_11ScoringFuncE1EEEvPKT5_PKbPfiPT4_PiiiibPKf, .Lfunc_end319-_ZN4vllm3moe10topkGatingILi8ELi16ELi4ELi16ELi32Ei14__hip_bfloat16LNS0_11ScoringFuncE1EEEvPKT5_PKbPfiPT4_PiiiibPKf
                                        ; -- End function
	.section	.AMDGPU.csdata,"",@progbits
; Kernel info:
; codeLenInByte = 2564
; NumSgprs: 30
; NumVgprs: 34
; NumAgprs: 0
; TotalNumVgprs: 34
; ScratchSize: 0
; MemoryBound: 0
; FloatMode: 240
; IeeeMode: 1
; LDSByteSize: 0 bytes/workgroup (compile time only)
; SGPRBlocks: 3
; VGPRBlocks: 4
; NumSGPRsForWavesPerEU: 30
; NumVGPRsForWavesPerEU: 34
; AccumOffset: 36
; Occupancy: 8
; WaveLimiterHint : 0
; COMPUTE_PGM_RSRC2:SCRATCH_EN: 0
; COMPUTE_PGM_RSRC2:USER_SGPR: 6
; COMPUTE_PGM_RSRC2:TRAP_HANDLER: 0
; COMPUTE_PGM_RSRC2:TGID_X_EN: 1
; COMPUTE_PGM_RSRC2:TGID_Y_EN: 0
; COMPUTE_PGM_RSRC2:TGID_Z_EN: 0
; COMPUTE_PGM_RSRC2:TIDIG_COMP_CNT: 1
; COMPUTE_PGM_RSRC3_GFX90A:ACCUM_OFFSET: 8
; COMPUTE_PGM_RSRC3_GFX90A:TG_SPLIT: 0
	.section	.text._ZN4vllm3moe10topkGatingILi8ELi32ELi4ELi16ELi64Ei14__hip_bfloat16LNS0_11ScoringFuncE1EEEvPKT5_PKbPfiPT4_PiiiibPKf,"axG",@progbits,_ZN4vllm3moe10topkGatingILi8ELi32ELi4ELi16ELi64Ei14__hip_bfloat16LNS0_11ScoringFuncE1EEEvPKT5_PKbPfiPT4_PiiiibPKf,comdat
	.protected	_ZN4vllm3moe10topkGatingILi8ELi32ELi4ELi16ELi64Ei14__hip_bfloat16LNS0_11ScoringFuncE1EEEvPKT5_PKbPfiPT4_PiiiibPKf ; -- Begin function _ZN4vllm3moe10topkGatingILi8ELi32ELi4ELi16ELi64Ei14__hip_bfloat16LNS0_11ScoringFuncE1EEEvPKT5_PKbPfiPT4_PiiiibPKf
	.globl	_ZN4vllm3moe10topkGatingILi8ELi32ELi4ELi16ELi64Ei14__hip_bfloat16LNS0_11ScoringFuncE1EEEvPKT5_PKbPfiPT4_PiiiibPKf
	.p2align	8
	.type	_ZN4vllm3moe10topkGatingILi8ELi32ELi4ELi16ELi64Ei14__hip_bfloat16LNS0_11ScoringFuncE1EEEvPKT5_PKbPfiPT4_PiiiibPKf,@function
_ZN4vllm3moe10topkGatingILi8ELi32ELi4ELi16ELi64Ei14__hip_bfloat16LNS0_11ScoringFuncE1EEEvPKT5_PKbPfiPT4_PiiiibPKf: ; @_ZN4vllm3moe10topkGatingILi8ELi32ELi4ELi16ELi64Ei14__hip_bfloat16LNS0_11ScoringFuncE1EEEvPKT5_PKbPfiPT4_PiiiibPKf
; %bb.0:
	s_load_dword s24, s[4:5], 0x18
	v_bfe_u32 v1, v0, 10, 10
	v_and_b32_e32 v0, 0x3ff, v0
	s_lshl_b32 s0, s6, 6
	v_lshlrev_b32_e32 v1, 4, v1
	v_lshrrev_b32_e32 v2, 2, v0
	v_add3_u32 v16, s0, v1, v2
	s_waitcnt lgkmcnt(0)
	v_cmp_gt_i32_e32 vcc, s24, v16
	s_and_saveexec_b64 s[0:1], vcc
	s_cbranch_execz .LBB320_34
; %bb.1:
	s_load_dwordx4 s[0:3], s[4:5], 0x0
	s_load_dwordx2 s[16:17], s[4:5], 0x10
	s_mov_b64 s[8:9], -1
	s_mov_b64 s[18:19], -1
	s_waitcnt lgkmcnt(0)
	s_cmp_eq_u64 s[2:3], 0
	s_cbranch_scc1 .LBB320_3
; %bb.2:
	v_ashrrev_i32_e32 v1, 31, v16
	v_mov_b32_e32 v3, s3
	v_add_co_u32_e32 v2, vcc, s2, v16
	v_addc_co_u32_e32 v3, vcc, v3, v1, vcc
	global_load_ubyte v1, v[2:3], off
	s_waitcnt vmcnt(0)
	v_and_b32_e32 v1, 1, v1
	v_cmp_eq_u32_e32 vcc, 1, v1
	s_xor_b64 s[2:3], vcc, -1
	s_orn2_b64 s[18:19], s[2:3], exec
.LBB320_3:
	v_lshlrev_b32_e32 v2, 5, v16
	v_ashrrev_i32_e32 v3, 31, v2
	v_lshlrev_b64 v[2:3], 1, v[2:3]
	v_mov_b32_e32 v1, s1
	v_add_co_u32_e32 v2, vcc, s0, v2
	v_and_b32_e32 v17, 3, v0
	v_addc_co_u32_e32 v1, vcc, v1, v3, vcc
	v_lshlrev_b32_e32 v0, 4, v17
	v_add_co_u32_e32 v0, vcc, v2, v0
	v_addc_co_u32_e32 v1, vcc, 0, v1, vcc
	global_load_dwordx4 v[0:3], v[0:1], off
	v_mov_b32_e32 v8, 0x207
	s_load_dwordx2 s[10:11], s[4:5], 0x40
	v_lshlrev_b32_e32 v18, 3, v17
	s_waitcnt lgkmcnt(0)
	s_cmp_eq_u64 s[10:11], 0
	s_waitcnt vmcnt(0)
	v_lshlrev_b32_e32 v4, 16, v0
	v_and_b32_e32 v0, 0xffff0000, v0
	v_lshlrev_b32_e32 v5, 16, v1
	v_and_b32_e32 v1, 0xffff0000, v1
	v_mul_f32_e32 v4, 0xbfb8aa3b, v4
	v_mul_f32_e32 v9, 0xbfb8aa3b, v0
	;; [unrolled: 1-line block ×3, first 2 shown]
	v_exp_f32_e32 v0, v4
	v_exp_f32_e32 v1, v9
	v_lshlrev_b32_e32 v6, 16, v2
	v_and_b32_e32 v2, 0xffff0000, v2
	v_lshlrev_b32_e32 v7, 16, v3
	v_and_b32_e32 v3, 0xffff0000, v3
	v_mul_f32_e32 v5, 0xbfb8aa3b, v5
	v_mul_f32_e32 v11, 0xbfb8aa3b, v2
	;; [unrolled: 1-line block ×3, first 2 shown]
	v_exp_f32_e32 v2, v5
	v_exp_f32_e32 v3, v10
	v_pk_add_f32 v[0:1], v[0:1], 1.0 op_sel_hi:[1,0]
	v_div_scale_f32 v9, s[0:1], v1, v1, 1.0
	v_rcp_f32_e32 v21, v9
	v_exp_f32_e32 v5, v11
	v_div_scale_f32 v11, s[0:1], v0, v0, 1.0
	v_pk_add_f32 v[2:3], v[2:3], 1.0 op_sel_hi:[1,0]
	v_rcp_f32_e32 v22, v11
	v_div_scale_f32 v13, s[2:3], v3, v3, 1.0
	v_rcp_f32_e32 v23, v13
	v_fma_f32 v26, -v9, v21, 1.0
	v_div_scale_f32 v10, vcc, 1.0, v1, 1.0
	v_div_scale_f32 v15, s[6:7], v2, v2, 1.0
	v_fmac_f32_e32 v21, v26, v21
	v_mul_f32_e32 v6, 0xbfb8aa3b, v6
	v_mul_f32_e32 v7, 0xbfb8aa3b, v7
	v_rcp_f32_e32 v24, v15
	v_fma_f32 v27, -v11, v22, 1.0
	v_mul_f32_e32 v26, v10, v21
	v_exp_f32_e32 v4, v6
	v_exp_f32_e32 v6, v7
	;; [unrolled: 1-line block ×3, first 2 shown]
	v_div_scale_f32 v12, s[0:1], 1.0, v0, 1.0
	v_fmac_f32_e32 v22, v27, v22
	v_fma_f32 v30, -v9, v26, v10
	v_fma_f32 v28, -v13, v23, 1.0
	v_mul_f32_e32 v27, v12, v22
	v_fmac_f32_e32 v26, v30, v21
	v_div_scale_f32 v14, s[2:3], 1.0, v3, 1.0
	v_fmac_f32_e32 v23, v28, v23
	v_fma_f32 v31, -v11, v27, v12
	v_fma_f32 v9, -v9, v26, v10
	v_fma_f32 v29, -v15, v24, 1.0
	v_mul_f32_e32 v28, v14, v23
	v_fmac_f32_e32 v27, v31, v22
	v_div_fmas_f32 v9, v9, v21, v26
	v_div_scale_f32 v19, s[6:7], 1.0, v2, 1.0
	v_fmac_f32_e32 v24, v29, v24
	v_fma_f32 v32, -v13, v28, v14
	v_fma_f32 v10, -v11, v27, v12
	v_div_fixup_f32 v1, v9, v1, 1.0
	s_mov_b64 vcc, s[0:1]
	v_pk_add_f32 v[4:5], v[4:5], 1.0 op_sel_hi:[1,0]
	v_mul_f32_e32 v29, v19, v24
	v_fmac_f32_e32 v28, v32, v23
	v_div_fmas_f32 v9, v10, v22, v27
	v_cmp_class_f32_e32 vcc, v1, v8
	v_div_scale_f32 v20, s[12:13], v5, v5, 1.0
	v_fma_f32 v33, -v15, v29, v19
	v_fma_f32 v11, -v13, v28, v14
	v_div_fixup_f32 v0, v9, v0, 1.0
	v_cndmask_b32_e64 v1, v1, 0, vcc
	s_mov_b64 vcc, s[2:3]
	v_rcp_f32_e32 v25, v20
	v_fmac_f32_e32 v29, v33, v24
	v_div_fmas_f32 v9, v11, v23, v28
	v_cmp_class_f32_e32 vcc, v0, v8
	v_fma_f32 v12, -v15, v29, v19
	v_cndmask_b32_e64 v0, v0, 0, vcc
	s_mov_b64 vcc, s[6:7]
	v_div_fixup_f32 v3, v9, v3, 1.0
	v_div_fmas_f32 v9, v12, v24, v29
	v_div_fixup_f32 v2, v9, v2, 1.0
	v_cmp_class_f32_e32 vcc, v3, v8
	v_cndmask_b32_e64 v3, v3, 0, vcc
	v_cmp_class_f32_e32 vcc, v2, v8
	v_fma_f32 v9, -v20, v25, 1.0
	v_cndmask_b32_e64 v2, v2, 0, vcc
	v_fmac_f32_e32 v25, v9, v25
	v_div_scale_f32 v9, vcc, 1.0, v5, 1.0
	v_mul_f32_e32 v10, v9, v25
	v_fma_f32 v11, -v20, v10, v9
	v_fmac_f32_e32 v10, v11, v25
	v_div_scale_f32 v11, s[0:1], v4, v4, 1.0
	v_rcp_f32_e32 v12, v11
	v_fma_f32 v9, -v20, v10, v9
	v_div_fmas_f32 v9, v9, v25, v10
	v_div_fixup_f32 v5, v9, v5, 1.0
	v_fma_f32 v9, -v11, v12, 1.0
	v_fmac_f32_e32 v12, v9, v12
	v_div_scale_f32 v9, vcc, 1.0, v4, 1.0
	v_mul_f32_e32 v10, v9, v12
	v_fma_f32 v13, -v11, v10, v9
	v_fmac_f32_e32 v10, v13, v12
	v_fma_f32 v9, -v11, v10, v9
	v_div_fmas_f32 v9, v9, v12, v10
	v_pk_add_f32 v[6:7], v[6:7], 1.0 op_sel_hi:[1,0]
	v_div_fixup_f32 v4, v9, v4, 1.0
	v_div_scale_f32 v9, s[0:1], v7, v7, 1.0
	v_rcp_f32_e32 v10, v9
	v_cmp_class_f32_e32 vcc, v5, v8
	v_cndmask_b32_e64 v5, v5, 0, vcc
	v_cmp_class_f32_e32 vcc, v4, v8
	v_fma_f32 v11, -v9, v10, 1.0
	v_cndmask_b32_e64 v4, v4, 0, vcc
	v_fmac_f32_e32 v10, v11, v10
	v_div_scale_f32 v11, vcc, 1.0, v7, 1.0
	v_mul_f32_e32 v12, v11, v10
	v_fma_f32 v13, -v9, v12, v11
	v_fmac_f32_e32 v12, v13, v10
	v_fma_f32 v9, -v9, v12, v11
	v_div_scale_f32 v11, s[0:1], v6, v6, 1.0
	v_rcp_f32_e32 v13, v11
	v_div_fmas_f32 v9, v9, v10, v12
	v_div_fixup_f32 v7, v9, v7, 1.0
	v_fma_f32 v9, -v11, v13, 1.0
	v_fmac_f32_e32 v13, v9, v13
	v_div_scale_f32 v9, vcc, 1.0, v6, 1.0
	v_mul_f32_e32 v10, v9, v13
	v_fma_f32 v12, -v11, v10, v9
	v_fmac_f32_e32 v10, v12, v13
	v_fma_f32 v9, -v11, v10, v9
	v_div_fmas_f32 v9, v9, v13, v10
	v_div_fixup_f32 v6, v9, v6, 1.0
	v_cmp_class_f32_e32 vcc, v7, v8
	v_cndmask_b32_e64 v7, v7, 0, vcc
	v_cmp_class_f32_e32 vcc, v6, v8
	v_cndmask_b32_e64 v6, v6, 0, vcc
	s_cbranch_scc1 .LBB320_23
; %bb.4:
	v_lshlrev_b32_e32 v19, 2, v18
	global_load_dwordx4 v[8:11], v19, s[10:11]
	global_load_dwordx4 v[12:15], v19, s[10:11] offset:16
	s_waitcnt vmcnt(1)
	v_pk_add_f32 v[8:9], v[8:9], v[0:1]
	v_pk_add_f32 v[10:11], v[10:11], v[2:3]
	s_waitcnt vmcnt(0)
	v_pk_add_f32 v[12:13], v[12:13], v[4:5]
	v_pk_add_f32 v[14:15], v[14:15], v[6:7]
	s_cbranch_execnz .LBB320_6
.LBB320_5:
	v_pk_mov_b32 v[14:15], v[6:7], v[6:7] op_sel:[0,1]
	v_pk_mov_b32 v[12:13], v[4:5], v[4:5] op_sel:[0,1]
	;; [unrolled: 1-line block ×4, first 2 shown]
.LBB320_6:
	s_load_dwordx4 s[8:11], s[4:5], 0x30
	s_mov_b32 s25, 0
	v_cmp_eq_u32_e64 s[0:1], 0, v17
	s_waitcnt lgkmcnt(0)
	s_bitcmp1_b32 s11, 0
	s_cselect_b64 vcc, -1, 0
	s_cmp_gt_i32 s8, 0
	s_cselect_b64 s[6:7], -1, 0
	s_cmp_lt_i32 s8, 1
	s_cbranch_scc1 .LBB320_24
; %bb.7:
	v_mbcnt_lo_u32_b32 v19, -1, 0
	v_mbcnt_hi_u32_b32 v19, -1, v19
	v_and_b32_e32 v20, 0x7c, v19
	s_load_dwordx4 s[12:15], s[4:5], 0x20
	v_add_u32_e32 v22, 4, v20
	v_xor_b32_e32 v21, 2, v19
	v_cmp_lt_i32_e64 s[2:3], v21, v22
	v_xor_b32_e32 v23, 1, v19
	v_cndmask_b32_e64 v21, v19, v21, s[2:3]
	v_cmp_lt_i32_e64 s[2:3], v23, v22
	v_cndmask_b32_e64 v19, v19, v23, s[2:3]
	v_mul_lo_u32 v20, v16, s8
	v_lshlrev_b32_e32 v21, 2, v21
	v_lshlrev_b32_e32 v22, 2, v19
	v_mov_b32_e32 v19, 0
	v_mov_b32_e32 v23, 0xc61c4000
	;; [unrolled: 1-line block ×3, first 2 shown]
	s_branch .LBB320_10
.LBB320_8:                              ;   in Loop: Header=BB320_10 Depth=1
	s_or_b64 exec, exec, s[4:5]
.LBB320_9:                              ;   in Loop: Header=BB320_10 Depth=1
	s_cmp_eq_u32 s8, s25
	v_add_u32_e32 v24, s24, v24
	s_cbranch_scc1 .LBB320_25
.LBB320_10:                             ; =>This Inner Loop Header: Depth=1
	v_cmp_gt_f32_e64 s[2:3], v9, v8
	v_cndmask_b32_e64 v27, v8, v9, s[2:3]
	v_cndmask_b32_e64 v25, 0, 1, s[2:3]
	v_cndmask_b32_e64 v26, v0, v1, s[2:3]
	v_cmp_gt_f32_e64 s[2:3], v10, v27
	v_cndmask_b32_e64 v27, v27, v10, s[2:3]
	v_cndmask_b32_e64 v25, v25, 2, s[2:3]
	v_cndmask_b32_e64 v26, v26, v2, s[2:3]
	;; [unrolled: 4-line block ×6, first 2 shown]
	v_cmp_gt_f32_e64 s[2:3], v15, v27
	v_cndmask_b32_e64 v25, v25, 7, s[2:3]
	v_cndmask_b32_e64 v27, v27, v15, s[2:3]
	v_or_b32_e32 v25, v18, v25
	v_cndmask_b32_e64 v26, v26, v7, s[2:3]
	s_waitcnt lgkmcnt(0)
	ds_bpermute_b32 v28, v21, v27
	ds_bpermute_b32 v30, v21, v26
	;; [unrolled: 1-line block ×3, first 2 shown]
	s_waitcnt lgkmcnt(0)
	v_cmp_lt_f32_e64 s[20:21], v27, v28
	v_cmp_nlt_f32_e64 s[2:3], v27, v28
	s_and_saveexec_b64 s[22:23], s[2:3]
; %bb.11:                               ;   in Loop: Header=BB320_10 Depth=1
	v_cmp_eq_f32_e64 s[2:3], v27, v28
	v_cmp_lt_i32_e64 s[4:5], v29, v25
	s_and_b64 s[2:3], s[2:3], s[4:5]
	s_andn2_b64 s[4:5], s[20:21], exec
	s_and_b64 s[2:3], s[2:3], exec
	s_or_b64 s[20:21], s[4:5], s[2:3]
; %bb.12:                               ;   in Loop: Header=BB320_10 Depth=1
	s_or_b64 exec, exec, s[22:23]
	s_and_saveexec_b64 s[2:3], s[20:21]
; %bb.13:                               ;   in Loop: Header=BB320_10 Depth=1
	v_mov_b32_e32 v26, v30
	v_mov_b32_e32 v27, v28
	;; [unrolled: 1-line block ×3, first 2 shown]
; %bb.14:                               ;   in Loop: Header=BB320_10 Depth=1
	s_or_b64 exec, exec, s[2:3]
	ds_bpermute_b32 v30, v22, v27
	ds_bpermute_b32 v28, v22, v26
	ds_bpermute_b32 v29, v22, v25
	s_waitcnt lgkmcnt(2)
	v_cmp_lt_f32_e64 s[20:21], v27, v30
	v_cmp_nlt_f32_e64 s[2:3], v27, v30
	s_and_saveexec_b64 s[22:23], s[2:3]
	s_cbranch_execnz .LBB320_18
; %bb.15:                               ;   in Loop: Header=BB320_10 Depth=1
	s_or_b64 exec, exec, s[22:23]
	s_and_saveexec_b64 s[2:3], s[20:21]
	s_cbranch_execnz .LBB320_19
.LBB320_16:                             ;   in Loop: Header=BB320_10 Depth=1
	s_or_b64 exec, exec, s[2:3]
	s_and_saveexec_b64 s[20:21], s[0:1]
	s_cbranch_execnz .LBB320_20
.LBB320_17:                             ;   in Loop: Header=BB320_10 Depth=1
	s_or_b64 exec, exec, s[20:21]
	s_add_i32 s25, s25, 1
	s_cmp_ge_i32 s25, s8
	s_cbranch_scc1 .LBB320_9
	s_branch .LBB320_21
.LBB320_18:                             ;   in Loop: Header=BB320_10 Depth=1
	v_cmp_eq_f32_e64 s[2:3], v27, v30
	s_waitcnt lgkmcnt(0)
	v_cmp_lt_i32_e64 s[4:5], v29, v25
	s_and_b64 s[2:3], s[2:3], s[4:5]
	s_andn2_b64 s[4:5], s[20:21], exec
	s_and_b64 s[2:3], s[2:3], exec
	s_or_b64 s[20:21], s[4:5], s[2:3]
	s_or_b64 exec, exec, s[22:23]
	s_and_saveexec_b64 s[2:3], s[20:21]
	s_cbranch_execz .LBB320_16
.LBB320_19:                             ;   in Loop: Header=BB320_10 Depth=1
	s_waitcnt lgkmcnt(0)
	v_mov_b32_e32 v25, v29
	v_mov_b32_e32 v26, v28
	s_or_b64 exec, exec, s[2:3]
	s_and_saveexec_b64 s[20:21], s[0:1]
	s_cbranch_execz .LBB320_17
.LBB320_20:                             ;   in Loop: Header=BB320_10 Depth=1
	s_waitcnt lgkmcnt(1)
	v_add_u32_e32 v28, s25, v20
	s_waitcnt lgkmcnt(0)
	v_ashrrev_i32_e32 v29, 31, v28
	v_cmp_le_i32_e64 s[2:3], s9, v25
	v_cmp_gt_i32_e64 s[4:5], s10, v25
	v_lshlrev_b64 v[28:29], 2, v[28:29]
	s_and_b64 s[4:5], s[2:3], s[4:5]
	v_mov_b32_e32 v27, s17
	v_add_co_u32_e64 v30, s[2:3], s16, v28
	v_addc_co_u32_e64 v31, s[2:3], v27, v29, s[2:3]
	v_subrev_u32_e32 v27, s9, v25
	s_and_b64 s[2:3], s[18:19], s[4:5]
	global_store_dword v[30:31], v26, off
	v_cndmask_b32_e64 v27, 32, v27, s[2:3]
	v_mov_b32_e32 v31, s13
	v_add_co_u32_e64 v30, s[2:3], s12, v28
	v_addc_co_u32_e64 v31, s[2:3], v31, v29, s[2:3]
	global_store_dword v[30:31], v27, off
	v_mov_b32_e32 v27, s15
	v_add_co_u32_e64 v28, s[2:3], s14, v28
	v_add_f32_e32 v26, v19, v26
	v_addc_co_u32_e64 v29, s[2:3], v27, v29, s[2:3]
	v_cndmask_b32_e32 v19, v19, v26, vcc
	global_store_dword v[28:29], v24, off
	s_or_b64 exec, exec, s[20:21]
	s_add_i32 s25, s25, 1
	s_cmp_ge_i32 s25, s8
	s_cbranch_scc1 .LBB320_9
.LBB320_21:                             ;   in Loop: Header=BB320_10 Depth=1
	v_ashrrev_i32_e32 v27, 31, v25
	v_lshrrev_b32_e32 v26, 29, v27
	v_add_u32_e32 v26, v25, v26
	v_ashrrev_i32_e32 v26, 3, v26
	s_waitcnt lgkmcnt(1)
	v_lshrrev_b32_e32 v28, 30, v26
	v_add_u32_e32 v28, v26, v28
	v_and_b32_e32 v28, -4, v28
	v_sub_u32_e32 v28, v26, v28
	v_cmp_eq_u32_e64 s[2:3], v17, v28
	s_and_saveexec_b64 s[4:5], s[2:3]
	s_cbranch_execz .LBB320_8
; %bb.22:                               ;   in Loop: Header=BB320_10 Depth=1
	v_lshrrev_b32_e32 v27, 27, v27
	v_add_u32_e32 v27, v25, v27
	v_lshlrev_b32_e32 v26, 3, v26
	v_ashrrev_i32_e32 v27, 5, v27
	v_sub_u32_e32 v25, v25, v26
	v_lshl_add_u32 v25, v27, 3, v25
	v_cmp_ne_u32_e64 s[2:3], 7, v25
	v_cndmask_b32_e64 v15, v23, v15, s[2:3]
	v_cmp_ne_u32_e64 s[2:3], 6, v25
	v_cndmask_b32_e64 v14, v23, v14, s[2:3]
	;; [unrolled: 2-line block ×8, first 2 shown]
	s_branch .LBB320_8
.LBB320_23:
                                        ; implicit-def: $vgpr8_vgpr9_vgpr10_vgpr11_vgpr12_vgpr13_vgpr14_vgpr15
	s_andn2_b64 vcc, exec, s[8:9]
	s_cbranch_vccz .LBB320_5
	s_branch .LBB320_6
.LBB320_24:
	v_mov_b32_e32 v19, 0
.LBB320_25:
	v_cmp_eq_u32_e64 s[0:1], 0, v17
	s_and_b64 s[0:1], s[0:1], vcc
	s_and_b64 exec, exec, s[0:1]
	s_cbranch_execz .LBB320_34
; %bb.26:
	s_andn2_b64 vcc, exec, s[6:7]
	s_cbranch_vccnz .LBB320_34
; %bb.27:
	v_cmp_lt_f32_e32 vcc, 0, v19
	s_mov_b32 s2, 0
	v_cndmask_b32_e32 v0, 1.0, v19, vcc
	v_mul_lo_u32 v4, v16, s8
	s_cmp_eq_u32 s8, 1
	s_mov_b64 s[0:1], -1
	s_cbranch_scc1 .LBB320_31
; %bb.28:
	s_and_b32 s2, s8, 0x7ffffffe
	v_mov_b32_e32 v1, v0
	v_mov_b32_e32 v5, s17
	s_mov_b32 s3, s2
	v_mov_b32_e32 v2, v4
.LBB320_29:                             ; =>This Inner Loop Header: Depth=1
	v_ashrrev_i32_e32 v3, 31, v2
	v_lshlrev_b64 v[6:7], 2, v[2:3]
	v_add_co_u32_e32 v6, vcc, s16, v6
	v_addc_co_u32_e32 v7, vcc, v5, v7, vcc
	global_load_dwordx2 v[8:9], v[6:7], off
	s_add_i32 s3, s3, -2
	s_cmp_lg_u32 s3, 0
	v_add_u32_e32 v2, 2, v2
	s_waitcnt vmcnt(0)
	v_div_scale_f32 v3, s[0:1], v1, v1, v9
	v_div_scale_f32 v11, s[0:1], v0, v0, v8
	v_rcp_f32_e32 v12, v3
	v_rcp_f32_e32 v13, v11
	v_div_scale_f32 v10, vcc, v9, v1, v9
	v_fma_f32 v15, -v3, v12, 1.0
	v_fma_f32 v16, -v11, v13, 1.0
	v_fmac_f32_e32 v12, v15, v12
	v_div_scale_f32 v14, s[0:1], v8, v0, v8
	v_fmac_f32_e32 v13, v16, v13
	v_mul_f32_e32 v15, v10, v12
	v_mul_f32_e32 v16, v14, v13
	v_fma_f32 v17, -v3, v15, v10
	v_fma_f32 v18, -v11, v16, v14
	v_fmac_f32_e32 v15, v17, v12
	v_fmac_f32_e32 v16, v18, v13
	v_fma_f32 v3, -v3, v15, v10
	v_fma_f32 v10, -v11, v16, v14
	v_div_fmas_f32 v3, v3, v12, v15
	s_mov_b64 vcc, s[0:1]
	v_div_fixup_f32 v9, v3, v1, v9
	v_div_fmas_f32 v3, v10, v13, v16
	v_div_fixup_f32 v8, v3, v0, v8
	global_store_dwordx2 v[6:7], v[8:9], off
	s_cbranch_scc1 .LBB320_29
; %bb.30:
	s_cmp_lg_u32 s2, s8
	s_cselect_b64 s[0:1], -1, 0
.LBB320_31:
	s_and_b64 vcc, exec, s[0:1]
	s_cbranch_vccz .LBB320_34
; %bb.32:
	v_ashrrev_i32_e32 v1, 31, v4
	v_add_co_u32_e32 v2, vcc, s2, v4
	v_addc_co_u32_e32 v3, vcc, 0, v1, vcc
	v_lshlrev_b64 v[2:3], 2, v[2:3]
	v_mov_b32_e32 v1, s17
	v_add_co_u32_e32 v2, vcc, s16, v2
	s_sub_i32 s0, s8, s2
	v_addc_co_u32_e32 v3, vcc, v1, v3, vcc
.LBB320_33:                             ; =>This Inner Loop Header: Depth=1
	global_load_dword v1, v[2:3], off
	s_add_i32 s0, s0, -1
	s_cmp_lg_u32 s0, 0
	s_waitcnt vmcnt(0)
	v_div_scale_f32 v4, s[2:3], v0, v0, v1
	v_rcp_f32_e32 v5, v4
	v_div_scale_f32 v6, vcc, v1, v0, v1
	v_fma_f32 v7, -v4, v5, 1.0
	v_fmac_f32_e32 v5, v7, v5
	v_mul_f32_e32 v7, v6, v5
	v_fma_f32 v8, -v4, v7, v6
	v_fmac_f32_e32 v7, v8, v5
	v_fma_f32 v4, -v4, v7, v6
	v_div_fmas_f32 v4, v4, v5, v7
	v_div_fixup_f32 v1, v4, v0, v1
	global_store_dword v[2:3], v1, off
	v_add_co_u32_e32 v2, vcc, 4, v2
	v_addc_co_u32_e32 v3, vcc, 0, v3, vcc
	s_cbranch_scc1 .LBB320_33
.LBB320_34:
	s_endpgm
	.section	.rodata,"a",@progbits
	.p2align	6, 0x0
	.amdhsa_kernel _ZN4vllm3moe10topkGatingILi8ELi32ELi4ELi16ELi64Ei14__hip_bfloat16LNS0_11ScoringFuncE1EEEvPKT5_PKbPfiPT4_PiiiibPKf
		.amdhsa_group_segment_fixed_size 0
		.amdhsa_private_segment_fixed_size 0
		.amdhsa_kernarg_size 72
		.amdhsa_user_sgpr_count 6
		.amdhsa_user_sgpr_private_segment_buffer 1
		.amdhsa_user_sgpr_dispatch_ptr 0
		.amdhsa_user_sgpr_queue_ptr 0
		.amdhsa_user_sgpr_kernarg_segment_ptr 1
		.amdhsa_user_sgpr_dispatch_id 0
		.amdhsa_user_sgpr_flat_scratch_init 0
		.amdhsa_user_sgpr_kernarg_preload_length 0
		.amdhsa_user_sgpr_kernarg_preload_offset 0
		.amdhsa_user_sgpr_private_segment_size 0
		.amdhsa_uses_dynamic_stack 0
		.amdhsa_system_sgpr_private_segment_wavefront_offset 0
		.amdhsa_system_sgpr_workgroup_id_x 1
		.amdhsa_system_sgpr_workgroup_id_y 0
		.amdhsa_system_sgpr_workgroup_id_z 0
		.amdhsa_system_sgpr_workgroup_info 0
		.amdhsa_system_vgpr_workitem_id 1
		.amdhsa_next_free_vgpr 34
		.amdhsa_next_free_sgpr 26
		.amdhsa_accum_offset 36
		.amdhsa_reserve_vcc 1
		.amdhsa_reserve_flat_scratch 0
		.amdhsa_float_round_mode_32 0
		.amdhsa_float_round_mode_16_64 0
		.amdhsa_float_denorm_mode_32 3
		.amdhsa_float_denorm_mode_16_64 3
		.amdhsa_dx10_clamp 1
		.amdhsa_ieee_mode 1
		.amdhsa_fp16_overflow 0
		.amdhsa_tg_split 0
		.amdhsa_exception_fp_ieee_invalid_op 0
		.amdhsa_exception_fp_denorm_src 0
		.amdhsa_exception_fp_ieee_div_zero 0
		.amdhsa_exception_fp_ieee_overflow 0
		.amdhsa_exception_fp_ieee_underflow 0
		.amdhsa_exception_fp_ieee_inexact 0
		.amdhsa_exception_int_div_zero 0
	.end_amdhsa_kernel
	.section	.text._ZN4vllm3moe10topkGatingILi8ELi32ELi4ELi16ELi64Ei14__hip_bfloat16LNS0_11ScoringFuncE1EEEvPKT5_PKbPfiPT4_PiiiibPKf,"axG",@progbits,_ZN4vllm3moe10topkGatingILi8ELi32ELi4ELi16ELi64Ei14__hip_bfloat16LNS0_11ScoringFuncE1EEEvPKT5_PKbPfiPT4_PiiiibPKf,comdat
.Lfunc_end320:
	.size	_ZN4vllm3moe10topkGatingILi8ELi32ELi4ELi16ELi64Ei14__hip_bfloat16LNS0_11ScoringFuncE1EEEvPKT5_PKbPfiPT4_PiiiibPKf, .Lfunc_end320-_ZN4vllm3moe10topkGatingILi8ELi32ELi4ELi16ELi64Ei14__hip_bfloat16LNS0_11ScoringFuncE1EEEvPKT5_PKbPfiPT4_PiiiibPKf
                                        ; -- End function
	.section	.AMDGPU.csdata,"",@progbits
; Kernel info:
; codeLenInByte = 2716
; NumSgprs: 30
; NumVgprs: 34
; NumAgprs: 0
; TotalNumVgprs: 34
; ScratchSize: 0
; MemoryBound: 0
; FloatMode: 240
; IeeeMode: 1
; LDSByteSize: 0 bytes/workgroup (compile time only)
; SGPRBlocks: 3
; VGPRBlocks: 4
; NumSGPRsForWavesPerEU: 30
; NumVGPRsForWavesPerEU: 34
; AccumOffset: 36
; Occupancy: 8
; WaveLimiterHint : 0
; COMPUTE_PGM_RSRC2:SCRATCH_EN: 0
; COMPUTE_PGM_RSRC2:USER_SGPR: 6
; COMPUTE_PGM_RSRC2:TRAP_HANDLER: 0
; COMPUTE_PGM_RSRC2:TGID_X_EN: 1
; COMPUTE_PGM_RSRC2:TGID_Y_EN: 0
; COMPUTE_PGM_RSRC2:TGID_Z_EN: 0
; COMPUTE_PGM_RSRC2:TIDIG_COMP_CNT: 1
; COMPUTE_PGM_RSRC3_GFX90A:ACCUM_OFFSET: 8
; COMPUTE_PGM_RSRC3_GFX90A:TG_SPLIT: 0
	.section	.text._ZN4vllm3moe10topkGatingILi8ELi32ELi4ELi16ELi32Ei14__hip_bfloat16LNS0_11ScoringFuncE1EEEvPKT5_PKbPfiPT4_PiiiibPKf,"axG",@progbits,_ZN4vllm3moe10topkGatingILi8ELi32ELi4ELi16ELi32Ei14__hip_bfloat16LNS0_11ScoringFuncE1EEEvPKT5_PKbPfiPT4_PiiiibPKf,comdat
	.protected	_ZN4vllm3moe10topkGatingILi8ELi32ELi4ELi16ELi32Ei14__hip_bfloat16LNS0_11ScoringFuncE1EEEvPKT5_PKbPfiPT4_PiiiibPKf ; -- Begin function _ZN4vllm3moe10topkGatingILi8ELi32ELi4ELi16ELi32Ei14__hip_bfloat16LNS0_11ScoringFuncE1EEEvPKT5_PKbPfiPT4_PiiiibPKf
	.globl	_ZN4vllm3moe10topkGatingILi8ELi32ELi4ELi16ELi32Ei14__hip_bfloat16LNS0_11ScoringFuncE1EEEvPKT5_PKbPfiPT4_PiiiibPKf
	.p2align	8
	.type	_ZN4vllm3moe10topkGatingILi8ELi32ELi4ELi16ELi32Ei14__hip_bfloat16LNS0_11ScoringFuncE1EEEvPKT5_PKbPfiPT4_PiiiibPKf,@function
_ZN4vllm3moe10topkGatingILi8ELi32ELi4ELi16ELi32Ei14__hip_bfloat16LNS0_11ScoringFuncE1EEEvPKT5_PKbPfiPT4_PiiiibPKf: ; @_ZN4vllm3moe10topkGatingILi8ELi32ELi4ELi16ELi32Ei14__hip_bfloat16LNS0_11ScoringFuncE1EEEvPKT5_PKbPfiPT4_PiiiibPKf
; %bb.0:
	s_load_dword s24, s[4:5], 0x18
	v_bfe_u32 v1, v0, 10, 10
	v_and_b32_e32 v0, 0x3ff, v0
	s_lshl_b32 s0, s6, 5
	v_lshlrev_b32_e32 v1, 3, v1
	v_lshrrev_b32_e32 v2, 2, v0
	v_add3_u32 v16, s0, v1, v2
	s_waitcnt lgkmcnt(0)
	v_cmp_gt_i32_e32 vcc, s24, v16
	s_and_saveexec_b64 s[0:1], vcc
	s_cbranch_execz .LBB321_34
; %bb.1:
	s_load_dwordx4 s[0:3], s[4:5], 0x0
	s_load_dwordx2 s[16:17], s[4:5], 0x10
	s_mov_b64 s[8:9], -1
	s_mov_b64 s[18:19], -1
	s_waitcnt lgkmcnt(0)
	s_cmp_eq_u64 s[2:3], 0
	s_cbranch_scc1 .LBB321_3
; %bb.2:
	v_ashrrev_i32_e32 v1, 31, v16
	v_mov_b32_e32 v3, s3
	v_add_co_u32_e32 v2, vcc, s2, v16
	v_addc_co_u32_e32 v3, vcc, v3, v1, vcc
	global_load_ubyte v1, v[2:3], off
	s_waitcnt vmcnt(0)
	v_and_b32_e32 v1, 1, v1
	v_cmp_eq_u32_e32 vcc, 1, v1
	s_xor_b64 s[2:3], vcc, -1
	s_orn2_b64 s[18:19], s[2:3], exec
.LBB321_3:
	v_lshlrev_b32_e32 v2, 5, v16
	v_ashrrev_i32_e32 v3, 31, v2
	v_lshlrev_b64 v[2:3], 1, v[2:3]
	v_mov_b32_e32 v1, s1
	v_add_co_u32_e32 v2, vcc, s0, v2
	v_and_b32_e32 v17, 3, v0
	v_addc_co_u32_e32 v1, vcc, v1, v3, vcc
	v_lshlrev_b32_e32 v0, 4, v17
	v_add_co_u32_e32 v0, vcc, v2, v0
	v_addc_co_u32_e32 v1, vcc, 0, v1, vcc
	global_load_dwordx4 v[0:3], v[0:1], off
	v_mov_b32_e32 v8, 0x207
	s_load_dwordx2 s[10:11], s[4:5], 0x40
	v_lshlrev_b32_e32 v18, 3, v17
	s_waitcnt lgkmcnt(0)
	s_cmp_eq_u64 s[10:11], 0
	s_waitcnt vmcnt(0)
	v_lshlrev_b32_e32 v4, 16, v0
	v_and_b32_e32 v0, 0xffff0000, v0
	v_lshlrev_b32_e32 v5, 16, v1
	v_and_b32_e32 v1, 0xffff0000, v1
	v_mul_f32_e32 v4, 0xbfb8aa3b, v4
	v_mul_f32_e32 v9, 0xbfb8aa3b, v0
	;; [unrolled: 1-line block ×3, first 2 shown]
	v_exp_f32_e32 v0, v4
	v_exp_f32_e32 v1, v9
	v_lshlrev_b32_e32 v6, 16, v2
	v_and_b32_e32 v2, 0xffff0000, v2
	v_lshlrev_b32_e32 v7, 16, v3
	v_and_b32_e32 v3, 0xffff0000, v3
	v_mul_f32_e32 v5, 0xbfb8aa3b, v5
	v_mul_f32_e32 v11, 0xbfb8aa3b, v2
	;; [unrolled: 1-line block ×3, first 2 shown]
	v_exp_f32_e32 v2, v5
	v_exp_f32_e32 v3, v10
	v_pk_add_f32 v[0:1], v[0:1], 1.0 op_sel_hi:[1,0]
	v_div_scale_f32 v9, s[0:1], v1, v1, 1.0
	v_rcp_f32_e32 v21, v9
	v_exp_f32_e32 v5, v11
	v_div_scale_f32 v11, s[0:1], v0, v0, 1.0
	v_pk_add_f32 v[2:3], v[2:3], 1.0 op_sel_hi:[1,0]
	v_rcp_f32_e32 v22, v11
	v_div_scale_f32 v13, s[2:3], v3, v3, 1.0
	v_rcp_f32_e32 v23, v13
	v_fma_f32 v26, -v9, v21, 1.0
	v_div_scale_f32 v10, vcc, 1.0, v1, 1.0
	v_div_scale_f32 v15, s[6:7], v2, v2, 1.0
	v_fmac_f32_e32 v21, v26, v21
	v_mul_f32_e32 v6, 0xbfb8aa3b, v6
	v_mul_f32_e32 v7, 0xbfb8aa3b, v7
	v_rcp_f32_e32 v24, v15
	v_fma_f32 v27, -v11, v22, 1.0
	v_mul_f32_e32 v26, v10, v21
	v_exp_f32_e32 v4, v6
	v_exp_f32_e32 v6, v7
	;; [unrolled: 1-line block ×3, first 2 shown]
	v_div_scale_f32 v12, s[0:1], 1.0, v0, 1.0
	v_fmac_f32_e32 v22, v27, v22
	v_fma_f32 v30, -v9, v26, v10
	v_fma_f32 v28, -v13, v23, 1.0
	v_mul_f32_e32 v27, v12, v22
	v_fmac_f32_e32 v26, v30, v21
	v_div_scale_f32 v14, s[2:3], 1.0, v3, 1.0
	v_fmac_f32_e32 v23, v28, v23
	v_fma_f32 v31, -v11, v27, v12
	v_fma_f32 v9, -v9, v26, v10
	v_fma_f32 v29, -v15, v24, 1.0
	v_mul_f32_e32 v28, v14, v23
	v_fmac_f32_e32 v27, v31, v22
	v_div_fmas_f32 v9, v9, v21, v26
	v_div_scale_f32 v19, s[6:7], 1.0, v2, 1.0
	v_fmac_f32_e32 v24, v29, v24
	v_fma_f32 v32, -v13, v28, v14
	v_fma_f32 v10, -v11, v27, v12
	v_div_fixup_f32 v1, v9, v1, 1.0
	s_mov_b64 vcc, s[0:1]
	v_pk_add_f32 v[4:5], v[4:5], 1.0 op_sel_hi:[1,0]
	v_mul_f32_e32 v29, v19, v24
	v_fmac_f32_e32 v28, v32, v23
	v_div_fmas_f32 v9, v10, v22, v27
	v_cmp_class_f32_e32 vcc, v1, v8
	v_div_scale_f32 v20, s[12:13], v5, v5, 1.0
	v_fma_f32 v33, -v15, v29, v19
	v_fma_f32 v11, -v13, v28, v14
	v_div_fixup_f32 v0, v9, v0, 1.0
	v_cndmask_b32_e64 v1, v1, 0, vcc
	s_mov_b64 vcc, s[2:3]
	v_rcp_f32_e32 v25, v20
	v_fmac_f32_e32 v29, v33, v24
	v_div_fmas_f32 v9, v11, v23, v28
	v_cmp_class_f32_e32 vcc, v0, v8
	v_fma_f32 v12, -v15, v29, v19
	v_cndmask_b32_e64 v0, v0, 0, vcc
	s_mov_b64 vcc, s[6:7]
	v_div_fixup_f32 v3, v9, v3, 1.0
	v_div_fmas_f32 v9, v12, v24, v29
	v_div_fixup_f32 v2, v9, v2, 1.0
	v_cmp_class_f32_e32 vcc, v3, v8
	v_cndmask_b32_e64 v3, v3, 0, vcc
	v_cmp_class_f32_e32 vcc, v2, v8
	v_fma_f32 v9, -v20, v25, 1.0
	v_cndmask_b32_e64 v2, v2, 0, vcc
	v_fmac_f32_e32 v25, v9, v25
	v_div_scale_f32 v9, vcc, 1.0, v5, 1.0
	v_mul_f32_e32 v10, v9, v25
	v_fma_f32 v11, -v20, v10, v9
	v_fmac_f32_e32 v10, v11, v25
	v_div_scale_f32 v11, s[0:1], v4, v4, 1.0
	v_rcp_f32_e32 v12, v11
	v_fma_f32 v9, -v20, v10, v9
	v_div_fmas_f32 v9, v9, v25, v10
	v_div_fixup_f32 v5, v9, v5, 1.0
	v_fma_f32 v9, -v11, v12, 1.0
	v_fmac_f32_e32 v12, v9, v12
	v_div_scale_f32 v9, vcc, 1.0, v4, 1.0
	v_mul_f32_e32 v10, v9, v12
	v_fma_f32 v13, -v11, v10, v9
	v_fmac_f32_e32 v10, v13, v12
	v_fma_f32 v9, -v11, v10, v9
	v_div_fmas_f32 v9, v9, v12, v10
	v_pk_add_f32 v[6:7], v[6:7], 1.0 op_sel_hi:[1,0]
	v_div_fixup_f32 v4, v9, v4, 1.0
	v_div_scale_f32 v9, s[0:1], v7, v7, 1.0
	v_rcp_f32_e32 v10, v9
	v_cmp_class_f32_e32 vcc, v5, v8
	v_cndmask_b32_e64 v5, v5, 0, vcc
	v_cmp_class_f32_e32 vcc, v4, v8
	v_fma_f32 v11, -v9, v10, 1.0
	v_cndmask_b32_e64 v4, v4, 0, vcc
	v_fmac_f32_e32 v10, v11, v10
	v_div_scale_f32 v11, vcc, 1.0, v7, 1.0
	v_mul_f32_e32 v12, v11, v10
	v_fma_f32 v13, -v9, v12, v11
	v_fmac_f32_e32 v12, v13, v10
	v_fma_f32 v9, -v9, v12, v11
	v_div_scale_f32 v11, s[0:1], v6, v6, 1.0
	v_rcp_f32_e32 v13, v11
	v_div_fmas_f32 v9, v9, v10, v12
	v_div_fixup_f32 v7, v9, v7, 1.0
	v_fma_f32 v9, -v11, v13, 1.0
	v_fmac_f32_e32 v13, v9, v13
	v_div_scale_f32 v9, vcc, 1.0, v6, 1.0
	v_mul_f32_e32 v10, v9, v13
	v_fma_f32 v12, -v11, v10, v9
	v_fmac_f32_e32 v10, v12, v13
	v_fma_f32 v9, -v11, v10, v9
	v_div_fmas_f32 v9, v9, v13, v10
	v_div_fixup_f32 v6, v9, v6, 1.0
	v_cmp_class_f32_e32 vcc, v7, v8
	v_cndmask_b32_e64 v7, v7, 0, vcc
	v_cmp_class_f32_e32 vcc, v6, v8
	v_cndmask_b32_e64 v6, v6, 0, vcc
	s_cbranch_scc1 .LBB321_23
; %bb.4:
	v_lshlrev_b32_e32 v19, 2, v18
	global_load_dwordx4 v[8:11], v19, s[10:11]
	global_load_dwordx4 v[12:15], v19, s[10:11] offset:16
	s_waitcnt vmcnt(1)
	v_pk_add_f32 v[8:9], v[8:9], v[0:1]
	v_pk_add_f32 v[10:11], v[10:11], v[2:3]
	s_waitcnt vmcnt(0)
	v_pk_add_f32 v[12:13], v[12:13], v[4:5]
	v_pk_add_f32 v[14:15], v[14:15], v[6:7]
	s_cbranch_execnz .LBB321_6
.LBB321_5:
	v_pk_mov_b32 v[14:15], v[6:7], v[6:7] op_sel:[0,1]
	v_pk_mov_b32 v[12:13], v[4:5], v[4:5] op_sel:[0,1]
	;; [unrolled: 1-line block ×4, first 2 shown]
.LBB321_6:
	s_load_dwordx4 s[8:11], s[4:5], 0x30
	s_mov_b32 s25, 0
	v_cmp_eq_u32_e64 s[0:1], 0, v17
	s_waitcnt lgkmcnt(0)
	s_bitcmp1_b32 s11, 0
	s_cselect_b64 vcc, -1, 0
	s_cmp_gt_i32 s8, 0
	s_cselect_b64 s[6:7], -1, 0
	s_cmp_lt_i32 s8, 1
	s_cbranch_scc1 .LBB321_24
; %bb.7:
	v_mbcnt_lo_u32_b32 v19, -1, 0
	v_mbcnt_hi_u32_b32 v19, -1, v19
	v_and_b32_e32 v20, 0x7c, v19
	s_load_dwordx4 s[12:15], s[4:5], 0x20
	v_add_u32_e32 v22, 4, v20
	v_xor_b32_e32 v21, 2, v19
	v_cmp_lt_i32_e64 s[2:3], v21, v22
	v_xor_b32_e32 v23, 1, v19
	v_cndmask_b32_e64 v21, v19, v21, s[2:3]
	v_cmp_lt_i32_e64 s[2:3], v23, v22
	v_cndmask_b32_e64 v19, v19, v23, s[2:3]
	v_mul_lo_u32 v20, v16, s8
	v_lshlrev_b32_e32 v21, 2, v21
	v_lshlrev_b32_e32 v22, 2, v19
	v_mov_b32_e32 v19, 0
	v_mov_b32_e32 v23, 0xc61c4000
	;; [unrolled: 1-line block ×3, first 2 shown]
	s_branch .LBB321_10
.LBB321_8:                              ;   in Loop: Header=BB321_10 Depth=1
	s_or_b64 exec, exec, s[4:5]
.LBB321_9:                              ;   in Loop: Header=BB321_10 Depth=1
	s_cmp_eq_u32 s8, s25
	v_add_u32_e32 v24, s24, v24
	s_cbranch_scc1 .LBB321_25
.LBB321_10:                             ; =>This Inner Loop Header: Depth=1
	v_cmp_gt_f32_e64 s[2:3], v9, v8
	v_cndmask_b32_e64 v27, v8, v9, s[2:3]
	v_cndmask_b32_e64 v25, 0, 1, s[2:3]
	v_cndmask_b32_e64 v26, v0, v1, s[2:3]
	v_cmp_gt_f32_e64 s[2:3], v10, v27
	v_cndmask_b32_e64 v27, v27, v10, s[2:3]
	v_cndmask_b32_e64 v25, v25, 2, s[2:3]
	v_cndmask_b32_e64 v26, v26, v2, s[2:3]
	;; [unrolled: 4-line block ×6, first 2 shown]
	v_cmp_gt_f32_e64 s[2:3], v15, v27
	v_cndmask_b32_e64 v25, v25, 7, s[2:3]
	v_cndmask_b32_e64 v27, v27, v15, s[2:3]
	v_or_b32_e32 v25, v18, v25
	v_cndmask_b32_e64 v26, v26, v7, s[2:3]
	s_waitcnt lgkmcnt(0)
	ds_bpermute_b32 v28, v21, v27
	ds_bpermute_b32 v30, v21, v26
	;; [unrolled: 1-line block ×3, first 2 shown]
	s_waitcnt lgkmcnt(0)
	v_cmp_lt_f32_e64 s[20:21], v27, v28
	v_cmp_nlt_f32_e64 s[2:3], v27, v28
	s_and_saveexec_b64 s[22:23], s[2:3]
; %bb.11:                               ;   in Loop: Header=BB321_10 Depth=1
	v_cmp_eq_f32_e64 s[2:3], v27, v28
	v_cmp_lt_i32_e64 s[4:5], v29, v25
	s_and_b64 s[2:3], s[2:3], s[4:5]
	s_andn2_b64 s[4:5], s[20:21], exec
	s_and_b64 s[2:3], s[2:3], exec
	s_or_b64 s[20:21], s[4:5], s[2:3]
; %bb.12:                               ;   in Loop: Header=BB321_10 Depth=1
	s_or_b64 exec, exec, s[22:23]
	s_and_saveexec_b64 s[2:3], s[20:21]
; %bb.13:                               ;   in Loop: Header=BB321_10 Depth=1
	v_mov_b32_e32 v26, v30
	v_mov_b32_e32 v27, v28
	;; [unrolled: 1-line block ×3, first 2 shown]
; %bb.14:                               ;   in Loop: Header=BB321_10 Depth=1
	s_or_b64 exec, exec, s[2:3]
	ds_bpermute_b32 v30, v22, v27
	ds_bpermute_b32 v28, v22, v26
	;; [unrolled: 1-line block ×3, first 2 shown]
	s_waitcnt lgkmcnt(2)
	v_cmp_lt_f32_e64 s[20:21], v27, v30
	v_cmp_nlt_f32_e64 s[2:3], v27, v30
	s_and_saveexec_b64 s[22:23], s[2:3]
	s_cbranch_execnz .LBB321_18
; %bb.15:                               ;   in Loop: Header=BB321_10 Depth=1
	s_or_b64 exec, exec, s[22:23]
	s_and_saveexec_b64 s[2:3], s[20:21]
	s_cbranch_execnz .LBB321_19
.LBB321_16:                             ;   in Loop: Header=BB321_10 Depth=1
	s_or_b64 exec, exec, s[2:3]
	s_and_saveexec_b64 s[20:21], s[0:1]
	s_cbranch_execnz .LBB321_20
.LBB321_17:                             ;   in Loop: Header=BB321_10 Depth=1
	s_or_b64 exec, exec, s[20:21]
	s_add_i32 s25, s25, 1
	s_cmp_ge_i32 s25, s8
	s_cbranch_scc1 .LBB321_9
	s_branch .LBB321_21
.LBB321_18:                             ;   in Loop: Header=BB321_10 Depth=1
	v_cmp_eq_f32_e64 s[2:3], v27, v30
	s_waitcnt lgkmcnt(0)
	v_cmp_lt_i32_e64 s[4:5], v29, v25
	s_and_b64 s[2:3], s[2:3], s[4:5]
	s_andn2_b64 s[4:5], s[20:21], exec
	s_and_b64 s[2:3], s[2:3], exec
	s_or_b64 s[20:21], s[4:5], s[2:3]
	s_or_b64 exec, exec, s[22:23]
	s_and_saveexec_b64 s[2:3], s[20:21]
	s_cbranch_execz .LBB321_16
.LBB321_19:                             ;   in Loop: Header=BB321_10 Depth=1
	s_waitcnt lgkmcnt(0)
	v_mov_b32_e32 v25, v29
	v_mov_b32_e32 v26, v28
	s_or_b64 exec, exec, s[2:3]
	s_and_saveexec_b64 s[20:21], s[0:1]
	s_cbranch_execz .LBB321_17
.LBB321_20:                             ;   in Loop: Header=BB321_10 Depth=1
	s_waitcnt lgkmcnt(1)
	v_add_u32_e32 v28, s25, v20
	s_waitcnt lgkmcnt(0)
	v_ashrrev_i32_e32 v29, 31, v28
	v_cmp_le_i32_e64 s[2:3], s9, v25
	v_cmp_gt_i32_e64 s[4:5], s10, v25
	v_lshlrev_b64 v[28:29], 2, v[28:29]
	s_and_b64 s[4:5], s[2:3], s[4:5]
	v_mov_b32_e32 v27, s17
	v_add_co_u32_e64 v30, s[2:3], s16, v28
	v_addc_co_u32_e64 v31, s[2:3], v27, v29, s[2:3]
	v_subrev_u32_e32 v27, s9, v25
	s_and_b64 s[2:3], s[18:19], s[4:5]
	global_store_dword v[30:31], v26, off
	v_cndmask_b32_e64 v27, 32, v27, s[2:3]
	v_mov_b32_e32 v31, s13
	v_add_co_u32_e64 v30, s[2:3], s12, v28
	v_addc_co_u32_e64 v31, s[2:3], v31, v29, s[2:3]
	global_store_dword v[30:31], v27, off
	v_mov_b32_e32 v27, s15
	v_add_co_u32_e64 v28, s[2:3], s14, v28
	v_add_f32_e32 v26, v19, v26
	v_addc_co_u32_e64 v29, s[2:3], v27, v29, s[2:3]
	v_cndmask_b32_e32 v19, v19, v26, vcc
	global_store_dword v[28:29], v24, off
	s_or_b64 exec, exec, s[20:21]
	s_add_i32 s25, s25, 1
	s_cmp_ge_i32 s25, s8
	s_cbranch_scc1 .LBB321_9
.LBB321_21:                             ;   in Loop: Header=BB321_10 Depth=1
	v_ashrrev_i32_e32 v27, 31, v25
	v_lshrrev_b32_e32 v26, 29, v27
	v_add_u32_e32 v26, v25, v26
	v_ashrrev_i32_e32 v26, 3, v26
	s_waitcnt lgkmcnt(1)
	v_lshrrev_b32_e32 v28, 30, v26
	v_add_u32_e32 v28, v26, v28
	v_and_b32_e32 v28, -4, v28
	v_sub_u32_e32 v28, v26, v28
	v_cmp_eq_u32_e64 s[2:3], v17, v28
	s_and_saveexec_b64 s[4:5], s[2:3]
	s_cbranch_execz .LBB321_8
; %bb.22:                               ;   in Loop: Header=BB321_10 Depth=1
	v_lshrrev_b32_e32 v27, 27, v27
	v_add_u32_e32 v27, v25, v27
	v_lshlrev_b32_e32 v26, 3, v26
	v_ashrrev_i32_e32 v27, 5, v27
	v_sub_u32_e32 v25, v25, v26
	v_lshl_add_u32 v25, v27, 3, v25
	v_cmp_ne_u32_e64 s[2:3], 7, v25
	v_cndmask_b32_e64 v15, v23, v15, s[2:3]
	v_cmp_ne_u32_e64 s[2:3], 6, v25
	v_cndmask_b32_e64 v14, v23, v14, s[2:3]
	;; [unrolled: 2-line block ×8, first 2 shown]
	s_branch .LBB321_8
.LBB321_23:
                                        ; implicit-def: $vgpr8_vgpr9_vgpr10_vgpr11_vgpr12_vgpr13_vgpr14_vgpr15
	s_andn2_b64 vcc, exec, s[8:9]
	s_cbranch_vccz .LBB321_5
	s_branch .LBB321_6
.LBB321_24:
	v_mov_b32_e32 v19, 0
.LBB321_25:
	v_cmp_eq_u32_e64 s[0:1], 0, v17
	s_and_b64 s[0:1], s[0:1], vcc
	s_and_b64 exec, exec, s[0:1]
	s_cbranch_execz .LBB321_34
; %bb.26:
	s_andn2_b64 vcc, exec, s[6:7]
	s_cbranch_vccnz .LBB321_34
; %bb.27:
	v_cmp_lt_f32_e32 vcc, 0, v19
	s_mov_b32 s2, 0
	v_cndmask_b32_e32 v0, 1.0, v19, vcc
	v_mul_lo_u32 v4, v16, s8
	s_cmp_eq_u32 s8, 1
	s_mov_b64 s[0:1], -1
	s_cbranch_scc1 .LBB321_31
; %bb.28:
	s_and_b32 s2, s8, 0x7ffffffe
	v_mov_b32_e32 v1, v0
	v_mov_b32_e32 v5, s17
	s_mov_b32 s3, s2
	v_mov_b32_e32 v2, v4
.LBB321_29:                             ; =>This Inner Loop Header: Depth=1
	v_ashrrev_i32_e32 v3, 31, v2
	v_lshlrev_b64 v[6:7], 2, v[2:3]
	v_add_co_u32_e32 v6, vcc, s16, v6
	v_addc_co_u32_e32 v7, vcc, v5, v7, vcc
	global_load_dwordx2 v[8:9], v[6:7], off
	s_add_i32 s3, s3, -2
	s_cmp_lg_u32 s3, 0
	v_add_u32_e32 v2, 2, v2
	s_waitcnt vmcnt(0)
	v_div_scale_f32 v3, s[0:1], v1, v1, v9
	v_div_scale_f32 v11, s[0:1], v0, v0, v8
	v_rcp_f32_e32 v12, v3
	v_rcp_f32_e32 v13, v11
	v_div_scale_f32 v10, vcc, v9, v1, v9
	v_fma_f32 v15, -v3, v12, 1.0
	v_fma_f32 v16, -v11, v13, 1.0
	v_fmac_f32_e32 v12, v15, v12
	v_div_scale_f32 v14, s[0:1], v8, v0, v8
	v_fmac_f32_e32 v13, v16, v13
	v_mul_f32_e32 v15, v10, v12
	v_mul_f32_e32 v16, v14, v13
	v_fma_f32 v17, -v3, v15, v10
	v_fma_f32 v18, -v11, v16, v14
	v_fmac_f32_e32 v15, v17, v12
	v_fmac_f32_e32 v16, v18, v13
	v_fma_f32 v3, -v3, v15, v10
	v_fma_f32 v10, -v11, v16, v14
	v_div_fmas_f32 v3, v3, v12, v15
	s_mov_b64 vcc, s[0:1]
	v_div_fixup_f32 v9, v3, v1, v9
	v_div_fmas_f32 v3, v10, v13, v16
	v_div_fixup_f32 v8, v3, v0, v8
	global_store_dwordx2 v[6:7], v[8:9], off
	s_cbranch_scc1 .LBB321_29
; %bb.30:
	s_cmp_lg_u32 s2, s8
	s_cselect_b64 s[0:1], -1, 0
.LBB321_31:
	s_and_b64 vcc, exec, s[0:1]
	s_cbranch_vccz .LBB321_34
; %bb.32:
	v_ashrrev_i32_e32 v1, 31, v4
	v_add_co_u32_e32 v2, vcc, s2, v4
	v_addc_co_u32_e32 v3, vcc, 0, v1, vcc
	v_lshlrev_b64 v[2:3], 2, v[2:3]
	v_mov_b32_e32 v1, s17
	v_add_co_u32_e32 v2, vcc, s16, v2
	s_sub_i32 s0, s8, s2
	v_addc_co_u32_e32 v3, vcc, v1, v3, vcc
.LBB321_33:                             ; =>This Inner Loop Header: Depth=1
	global_load_dword v1, v[2:3], off
	s_add_i32 s0, s0, -1
	s_cmp_lg_u32 s0, 0
	s_waitcnt vmcnt(0)
	v_div_scale_f32 v4, s[2:3], v0, v0, v1
	v_rcp_f32_e32 v5, v4
	v_div_scale_f32 v6, vcc, v1, v0, v1
	v_fma_f32 v7, -v4, v5, 1.0
	v_fmac_f32_e32 v5, v7, v5
	v_mul_f32_e32 v7, v6, v5
	v_fma_f32 v8, -v4, v7, v6
	v_fmac_f32_e32 v7, v8, v5
	v_fma_f32 v4, -v4, v7, v6
	v_div_fmas_f32 v4, v4, v5, v7
	v_div_fixup_f32 v1, v4, v0, v1
	global_store_dword v[2:3], v1, off
	v_add_co_u32_e32 v2, vcc, 4, v2
	v_addc_co_u32_e32 v3, vcc, 0, v3, vcc
	s_cbranch_scc1 .LBB321_33
.LBB321_34:
	s_endpgm
	.section	.rodata,"a",@progbits
	.p2align	6, 0x0
	.amdhsa_kernel _ZN4vllm3moe10topkGatingILi8ELi32ELi4ELi16ELi32Ei14__hip_bfloat16LNS0_11ScoringFuncE1EEEvPKT5_PKbPfiPT4_PiiiibPKf
		.amdhsa_group_segment_fixed_size 0
		.amdhsa_private_segment_fixed_size 0
		.amdhsa_kernarg_size 72
		.amdhsa_user_sgpr_count 6
		.amdhsa_user_sgpr_private_segment_buffer 1
		.amdhsa_user_sgpr_dispatch_ptr 0
		.amdhsa_user_sgpr_queue_ptr 0
		.amdhsa_user_sgpr_kernarg_segment_ptr 1
		.amdhsa_user_sgpr_dispatch_id 0
		.amdhsa_user_sgpr_flat_scratch_init 0
		.amdhsa_user_sgpr_kernarg_preload_length 0
		.amdhsa_user_sgpr_kernarg_preload_offset 0
		.amdhsa_user_sgpr_private_segment_size 0
		.amdhsa_uses_dynamic_stack 0
		.amdhsa_system_sgpr_private_segment_wavefront_offset 0
		.amdhsa_system_sgpr_workgroup_id_x 1
		.amdhsa_system_sgpr_workgroup_id_y 0
		.amdhsa_system_sgpr_workgroup_id_z 0
		.amdhsa_system_sgpr_workgroup_info 0
		.amdhsa_system_vgpr_workitem_id 1
		.amdhsa_next_free_vgpr 34
		.amdhsa_next_free_sgpr 26
		.amdhsa_accum_offset 36
		.amdhsa_reserve_vcc 1
		.amdhsa_reserve_flat_scratch 0
		.amdhsa_float_round_mode_32 0
		.amdhsa_float_round_mode_16_64 0
		.amdhsa_float_denorm_mode_32 3
		.amdhsa_float_denorm_mode_16_64 3
		.amdhsa_dx10_clamp 1
		.amdhsa_ieee_mode 1
		.amdhsa_fp16_overflow 0
		.amdhsa_tg_split 0
		.amdhsa_exception_fp_ieee_invalid_op 0
		.amdhsa_exception_fp_denorm_src 0
		.amdhsa_exception_fp_ieee_div_zero 0
		.amdhsa_exception_fp_ieee_overflow 0
		.amdhsa_exception_fp_ieee_underflow 0
		.amdhsa_exception_fp_ieee_inexact 0
		.amdhsa_exception_int_div_zero 0
	.end_amdhsa_kernel
	.section	.text._ZN4vllm3moe10topkGatingILi8ELi32ELi4ELi16ELi32Ei14__hip_bfloat16LNS0_11ScoringFuncE1EEEvPKT5_PKbPfiPT4_PiiiibPKf,"axG",@progbits,_ZN4vllm3moe10topkGatingILi8ELi32ELi4ELi16ELi32Ei14__hip_bfloat16LNS0_11ScoringFuncE1EEEvPKT5_PKbPfiPT4_PiiiibPKf,comdat
.Lfunc_end321:
	.size	_ZN4vllm3moe10topkGatingILi8ELi32ELi4ELi16ELi32Ei14__hip_bfloat16LNS0_11ScoringFuncE1EEEvPKT5_PKbPfiPT4_PiiiibPKf, .Lfunc_end321-_ZN4vllm3moe10topkGatingILi8ELi32ELi4ELi16ELi32Ei14__hip_bfloat16LNS0_11ScoringFuncE1EEEvPKT5_PKbPfiPT4_PiiiibPKf
                                        ; -- End function
	.section	.AMDGPU.csdata,"",@progbits
; Kernel info:
; codeLenInByte = 2716
; NumSgprs: 30
; NumVgprs: 34
; NumAgprs: 0
; TotalNumVgprs: 34
; ScratchSize: 0
; MemoryBound: 0
; FloatMode: 240
; IeeeMode: 1
; LDSByteSize: 0 bytes/workgroup (compile time only)
; SGPRBlocks: 3
; VGPRBlocks: 4
; NumSGPRsForWavesPerEU: 30
; NumVGPRsForWavesPerEU: 34
; AccumOffset: 36
; Occupancy: 8
; WaveLimiterHint : 0
; COMPUTE_PGM_RSRC2:SCRATCH_EN: 0
; COMPUTE_PGM_RSRC2:USER_SGPR: 6
; COMPUTE_PGM_RSRC2:TRAP_HANDLER: 0
; COMPUTE_PGM_RSRC2:TGID_X_EN: 1
; COMPUTE_PGM_RSRC2:TGID_Y_EN: 0
; COMPUTE_PGM_RSRC2:TGID_Z_EN: 0
; COMPUTE_PGM_RSRC2:TIDIG_COMP_CNT: 1
; COMPUTE_PGM_RSRC3_GFX90A:ACCUM_OFFSET: 8
; COMPUTE_PGM_RSRC3_GFX90A:TG_SPLIT: 0
	.section	.text._ZN4vllm3moe10topkGatingILi8ELi64ELi4ELi16ELi64Ei14__hip_bfloat16LNS0_11ScoringFuncE1EEEvPKT5_PKbPfiPT4_PiiiibPKf,"axG",@progbits,_ZN4vllm3moe10topkGatingILi8ELi64ELi4ELi16ELi64Ei14__hip_bfloat16LNS0_11ScoringFuncE1EEEvPKT5_PKbPfiPT4_PiiiibPKf,comdat
	.protected	_ZN4vllm3moe10topkGatingILi8ELi64ELi4ELi16ELi64Ei14__hip_bfloat16LNS0_11ScoringFuncE1EEEvPKT5_PKbPfiPT4_PiiiibPKf ; -- Begin function _ZN4vllm3moe10topkGatingILi8ELi64ELi4ELi16ELi64Ei14__hip_bfloat16LNS0_11ScoringFuncE1EEEvPKT5_PKbPfiPT4_PiiiibPKf
	.globl	_ZN4vllm3moe10topkGatingILi8ELi64ELi4ELi16ELi64Ei14__hip_bfloat16LNS0_11ScoringFuncE1EEEvPKT5_PKbPfiPT4_PiiiibPKf
	.p2align	8
	.type	_ZN4vllm3moe10topkGatingILi8ELi64ELi4ELi16ELi64Ei14__hip_bfloat16LNS0_11ScoringFuncE1EEEvPKT5_PKbPfiPT4_PiiiibPKf,@function
_ZN4vllm3moe10topkGatingILi8ELi64ELi4ELi16ELi64Ei14__hip_bfloat16LNS0_11ScoringFuncE1EEEvPKT5_PKbPfiPT4_PiiiibPKf: ; @_ZN4vllm3moe10topkGatingILi8ELi64ELi4ELi16ELi64Ei14__hip_bfloat16LNS0_11ScoringFuncE1EEEvPKT5_PKbPfiPT4_PiiiibPKf
; %bb.0:
	s_load_dword s24, s[4:5], 0x18
	v_bfe_u32 v1, v0, 10, 10
	v_and_b32_e32 v0, 0x3ff, v0
	s_lshl_b32 s0, s6, 5
	v_lshlrev_b32_e32 v1, 3, v1
	v_lshrrev_b32_e32 v2, 3, v0
	v_add3_u32 v16, s0, v1, v2
	s_waitcnt lgkmcnt(0)
	v_cmp_gt_i32_e32 vcc, s24, v16
	s_and_saveexec_b64 s[0:1], vcc
	s_cbranch_execz .LBB322_38
; %bb.1:
	s_load_dwordx4 s[0:3], s[4:5], 0x0
	s_load_dwordx2 s[16:17], s[4:5], 0x10
	s_mov_b64 s[8:9], -1
	s_mov_b64 s[18:19], -1
	s_waitcnt lgkmcnt(0)
	s_cmp_eq_u64 s[2:3], 0
	s_cbranch_scc1 .LBB322_3
; %bb.2:
	v_ashrrev_i32_e32 v1, 31, v16
	v_mov_b32_e32 v3, s3
	v_add_co_u32_e32 v2, vcc, s2, v16
	v_addc_co_u32_e32 v3, vcc, v3, v1, vcc
	global_load_ubyte v1, v[2:3], off
	s_waitcnt vmcnt(0)
	v_and_b32_e32 v1, 1, v1
	v_cmp_eq_u32_e32 vcc, 1, v1
	s_xor_b64 s[2:3], vcc, -1
	s_orn2_b64 s[18:19], s[2:3], exec
.LBB322_3:
	v_lshlrev_b32_e32 v2, 6, v16
	v_ashrrev_i32_e32 v3, 31, v2
	v_lshlrev_b64 v[2:3], 1, v[2:3]
	v_mov_b32_e32 v1, s1
	v_add_co_u32_e32 v2, vcc, s0, v2
	v_and_b32_e32 v17, 7, v0
	v_addc_co_u32_e32 v1, vcc, v1, v3, vcc
	v_lshlrev_b32_e32 v0, 4, v17
	v_add_co_u32_e32 v0, vcc, v2, v0
	v_addc_co_u32_e32 v1, vcc, 0, v1, vcc
	global_load_dwordx4 v[0:3], v[0:1], off
	v_mov_b32_e32 v8, 0x207
	s_load_dwordx2 s[10:11], s[4:5], 0x40
	v_lshlrev_b32_e32 v18, 3, v17
	s_waitcnt lgkmcnt(0)
	s_cmp_eq_u64 s[10:11], 0
	s_waitcnt vmcnt(0)
	v_lshlrev_b32_e32 v4, 16, v0
	v_and_b32_e32 v0, 0xffff0000, v0
	v_lshlrev_b32_e32 v5, 16, v1
	v_and_b32_e32 v1, 0xffff0000, v1
	v_mul_f32_e32 v4, 0xbfb8aa3b, v4
	v_mul_f32_e32 v9, 0xbfb8aa3b, v0
	;; [unrolled: 1-line block ×3, first 2 shown]
	v_exp_f32_e32 v0, v4
	v_exp_f32_e32 v1, v9
	v_lshlrev_b32_e32 v6, 16, v2
	v_and_b32_e32 v2, 0xffff0000, v2
	v_lshlrev_b32_e32 v7, 16, v3
	v_and_b32_e32 v3, 0xffff0000, v3
	v_mul_f32_e32 v5, 0xbfb8aa3b, v5
	v_mul_f32_e32 v11, 0xbfb8aa3b, v2
	;; [unrolled: 1-line block ×3, first 2 shown]
	v_exp_f32_e32 v2, v5
	v_exp_f32_e32 v3, v10
	v_pk_add_f32 v[0:1], v[0:1], 1.0 op_sel_hi:[1,0]
	v_div_scale_f32 v9, s[0:1], v1, v1, 1.0
	v_rcp_f32_e32 v21, v9
	v_exp_f32_e32 v5, v11
	v_div_scale_f32 v11, s[0:1], v0, v0, 1.0
	v_pk_add_f32 v[2:3], v[2:3], 1.0 op_sel_hi:[1,0]
	v_rcp_f32_e32 v22, v11
	v_div_scale_f32 v13, s[2:3], v3, v3, 1.0
	v_rcp_f32_e32 v23, v13
	v_fma_f32 v26, -v9, v21, 1.0
	v_div_scale_f32 v10, vcc, 1.0, v1, 1.0
	v_div_scale_f32 v15, s[6:7], v2, v2, 1.0
	v_fmac_f32_e32 v21, v26, v21
	v_mul_f32_e32 v6, 0xbfb8aa3b, v6
	v_mul_f32_e32 v7, 0xbfb8aa3b, v7
	v_rcp_f32_e32 v24, v15
	v_fma_f32 v27, -v11, v22, 1.0
	v_mul_f32_e32 v26, v10, v21
	v_exp_f32_e32 v4, v6
	v_exp_f32_e32 v6, v7
	;; [unrolled: 1-line block ×3, first 2 shown]
	v_div_scale_f32 v12, s[0:1], 1.0, v0, 1.0
	v_fmac_f32_e32 v22, v27, v22
	v_fma_f32 v30, -v9, v26, v10
	v_fma_f32 v28, -v13, v23, 1.0
	v_mul_f32_e32 v27, v12, v22
	v_fmac_f32_e32 v26, v30, v21
	v_div_scale_f32 v14, s[2:3], 1.0, v3, 1.0
	v_fmac_f32_e32 v23, v28, v23
	v_fma_f32 v31, -v11, v27, v12
	v_fma_f32 v9, -v9, v26, v10
	v_fma_f32 v29, -v15, v24, 1.0
	v_mul_f32_e32 v28, v14, v23
	v_fmac_f32_e32 v27, v31, v22
	v_div_fmas_f32 v9, v9, v21, v26
	v_div_scale_f32 v19, s[6:7], 1.0, v2, 1.0
	v_fmac_f32_e32 v24, v29, v24
	v_fma_f32 v32, -v13, v28, v14
	v_fma_f32 v10, -v11, v27, v12
	v_div_fixup_f32 v1, v9, v1, 1.0
	s_mov_b64 vcc, s[0:1]
	v_pk_add_f32 v[4:5], v[4:5], 1.0 op_sel_hi:[1,0]
	v_mul_f32_e32 v29, v19, v24
	v_fmac_f32_e32 v28, v32, v23
	v_div_fmas_f32 v9, v10, v22, v27
	v_cmp_class_f32_e32 vcc, v1, v8
	v_div_scale_f32 v20, s[12:13], v5, v5, 1.0
	v_fma_f32 v33, -v15, v29, v19
	v_fma_f32 v11, -v13, v28, v14
	v_div_fixup_f32 v0, v9, v0, 1.0
	v_cndmask_b32_e64 v1, v1, 0, vcc
	s_mov_b64 vcc, s[2:3]
	v_rcp_f32_e32 v25, v20
	v_fmac_f32_e32 v29, v33, v24
	v_div_fmas_f32 v9, v11, v23, v28
	v_cmp_class_f32_e32 vcc, v0, v8
	v_fma_f32 v12, -v15, v29, v19
	v_cndmask_b32_e64 v0, v0, 0, vcc
	s_mov_b64 vcc, s[6:7]
	v_div_fixup_f32 v3, v9, v3, 1.0
	v_div_fmas_f32 v9, v12, v24, v29
	v_div_fixup_f32 v2, v9, v2, 1.0
	v_cmp_class_f32_e32 vcc, v3, v8
	v_cndmask_b32_e64 v3, v3, 0, vcc
	v_cmp_class_f32_e32 vcc, v2, v8
	v_fma_f32 v9, -v20, v25, 1.0
	v_cndmask_b32_e64 v2, v2, 0, vcc
	v_fmac_f32_e32 v25, v9, v25
	v_div_scale_f32 v9, vcc, 1.0, v5, 1.0
	v_mul_f32_e32 v10, v9, v25
	v_fma_f32 v11, -v20, v10, v9
	v_fmac_f32_e32 v10, v11, v25
	v_div_scale_f32 v11, s[0:1], v4, v4, 1.0
	v_rcp_f32_e32 v12, v11
	v_fma_f32 v9, -v20, v10, v9
	v_div_fmas_f32 v9, v9, v25, v10
	v_div_fixup_f32 v5, v9, v5, 1.0
	v_fma_f32 v9, -v11, v12, 1.0
	v_fmac_f32_e32 v12, v9, v12
	v_div_scale_f32 v9, vcc, 1.0, v4, 1.0
	v_mul_f32_e32 v10, v9, v12
	v_fma_f32 v13, -v11, v10, v9
	v_fmac_f32_e32 v10, v13, v12
	v_fma_f32 v9, -v11, v10, v9
	v_div_fmas_f32 v9, v9, v12, v10
	v_pk_add_f32 v[6:7], v[6:7], 1.0 op_sel_hi:[1,0]
	v_div_fixup_f32 v4, v9, v4, 1.0
	v_div_scale_f32 v9, s[0:1], v7, v7, 1.0
	v_rcp_f32_e32 v10, v9
	v_cmp_class_f32_e32 vcc, v5, v8
	v_cndmask_b32_e64 v5, v5, 0, vcc
	v_cmp_class_f32_e32 vcc, v4, v8
	v_fma_f32 v11, -v9, v10, 1.0
	v_cndmask_b32_e64 v4, v4, 0, vcc
	v_fmac_f32_e32 v10, v11, v10
	v_div_scale_f32 v11, vcc, 1.0, v7, 1.0
	v_mul_f32_e32 v12, v11, v10
	v_fma_f32 v13, -v9, v12, v11
	v_fmac_f32_e32 v12, v13, v10
	v_fma_f32 v9, -v9, v12, v11
	v_div_scale_f32 v11, s[0:1], v6, v6, 1.0
	v_rcp_f32_e32 v13, v11
	v_div_fmas_f32 v9, v9, v10, v12
	v_div_fixup_f32 v7, v9, v7, 1.0
	v_fma_f32 v9, -v11, v13, 1.0
	v_fmac_f32_e32 v13, v9, v13
	v_div_scale_f32 v9, vcc, 1.0, v6, 1.0
	v_mul_f32_e32 v10, v9, v13
	v_fma_f32 v12, -v11, v10, v9
	v_fmac_f32_e32 v10, v12, v13
	v_fma_f32 v9, -v11, v10, v9
	v_div_fmas_f32 v9, v9, v13, v10
	v_div_fixup_f32 v6, v9, v6, 1.0
	v_cmp_class_f32_e32 vcc, v7, v8
	v_cndmask_b32_e64 v7, v7, 0, vcc
	v_cmp_class_f32_e32 vcc, v6, v8
	v_cndmask_b32_e64 v6, v6, 0, vcc
	s_cbranch_scc1 .LBB322_27
; %bb.4:
	v_lshlrev_b32_e32 v19, 2, v18
	global_load_dwordx4 v[8:11], v19, s[10:11]
	global_load_dwordx4 v[12:15], v19, s[10:11] offset:16
	s_waitcnt vmcnt(1)
	v_pk_add_f32 v[8:9], v[8:9], v[0:1]
	v_pk_add_f32 v[10:11], v[10:11], v[2:3]
	s_waitcnt vmcnt(0)
	v_pk_add_f32 v[12:13], v[12:13], v[4:5]
	v_pk_add_f32 v[14:15], v[14:15], v[6:7]
	s_cbranch_execnz .LBB322_6
.LBB322_5:
	v_pk_mov_b32 v[14:15], v[6:7], v[6:7] op_sel:[0,1]
	v_pk_mov_b32 v[12:13], v[4:5], v[4:5] op_sel:[0,1]
	;; [unrolled: 1-line block ×4, first 2 shown]
.LBB322_6:
	s_load_dwordx4 s[8:11], s[4:5], 0x30
	s_mov_b32 s25, 0
	v_cmp_eq_u32_e64 s[0:1], 0, v17
	s_waitcnt lgkmcnt(0)
	s_bitcmp1_b32 s11, 0
	s_cselect_b64 vcc, -1, 0
	s_cmp_gt_i32 s8, 0
	s_cselect_b64 s[6:7], -1, 0
	s_cmp_lt_i32 s8, 1
	s_cbranch_scc1 .LBB322_28
; %bb.7:
	v_mbcnt_lo_u32_b32 v19, -1, 0
	v_mbcnt_hi_u32_b32 v19, -1, v19
	v_and_b32_e32 v20, 0x78, v19
	v_add_u32_e32 v23, 8, v20
	v_xor_b32_e32 v21, 4, v19
	s_load_dwordx4 s[12:15], s[4:5], 0x20
	v_cmp_lt_i32_e64 s[2:3], v21, v23
	v_xor_b32_e32 v22, 2, v19
	v_cndmask_b32_e64 v21, v19, v21, s[2:3]
	v_cmp_lt_i32_e64 s[2:3], v22, v23
	v_xor_b32_e32 v24, 1, v19
	v_cndmask_b32_e64 v22, v19, v22, s[2:3]
	v_cmp_lt_i32_e64 s[2:3], v24, v23
	v_cndmask_b32_e64 v19, v19, v24, s[2:3]
	v_mul_lo_u32 v20, v16, s8
	v_lshlrev_b32_e32 v21, 2, v21
	v_lshlrev_b32_e32 v22, 2, v22
	;; [unrolled: 1-line block ×3, first 2 shown]
	v_mov_b32_e32 v19, 0
	v_mov_b32_e32 v24, 0xc61c4000
	;; [unrolled: 1-line block ×3, first 2 shown]
	s_branch .LBB322_10
.LBB322_8:                              ;   in Loop: Header=BB322_10 Depth=1
	s_or_b64 exec, exec, s[4:5]
.LBB322_9:                              ;   in Loop: Header=BB322_10 Depth=1
	s_cmp_eq_u32 s8, s25
	v_add_u32_e32 v25, s24, v25
	s_cbranch_scc1 .LBB322_29
.LBB322_10:                             ; =>This Inner Loop Header: Depth=1
	v_cmp_gt_f32_e64 s[2:3], v9, v8
	v_cndmask_b32_e64 v28, v8, v9, s[2:3]
	v_cndmask_b32_e64 v26, 0, 1, s[2:3]
	v_cndmask_b32_e64 v27, v0, v1, s[2:3]
	v_cmp_gt_f32_e64 s[2:3], v10, v28
	v_cndmask_b32_e64 v28, v28, v10, s[2:3]
	v_cndmask_b32_e64 v26, v26, 2, s[2:3]
	v_cndmask_b32_e64 v27, v27, v2, s[2:3]
	;; [unrolled: 4-line block ×6, first 2 shown]
	v_cmp_gt_f32_e64 s[2:3], v15, v28
	v_cndmask_b32_e64 v26, v26, 7, s[2:3]
	v_cndmask_b32_e64 v28, v28, v15, s[2:3]
	v_or_b32_e32 v26, v18, v26
	v_cndmask_b32_e64 v27, v27, v7, s[2:3]
	s_waitcnt lgkmcnt(0)
	ds_bpermute_b32 v29, v21, v28
	ds_bpermute_b32 v31, v21, v27
	;; [unrolled: 1-line block ×3, first 2 shown]
	s_waitcnt lgkmcnt(0)
	v_cmp_lt_f32_e64 s[20:21], v28, v29
	v_cmp_nlt_f32_e64 s[2:3], v28, v29
	s_and_saveexec_b64 s[22:23], s[2:3]
; %bb.11:                               ;   in Loop: Header=BB322_10 Depth=1
	v_cmp_eq_f32_e64 s[2:3], v28, v29
	v_cmp_lt_i32_e64 s[4:5], v30, v26
	s_and_b64 s[2:3], s[2:3], s[4:5]
	s_andn2_b64 s[4:5], s[20:21], exec
	s_and_b64 s[2:3], s[2:3], exec
	s_or_b64 s[20:21], s[4:5], s[2:3]
; %bb.12:                               ;   in Loop: Header=BB322_10 Depth=1
	s_or_b64 exec, exec, s[22:23]
	s_and_saveexec_b64 s[2:3], s[20:21]
; %bb.13:                               ;   in Loop: Header=BB322_10 Depth=1
	v_mov_b32_e32 v27, v31
	v_mov_b32_e32 v28, v29
	;; [unrolled: 1-line block ×3, first 2 shown]
; %bb.14:                               ;   in Loop: Header=BB322_10 Depth=1
	s_or_b64 exec, exec, s[2:3]
	ds_bpermute_b32 v29, v22, v28
	ds_bpermute_b32 v31, v22, v27
	;; [unrolled: 1-line block ×3, first 2 shown]
	s_waitcnt lgkmcnt(2)
	v_cmp_lt_f32_e64 s[20:21], v28, v29
	v_cmp_nlt_f32_e64 s[2:3], v28, v29
	s_and_saveexec_b64 s[22:23], s[2:3]
	s_cbranch_execz .LBB322_16
; %bb.15:                               ;   in Loop: Header=BB322_10 Depth=1
	v_cmp_eq_f32_e64 s[2:3], v28, v29
	s_waitcnt lgkmcnt(0)
	v_cmp_lt_i32_e64 s[4:5], v30, v26
	s_and_b64 s[2:3], s[2:3], s[4:5]
	s_andn2_b64 s[4:5], s[20:21], exec
	s_and_b64 s[2:3], s[2:3], exec
	s_or_b64 s[20:21], s[4:5], s[2:3]
.LBB322_16:                             ;   in Loop: Header=BB322_10 Depth=1
	s_or_b64 exec, exec, s[22:23]
	s_and_saveexec_b64 s[2:3], s[20:21]
	s_cbranch_execz .LBB322_18
; %bb.17:                               ;   in Loop: Header=BB322_10 Depth=1
	s_waitcnt lgkmcnt(1)
	v_mov_b32_e32 v27, v31
	v_mov_b32_e32 v28, v29
	s_waitcnt lgkmcnt(0)
	v_mov_b32_e32 v26, v30
.LBB322_18:                             ;   in Loop: Header=BB322_10 Depth=1
	s_or_b64 exec, exec, s[2:3]
	s_waitcnt lgkmcnt(1)
	ds_bpermute_b32 v31, v23, v28
	ds_bpermute_b32 v29, v23, v27
	s_waitcnt lgkmcnt(2)
	ds_bpermute_b32 v30, v23, v26
	s_waitcnt lgkmcnt(2)
	v_cmp_lt_f32_e64 s[20:21], v28, v31
	v_cmp_nlt_f32_e64 s[2:3], v28, v31
	s_and_saveexec_b64 s[22:23], s[2:3]
	s_cbranch_execnz .LBB322_22
; %bb.19:                               ;   in Loop: Header=BB322_10 Depth=1
	s_or_b64 exec, exec, s[22:23]
	s_and_saveexec_b64 s[2:3], s[20:21]
	s_cbranch_execnz .LBB322_23
.LBB322_20:                             ;   in Loop: Header=BB322_10 Depth=1
	s_or_b64 exec, exec, s[2:3]
	s_and_saveexec_b64 s[20:21], s[0:1]
	s_cbranch_execnz .LBB322_24
.LBB322_21:                             ;   in Loop: Header=BB322_10 Depth=1
	s_or_b64 exec, exec, s[20:21]
	s_add_i32 s25, s25, 1
	s_cmp_ge_i32 s25, s8
	s_cbranch_scc1 .LBB322_9
	s_branch .LBB322_25
.LBB322_22:                             ;   in Loop: Header=BB322_10 Depth=1
	v_cmp_eq_f32_e64 s[2:3], v28, v31
	s_waitcnt lgkmcnt(0)
	v_cmp_lt_i32_e64 s[4:5], v30, v26
	s_and_b64 s[2:3], s[2:3], s[4:5]
	s_andn2_b64 s[4:5], s[20:21], exec
	s_and_b64 s[2:3], s[2:3], exec
	s_or_b64 s[20:21], s[4:5], s[2:3]
	s_or_b64 exec, exec, s[22:23]
	s_and_saveexec_b64 s[2:3], s[20:21]
	s_cbranch_execz .LBB322_20
.LBB322_23:                             ;   in Loop: Header=BB322_10 Depth=1
	s_waitcnt lgkmcnt(0)
	v_mov_b32_e32 v26, v30
	v_mov_b32_e32 v27, v29
	s_or_b64 exec, exec, s[2:3]
	s_and_saveexec_b64 s[20:21], s[0:1]
	s_cbranch_execz .LBB322_21
.LBB322_24:                             ;   in Loop: Header=BB322_10 Depth=1
	v_add_u32_e32 v28, s25, v20
	s_waitcnt lgkmcnt(1)
	v_ashrrev_i32_e32 v29, 31, v28
	v_cmp_le_i32_e64 s[2:3], s9, v26
	v_cmp_gt_i32_e64 s[4:5], s10, v26
	v_lshlrev_b64 v[28:29], 2, v[28:29]
	s_and_b64 s[4:5], s[2:3], s[4:5]
	v_mov_b32_e32 v31, s17
	s_waitcnt lgkmcnt(0)
	v_add_co_u32_e64 v30, s[2:3], s16, v28
	v_addc_co_u32_e64 v31, s[2:3], v31, v29, s[2:3]
	global_store_dword v[30:31], v27, off
	v_subrev_u32_e32 v30, s9, v26
	s_and_b64 s[2:3], s[18:19], s[4:5]
	v_cndmask_b32_e64 v32, 64, v30, s[2:3]
	v_mov_b32_e32 v31, s13
	v_add_co_u32_e64 v30, s[2:3], s12, v28
	v_addc_co_u32_e64 v31, s[2:3], v31, v29, s[2:3]
	global_store_dword v[30:31], v32, off
	v_mov_b32_e32 v30, s15
	v_add_co_u32_e64 v28, s[2:3], s14, v28
	v_add_f32_e32 v27, v19, v27
	v_addc_co_u32_e64 v29, s[2:3], v30, v29, s[2:3]
	v_cndmask_b32_e32 v19, v19, v27, vcc
	global_store_dword v[28:29], v25, off
	s_or_b64 exec, exec, s[20:21]
	s_add_i32 s25, s25, 1
	s_cmp_ge_i32 s25, s8
	s_cbranch_scc1 .LBB322_9
.LBB322_25:                             ;   in Loop: Header=BB322_10 Depth=1
	v_ashrrev_i32_e32 v28, 31, v26
	v_lshrrev_b32_e32 v27, 29, v28
	v_add_u32_e32 v27, v26, v27
	v_ashrrev_i32_e32 v27, 3, v27
	s_waitcnt lgkmcnt(1)
	v_lshrrev_b32_e32 v29, 29, v27
	v_add_u32_e32 v29, v27, v29
	v_and_b32_e32 v29, -8, v29
	v_sub_u32_e32 v29, v27, v29
	v_cmp_eq_u32_e64 s[2:3], v17, v29
	s_and_saveexec_b64 s[4:5], s[2:3]
	s_cbranch_execz .LBB322_8
; %bb.26:                               ;   in Loop: Header=BB322_10 Depth=1
	v_lshrrev_b32_e32 v28, 26, v28
	v_add_u32_e32 v28, v26, v28
	v_lshlrev_b32_e32 v27, 3, v27
	v_ashrrev_i32_e32 v28, 6, v28
	v_sub_u32_e32 v26, v26, v27
	v_lshl_add_u32 v26, v28, 3, v26
	v_cmp_ne_u32_e64 s[2:3], 7, v26
	v_cndmask_b32_e64 v15, v24, v15, s[2:3]
	v_cmp_ne_u32_e64 s[2:3], 6, v26
	v_cndmask_b32_e64 v14, v24, v14, s[2:3]
	;; [unrolled: 2-line block ×8, first 2 shown]
	s_branch .LBB322_8
.LBB322_27:
                                        ; implicit-def: $vgpr8_vgpr9_vgpr10_vgpr11_vgpr12_vgpr13_vgpr14_vgpr15
	s_andn2_b64 vcc, exec, s[8:9]
	s_cbranch_vccz .LBB322_5
	s_branch .LBB322_6
.LBB322_28:
	v_mov_b32_e32 v19, 0
.LBB322_29:
	v_cmp_eq_u32_e64 s[0:1], 0, v17
	s_and_b64 s[0:1], s[0:1], vcc
	s_and_b64 exec, exec, s[0:1]
	s_cbranch_execz .LBB322_38
; %bb.30:
	s_andn2_b64 vcc, exec, s[6:7]
	s_cbranch_vccnz .LBB322_38
; %bb.31:
	v_cmp_lt_f32_e32 vcc, 0, v19
	s_mov_b32 s2, 0
	v_cndmask_b32_e32 v0, 1.0, v19, vcc
	v_mul_lo_u32 v4, v16, s8
	s_cmp_eq_u32 s8, 1
	s_mov_b64 s[0:1], -1
	s_cbranch_scc1 .LBB322_35
; %bb.32:
	s_and_b32 s2, s8, 0x7ffffffe
	v_mov_b32_e32 v1, v0
	v_mov_b32_e32 v5, s17
	s_mov_b32 s3, s2
	v_mov_b32_e32 v2, v4
.LBB322_33:                             ; =>This Inner Loop Header: Depth=1
	v_ashrrev_i32_e32 v3, 31, v2
	v_lshlrev_b64 v[6:7], 2, v[2:3]
	v_add_co_u32_e32 v6, vcc, s16, v6
	v_addc_co_u32_e32 v7, vcc, v5, v7, vcc
	global_load_dwordx2 v[8:9], v[6:7], off
	s_add_i32 s3, s3, -2
	s_cmp_lg_u32 s3, 0
	v_add_u32_e32 v2, 2, v2
	s_waitcnt vmcnt(0)
	v_div_scale_f32 v3, s[0:1], v1, v1, v9
	v_div_scale_f32 v11, s[0:1], v0, v0, v8
	v_rcp_f32_e32 v12, v3
	v_rcp_f32_e32 v13, v11
	v_div_scale_f32 v10, vcc, v9, v1, v9
	v_fma_f32 v15, -v3, v12, 1.0
	v_fma_f32 v16, -v11, v13, 1.0
	v_fmac_f32_e32 v12, v15, v12
	v_div_scale_f32 v14, s[0:1], v8, v0, v8
	v_fmac_f32_e32 v13, v16, v13
	v_mul_f32_e32 v15, v10, v12
	v_mul_f32_e32 v16, v14, v13
	v_fma_f32 v17, -v3, v15, v10
	v_fma_f32 v18, -v11, v16, v14
	v_fmac_f32_e32 v15, v17, v12
	v_fmac_f32_e32 v16, v18, v13
	v_fma_f32 v3, -v3, v15, v10
	v_fma_f32 v10, -v11, v16, v14
	v_div_fmas_f32 v3, v3, v12, v15
	s_mov_b64 vcc, s[0:1]
	v_div_fixup_f32 v9, v3, v1, v9
	v_div_fmas_f32 v3, v10, v13, v16
	v_div_fixup_f32 v8, v3, v0, v8
	global_store_dwordx2 v[6:7], v[8:9], off
	s_cbranch_scc1 .LBB322_33
; %bb.34:
	s_cmp_lg_u32 s2, s8
	s_cselect_b64 s[0:1], -1, 0
.LBB322_35:
	s_and_b64 vcc, exec, s[0:1]
	s_cbranch_vccz .LBB322_38
; %bb.36:
	v_ashrrev_i32_e32 v1, 31, v4
	v_add_co_u32_e32 v2, vcc, s2, v4
	v_addc_co_u32_e32 v3, vcc, 0, v1, vcc
	v_lshlrev_b64 v[2:3], 2, v[2:3]
	v_mov_b32_e32 v1, s17
	v_add_co_u32_e32 v2, vcc, s16, v2
	s_sub_i32 s0, s8, s2
	v_addc_co_u32_e32 v3, vcc, v1, v3, vcc
.LBB322_37:                             ; =>This Inner Loop Header: Depth=1
	global_load_dword v1, v[2:3], off
	s_add_i32 s0, s0, -1
	s_cmp_lg_u32 s0, 0
	s_waitcnt vmcnt(0)
	v_div_scale_f32 v4, s[2:3], v0, v0, v1
	v_rcp_f32_e32 v5, v4
	v_div_scale_f32 v6, vcc, v1, v0, v1
	v_fma_f32 v7, -v4, v5, 1.0
	v_fmac_f32_e32 v5, v7, v5
	v_mul_f32_e32 v7, v6, v5
	v_fma_f32 v8, -v4, v7, v6
	v_fmac_f32_e32 v7, v8, v5
	v_fma_f32 v4, -v4, v7, v6
	v_div_fmas_f32 v4, v4, v5, v7
	v_div_fixup_f32 v1, v4, v0, v1
	global_store_dword v[2:3], v1, off
	v_add_co_u32_e32 v2, vcc, 4, v2
	v_addc_co_u32_e32 v3, vcc, 0, v3, vcc
	s_cbranch_scc1 .LBB322_37
.LBB322_38:
	s_endpgm
	.section	.rodata,"a",@progbits
	.p2align	6, 0x0
	.amdhsa_kernel _ZN4vllm3moe10topkGatingILi8ELi64ELi4ELi16ELi64Ei14__hip_bfloat16LNS0_11ScoringFuncE1EEEvPKT5_PKbPfiPT4_PiiiibPKf
		.amdhsa_group_segment_fixed_size 0
		.amdhsa_private_segment_fixed_size 0
		.amdhsa_kernarg_size 72
		.amdhsa_user_sgpr_count 6
		.amdhsa_user_sgpr_private_segment_buffer 1
		.amdhsa_user_sgpr_dispatch_ptr 0
		.amdhsa_user_sgpr_queue_ptr 0
		.amdhsa_user_sgpr_kernarg_segment_ptr 1
		.amdhsa_user_sgpr_dispatch_id 0
		.amdhsa_user_sgpr_flat_scratch_init 0
		.amdhsa_user_sgpr_kernarg_preload_length 0
		.amdhsa_user_sgpr_kernarg_preload_offset 0
		.amdhsa_user_sgpr_private_segment_size 0
		.amdhsa_uses_dynamic_stack 0
		.amdhsa_system_sgpr_private_segment_wavefront_offset 0
		.amdhsa_system_sgpr_workgroup_id_x 1
		.amdhsa_system_sgpr_workgroup_id_y 0
		.amdhsa_system_sgpr_workgroup_id_z 0
		.amdhsa_system_sgpr_workgroup_info 0
		.amdhsa_system_vgpr_workitem_id 1
		.amdhsa_next_free_vgpr 34
		.amdhsa_next_free_sgpr 26
		.amdhsa_accum_offset 36
		.amdhsa_reserve_vcc 1
		.amdhsa_reserve_flat_scratch 0
		.amdhsa_float_round_mode_32 0
		.amdhsa_float_round_mode_16_64 0
		.amdhsa_float_denorm_mode_32 3
		.amdhsa_float_denorm_mode_16_64 3
		.amdhsa_dx10_clamp 1
		.amdhsa_ieee_mode 1
		.amdhsa_fp16_overflow 0
		.amdhsa_tg_split 0
		.amdhsa_exception_fp_ieee_invalid_op 0
		.amdhsa_exception_fp_denorm_src 0
		.amdhsa_exception_fp_ieee_div_zero 0
		.amdhsa_exception_fp_ieee_overflow 0
		.amdhsa_exception_fp_ieee_underflow 0
		.amdhsa_exception_fp_ieee_inexact 0
		.amdhsa_exception_int_div_zero 0
	.end_amdhsa_kernel
	.section	.text._ZN4vllm3moe10topkGatingILi8ELi64ELi4ELi16ELi64Ei14__hip_bfloat16LNS0_11ScoringFuncE1EEEvPKT5_PKbPfiPT4_PiiiibPKf,"axG",@progbits,_ZN4vllm3moe10topkGatingILi8ELi64ELi4ELi16ELi64Ei14__hip_bfloat16LNS0_11ScoringFuncE1EEEvPKT5_PKbPfiPT4_PiiiibPKf,comdat
.Lfunc_end322:
	.size	_ZN4vllm3moe10topkGatingILi8ELi64ELi4ELi16ELi64Ei14__hip_bfloat16LNS0_11ScoringFuncE1EEEvPKT5_PKbPfiPT4_PiiiibPKf, .Lfunc_end322-_ZN4vllm3moe10topkGatingILi8ELi64ELi4ELi16ELi64Ei14__hip_bfloat16LNS0_11ScoringFuncE1EEEvPKT5_PKbPfiPT4_PiiiibPKf
                                        ; -- End function
	.section	.AMDGPU.csdata,"",@progbits
; Kernel info:
; codeLenInByte = 2872
; NumSgprs: 30
; NumVgprs: 34
; NumAgprs: 0
; TotalNumVgprs: 34
; ScratchSize: 0
; MemoryBound: 0
; FloatMode: 240
; IeeeMode: 1
; LDSByteSize: 0 bytes/workgroup (compile time only)
; SGPRBlocks: 3
; VGPRBlocks: 4
; NumSGPRsForWavesPerEU: 30
; NumVGPRsForWavesPerEU: 34
; AccumOffset: 36
; Occupancy: 8
; WaveLimiterHint : 0
; COMPUTE_PGM_RSRC2:SCRATCH_EN: 0
; COMPUTE_PGM_RSRC2:USER_SGPR: 6
; COMPUTE_PGM_RSRC2:TRAP_HANDLER: 0
; COMPUTE_PGM_RSRC2:TGID_X_EN: 1
; COMPUTE_PGM_RSRC2:TGID_Y_EN: 0
; COMPUTE_PGM_RSRC2:TGID_Z_EN: 0
; COMPUTE_PGM_RSRC2:TIDIG_COMP_CNT: 1
; COMPUTE_PGM_RSRC3_GFX90A:ACCUM_OFFSET: 8
; COMPUTE_PGM_RSRC3_GFX90A:TG_SPLIT: 0
	.section	.text._ZN4vllm3moe10topkGatingILi8ELi64ELi4ELi16ELi32Ei14__hip_bfloat16LNS0_11ScoringFuncE1EEEvPKT5_PKbPfiPT4_PiiiibPKf,"axG",@progbits,_ZN4vllm3moe10topkGatingILi8ELi64ELi4ELi16ELi32Ei14__hip_bfloat16LNS0_11ScoringFuncE1EEEvPKT5_PKbPfiPT4_PiiiibPKf,comdat
	.protected	_ZN4vllm3moe10topkGatingILi8ELi64ELi4ELi16ELi32Ei14__hip_bfloat16LNS0_11ScoringFuncE1EEEvPKT5_PKbPfiPT4_PiiiibPKf ; -- Begin function _ZN4vllm3moe10topkGatingILi8ELi64ELi4ELi16ELi32Ei14__hip_bfloat16LNS0_11ScoringFuncE1EEEvPKT5_PKbPfiPT4_PiiiibPKf
	.globl	_ZN4vllm3moe10topkGatingILi8ELi64ELi4ELi16ELi32Ei14__hip_bfloat16LNS0_11ScoringFuncE1EEEvPKT5_PKbPfiPT4_PiiiibPKf
	.p2align	8
	.type	_ZN4vllm3moe10topkGatingILi8ELi64ELi4ELi16ELi32Ei14__hip_bfloat16LNS0_11ScoringFuncE1EEEvPKT5_PKbPfiPT4_PiiiibPKf,@function
_ZN4vllm3moe10topkGatingILi8ELi64ELi4ELi16ELi32Ei14__hip_bfloat16LNS0_11ScoringFuncE1EEEvPKT5_PKbPfiPT4_PiiiibPKf: ; @_ZN4vllm3moe10topkGatingILi8ELi64ELi4ELi16ELi32Ei14__hip_bfloat16LNS0_11ScoringFuncE1EEEvPKT5_PKbPfiPT4_PiiiibPKf
; %bb.0:
	s_load_dword s24, s[4:5], 0x18
	v_bfe_u32 v1, v0, 10, 10
	v_and_b32_e32 v0, 0x3ff, v0
	s_lshl_b32 s0, s6, 4
	v_lshlrev_b32_e32 v1, 2, v1
	v_lshrrev_b32_e32 v2, 3, v0
	v_add3_u32 v16, s0, v1, v2
	s_waitcnt lgkmcnt(0)
	v_cmp_gt_i32_e32 vcc, s24, v16
	s_and_saveexec_b64 s[0:1], vcc
	s_cbranch_execz .LBB323_38
; %bb.1:
	s_load_dwordx4 s[0:3], s[4:5], 0x0
	s_load_dwordx2 s[16:17], s[4:5], 0x10
	s_mov_b64 s[8:9], -1
	s_mov_b64 s[18:19], -1
	s_waitcnt lgkmcnt(0)
	s_cmp_eq_u64 s[2:3], 0
	s_cbranch_scc1 .LBB323_3
; %bb.2:
	v_ashrrev_i32_e32 v1, 31, v16
	v_mov_b32_e32 v3, s3
	v_add_co_u32_e32 v2, vcc, s2, v16
	v_addc_co_u32_e32 v3, vcc, v3, v1, vcc
	global_load_ubyte v1, v[2:3], off
	s_waitcnt vmcnt(0)
	v_and_b32_e32 v1, 1, v1
	v_cmp_eq_u32_e32 vcc, 1, v1
	s_xor_b64 s[2:3], vcc, -1
	s_orn2_b64 s[18:19], s[2:3], exec
.LBB323_3:
	v_lshlrev_b32_e32 v2, 6, v16
	v_ashrrev_i32_e32 v3, 31, v2
	v_lshlrev_b64 v[2:3], 1, v[2:3]
	v_mov_b32_e32 v1, s1
	v_add_co_u32_e32 v2, vcc, s0, v2
	v_and_b32_e32 v17, 7, v0
	v_addc_co_u32_e32 v1, vcc, v1, v3, vcc
	v_lshlrev_b32_e32 v0, 4, v17
	v_add_co_u32_e32 v0, vcc, v2, v0
	v_addc_co_u32_e32 v1, vcc, 0, v1, vcc
	global_load_dwordx4 v[0:3], v[0:1], off
	v_mov_b32_e32 v8, 0x207
	s_load_dwordx2 s[10:11], s[4:5], 0x40
	v_lshlrev_b32_e32 v18, 3, v17
	s_waitcnt lgkmcnt(0)
	s_cmp_eq_u64 s[10:11], 0
	s_waitcnt vmcnt(0)
	v_lshlrev_b32_e32 v4, 16, v0
	v_and_b32_e32 v0, 0xffff0000, v0
	v_lshlrev_b32_e32 v5, 16, v1
	v_and_b32_e32 v1, 0xffff0000, v1
	v_mul_f32_e32 v4, 0xbfb8aa3b, v4
	v_mul_f32_e32 v9, 0xbfb8aa3b, v0
	;; [unrolled: 1-line block ×3, first 2 shown]
	v_exp_f32_e32 v0, v4
	v_exp_f32_e32 v1, v9
	v_lshlrev_b32_e32 v6, 16, v2
	v_and_b32_e32 v2, 0xffff0000, v2
	v_lshlrev_b32_e32 v7, 16, v3
	v_and_b32_e32 v3, 0xffff0000, v3
	v_mul_f32_e32 v5, 0xbfb8aa3b, v5
	v_mul_f32_e32 v11, 0xbfb8aa3b, v2
	;; [unrolled: 1-line block ×3, first 2 shown]
	v_exp_f32_e32 v2, v5
	v_exp_f32_e32 v3, v10
	v_pk_add_f32 v[0:1], v[0:1], 1.0 op_sel_hi:[1,0]
	v_div_scale_f32 v9, s[0:1], v1, v1, 1.0
	v_rcp_f32_e32 v21, v9
	v_exp_f32_e32 v5, v11
	v_div_scale_f32 v11, s[0:1], v0, v0, 1.0
	v_pk_add_f32 v[2:3], v[2:3], 1.0 op_sel_hi:[1,0]
	v_rcp_f32_e32 v22, v11
	v_div_scale_f32 v13, s[2:3], v3, v3, 1.0
	v_rcp_f32_e32 v23, v13
	v_fma_f32 v26, -v9, v21, 1.0
	v_div_scale_f32 v10, vcc, 1.0, v1, 1.0
	v_div_scale_f32 v15, s[6:7], v2, v2, 1.0
	v_fmac_f32_e32 v21, v26, v21
	v_mul_f32_e32 v6, 0xbfb8aa3b, v6
	v_mul_f32_e32 v7, 0xbfb8aa3b, v7
	v_rcp_f32_e32 v24, v15
	v_fma_f32 v27, -v11, v22, 1.0
	v_mul_f32_e32 v26, v10, v21
	v_exp_f32_e32 v4, v6
	v_exp_f32_e32 v6, v7
	;; [unrolled: 1-line block ×3, first 2 shown]
	v_div_scale_f32 v12, s[0:1], 1.0, v0, 1.0
	v_fmac_f32_e32 v22, v27, v22
	v_fma_f32 v30, -v9, v26, v10
	v_fma_f32 v28, -v13, v23, 1.0
	v_mul_f32_e32 v27, v12, v22
	v_fmac_f32_e32 v26, v30, v21
	v_div_scale_f32 v14, s[2:3], 1.0, v3, 1.0
	v_fmac_f32_e32 v23, v28, v23
	v_fma_f32 v31, -v11, v27, v12
	v_fma_f32 v9, -v9, v26, v10
	v_fma_f32 v29, -v15, v24, 1.0
	v_mul_f32_e32 v28, v14, v23
	v_fmac_f32_e32 v27, v31, v22
	v_div_fmas_f32 v9, v9, v21, v26
	v_div_scale_f32 v19, s[6:7], 1.0, v2, 1.0
	v_fmac_f32_e32 v24, v29, v24
	v_fma_f32 v32, -v13, v28, v14
	v_fma_f32 v10, -v11, v27, v12
	v_div_fixup_f32 v1, v9, v1, 1.0
	s_mov_b64 vcc, s[0:1]
	v_pk_add_f32 v[4:5], v[4:5], 1.0 op_sel_hi:[1,0]
	v_mul_f32_e32 v29, v19, v24
	v_fmac_f32_e32 v28, v32, v23
	v_div_fmas_f32 v9, v10, v22, v27
	v_cmp_class_f32_e32 vcc, v1, v8
	v_div_scale_f32 v20, s[12:13], v5, v5, 1.0
	v_fma_f32 v33, -v15, v29, v19
	v_fma_f32 v11, -v13, v28, v14
	v_div_fixup_f32 v0, v9, v0, 1.0
	v_cndmask_b32_e64 v1, v1, 0, vcc
	s_mov_b64 vcc, s[2:3]
	v_rcp_f32_e32 v25, v20
	v_fmac_f32_e32 v29, v33, v24
	v_div_fmas_f32 v9, v11, v23, v28
	v_cmp_class_f32_e32 vcc, v0, v8
	v_fma_f32 v12, -v15, v29, v19
	v_cndmask_b32_e64 v0, v0, 0, vcc
	s_mov_b64 vcc, s[6:7]
	v_div_fixup_f32 v3, v9, v3, 1.0
	v_div_fmas_f32 v9, v12, v24, v29
	v_div_fixup_f32 v2, v9, v2, 1.0
	v_cmp_class_f32_e32 vcc, v3, v8
	v_cndmask_b32_e64 v3, v3, 0, vcc
	v_cmp_class_f32_e32 vcc, v2, v8
	v_fma_f32 v9, -v20, v25, 1.0
	v_cndmask_b32_e64 v2, v2, 0, vcc
	v_fmac_f32_e32 v25, v9, v25
	v_div_scale_f32 v9, vcc, 1.0, v5, 1.0
	v_mul_f32_e32 v10, v9, v25
	v_fma_f32 v11, -v20, v10, v9
	v_fmac_f32_e32 v10, v11, v25
	v_div_scale_f32 v11, s[0:1], v4, v4, 1.0
	v_rcp_f32_e32 v12, v11
	v_fma_f32 v9, -v20, v10, v9
	v_div_fmas_f32 v9, v9, v25, v10
	v_div_fixup_f32 v5, v9, v5, 1.0
	v_fma_f32 v9, -v11, v12, 1.0
	v_fmac_f32_e32 v12, v9, v12
	v_div_scale_f32 v9, vcc, 1.0, v4, 1.0
	v_mul_f32_e32 v10, v9, v12
	v_fma_f32 v13, -v11, v10, v9
	v_fmac_f32_e32 v10, v13, v12
	v_fma_f32 v9, -v11, v10, v9
	v_div_fmas_f32 v9, v9, v12, v10
	v_pk_add_f32 v[6:7], v[6:7], 1.0 op_sel_hi:[1,0]
	v_div_fixup_f32 v4, v9, v4, 1.0
	v_div_scale_f32 v9, s[0:1], v7, v7, 1.0
	v_rcp_f32_e32 v10, v9
	v_cmp_class_f32_e32 vcc, v5, v8
	v_cndmask_b32_e64 v5, v5, 0, vcc
	v_cmp_class_f32_e32 vcc, v4, v8
	v_fma_f32 v11, -v9, v10, 1.0
	v_cndmask_b32_e64 v4, v4, 0, vcc
	v_fmac_f32_e32 v10, v11, v10
	v_div_scale_f32 v11, vcc, 1.0, v7, 1.0
	v_mul_f32_e32 v12, v11, v10
	v_fma_f32 v13, -v9, v12, v11
	v_fmac_f32_e32 v12, v13, v10
	v_fma_f32 v9, -v9, v12, v11
	v_div_scale_f32 v11, s[0:1], v6, v6, 1.0
	v_rcp_f32_e32 v13, v11
	v_div_fmas_f32 v9, v9, v10, v12
	v_div_fixup_f32 v7, v9, v7, 1.0
	v_fma_f32 v9, -v11, v13, 1.0
	v_fmac_f32_e32 v13, v9, v13
	v_div_scale_f32 v9, vcc, 1.0, v6, 1.0
	v_mul_f32_e32 v10, v9, v13
	v_fma_f32 v12, -v11, v10, v9
	v_fmac_f32_e32 v10, v12, v13
	v_fma_f32 v9, -v11, v10, v9
	v_div_fmas_f32 v9, v9, v13, v10
	v_div_fixup_f32 v6, v9, v6, 1.0
	v_cmp_class_f32_e32 vcc, v7, v8
	v_cndmask_b32_e64 v7, v7, 0, vcc
	v_cmp_class_f32_e32 vcc, v6, v8
	v_cndmask_b32_e64 v6, v6, 0, vcc
	s_cbranch_scc1 .LBB323_27
; %bb.4:
	v_lshlrev_b32_e32 v19, 2, v18
	global_load_dwordx4 v[8:11], v19, s[10:11]
	global_load_dwordx4 v[12:15], v19, s[10:11] offset:16
	s_waitcnt vmcnt(1)
	v_pk_add_f32 v[8:9], v[8:9], v[0:1]
	v_pk_add_f32 v[10:11], v[10:11], v[2:3]
	s_waitcnt vmcnt(0)
	v_pk_add_f32 v[12:13], v[12:13], v[4:5]
	v_pk_add_f32 v[14:15], v[14:15], v[6:7]
	s_cbranch_execnz .LBB323_6
.LBB323_5:
	v_pk_mov_b32 v[14:15], v[6:7], v[6:7] op_sel:[0,1]
	v_pk_mov_b32 v[12:13], v[4:5], v[4:5] op_sel:[0,1]
	;; [unrolled: 1-line block ×4, first 2 shown]
.LBB323_6:
	s_load_dwordx4 s[8:11], s[4:5], 0x30
	s_mov_b32 s25, 0
	v_cmp_eq_u32_e64 s[0:1], 0, v17
	s_waitcnt lgkmcnt(0)
	s_bitcmp1_b32 s11, 0
	s_cselect_b64 vcc, -1, 0
	s_cmp_gt_i32 s8, 0
	s_cselect_b64 s[6:7], -1, 0
	s_cmp_lt_i32 s8, 1
	s_cbranch_scc1 .LBB323_28
; %bb.7:
	v_mbcnt_lo_u32_b32 v19, -1, 0
	v_mbcnt_hi_u32_b32 v19, -1, v19
	v_and_b32_e32 v20, 0x78, v19
	v_add_u32_e32 v23, 8, v20
	v_xor_b32_e32 v21, 4, v19
	s_load_dwordx4 s[12:15], s[4:5], 0x20
	v_cmp_lt_i32_e64 s[2:3], v21, v23
	v_xor_b32_e32 v22, 2, v19
	v_cndmask_b32_e64 v21, v19, v21, s[2:3]
	v_cmp_lt_i32_e64 s[2:3], v22, v23
	v_xor_b32_e32 v24, 1, v19
	v_cndmask_b32_e64 v22, v19, v22, s[2:3]
	v_cmp_lt_i32_e64 s[2:3], v24, v23
	v_cndmask_b32_e64 v19, v19, v24, s[2:3]
	v_mul_lo_u32 v20, v16, s8
	v_lshlrev_b32_e32 v21, 2, v21
	v_lshlrev_b32_e32 v22, 2, v22
	;; [unrolled: 1-line block ×3, first 2 shown]
	v_mov_b32_e32 v19, 0
	v_mov_b32_e32 v24, 0xc61c4000
	;; [unrolled: 1-line block ×3, first 2 shown]
	s_branch .LBB323_10
.LBB323_8:                              ;   in Loop: Header=BB323_10 Depth=1
	s_or_b64 exec, exec, s[4:5]
.LBB323_9:                              ;   in Loop: Header=BB323_10 Depth=1
	s_cmp_eq_u32 s8, s25
	v_add_u32_e32 v25, s24, v25
	s_cbranch_scc1 .LBB323_29
.LBB323_10:                             ; =>This Inner Loop Header: Depth=1
	v_cmp_gt_f32_e64 s[2:3], v9, v8
	v_cndmask_b32_e64 v28, v8, v9, s[2:3]
	v_cndmask_b32_e64 v26, 0, 1, s[2:3]
	v_cndmask_b32_e64 v27, v0, v1, s[2:3]
	v_cmp_gt_f32_e64 s[2:3], v10, v28
	v_cndmask_b32_e64 v28, v28, v10, s[2:3]
	v_cndmask_b32_e64 v26, v26, 2, s[2:3]
	v_cndmask_b32_e64 v27, v27, v2, s[2:3]
	;; [unrolled: 4-line block ×6, first 2 shown]
	v_cmp_gt_f32_e64 s[2:3], v15, v28
	v_cndmask_b32_e64 v26, v26, 7, s[2:3]
	v_cndmask_b32_e64 v28, v28, v15, s[2:3]
	v_or_b32_e32 v26, v18, v26
	v_cndmask_b32_e64 v27, v27, v7, s[2:3]
	s_waitcnt lgkmcnt(0)
	ds_bpermute_b32 v29, v21, v28
	ds_bpermute_b32 v31, v21, v27
	;; [unrolled: 1-line block ×3, first 2 shown]
	s_waitcnt lgkmcnt(0)
	v_cmp_lt_f32_e64 s[20:21], v28, v29
	v_cmp_nlt_f32_e64 s[2:3], v28, v29
	s_and_saveexec_b64 s[22:23], s[2:3]
; %bb.11:                               ;   in Loop: Header=BB323_10 Depth=1
	v_cmp_eq_f32_e64 s[2:3], v28, v29
	v_cmp_lt_i32_e64 s[4:5], v30, v26
	s_and_b64 s[2:3], s[2:3], s[4:5]
	s_andn2_b64 s[4:5], s[20:21], exec
	s_and_b64 s[2:3], s[2:3], exec
	s_or_b64 s[20:21], s[4:5], s[2:3]
; %bb.12:                               ;   in Loop: Header=BB323_10 Depth=1
	s_or_b64 exec, exec, s[22:23]
	s_and_saveexec_b64 s[2:3], s[20:21]
; %bb.13:                               ;   in Loop: Header=BB323_10 Depth=1
	v_mov_b32_e32 v27, v31
	v_mov_b32_e32 v28, v29
	;; [unrolled: 1-line block ×3, first 2 shown]
; %bb.14:                               ;   in Loop: Header=BB323_10 Depth=1
	s_or_b64 exec, exec, s[2:3]
	ds_bpermute_b32 v29, v22, v28
	ds_bpermute_b32 v31, v22, v27
	;; [unrolled: 1-line block ×3, first 2 shown]
	s_waitcnt lgkmcnt(2)
	v_cmp_lt_f32_e64 s[20:21], v28, v29
	v_cmp_nlt_f32_e64 s[2:3], v28, v29
	s_and_saveexec_b64 s[22:23], s[2:3]
	s_cbranch_execz .LBB323_16
; %bb.15:                               ;   in Loop: Header=BB323_10 Depth=1
	v_cmp_eq_f32_e64 s[2:3], v28, v29
	s_waitcnt lgkmcnt(0)
	v_cmp_lt_i32_e64 s[4:5], v30, v26
	s_and_b64 s[2:3], s[2:3], s[4:5]
	s_andn2_b64 s[4:5], s[20:21], exec
	s_and_b64 s[2:3], s[2:3], exec
	s_or_b64 s[20:21], s[4:5], s[2:3]
.LBB323_16:                             ;   in Loop: Header=BB323_10 Depth=1
	s_or_b64 exec, exec, s[22:23]
	s_and_saveexec_b64 s[2:3], s[20:21]
	s_cbranch_execz .LBB323_18
; %bb.17:                               ;   in Loop: Header=BB323_10 Depth=1
	s_waitcnt lgkmcnt(1)
	v_mov_b32_e32 v27, v31
	v_mov_b32_e32 v28, v29
	s_waitcnt lgkmcnt(0)
	v_mov_b32_e32 v26, v30
.LBB323_18:                             ;   in Loop: Header=BB323_10 Depth=1
	s_or_b64 exec, exec, s[2:3]
	s_waitcnt lgkmcnt(1)
	ds_bpermute_b32 v31, v23, v28
	ds_bpermute_b32 v29, v23, v27
	s_waitcnt lgkmcnt(2)
	ds_bpermute_b32 v30, v23, v26
	s_waitcnt lgkmcnt(2)
	v_cmp_lt_f32_e64 s[20:21], v28, v31
	v_cmp_nlt_f32_e64 s[2:3], v28, v31
	s_and_saveexec_b64 s[22:23], s[2:3]
	s_cbranch_execnz .LBB323_22
; %bb.19:                               ;   in Loop: Header=BB323_10 Depth=1
	s_or_b64 exec, exec, s[22:23]
	s_and_saveexec_b64 s[2:3], s[20:21]
	s_cbranch_execnz .LBB323_23
.LBB323_20:                             ;   in Loop: Header=BB323_10 Depth=1
	s_or_b64 exec, exec, s[2:3]
	s_and_saveexec_b64 s[20:21], s[0:1]
	s_cbranch_execnz .LBB323_24
.LBB323_21:                             ;   in Loop: Header=BB323_10 Depth=1
	s_or_b64 exec, exec, s[20:21]
	s_add_i32 s25, s25, 1
	s_cmp_ge_i32 s25, s8
	s_cbranch_scc1 .LBB323_9
	s_branch .LBB323_25
.LBB323_22:                             ;   in Loop: Header=BB323_10 Depth=1
	v_cmp_eq_f32_e64 s[2:3], v28, v31
	s_waitcnt lgkmcnt(0)
	v_cmp_lt_i32_e64 s[4:5], v30, v26
	s_and_b64 s[2:3], s[2:3], s[4:5]
	s_andn2_b64 s[4:5], s[20:21], exec
	s_and_b64 s[2:3], s[2:3], exec
	s_or_b64 s[20:21], s[4:5], s[2:3]
	s_or_b64 exec, exec, s[22:23]
	s_and_saveexec_b64 s[2:3], s[20:21]
	s_cbranch_execz .LBB323_20
.LBB323_23:                             ;   in Loop: Header=BB323_10 Depth=1
	s_waitcnt lgkmcnt(0)
	v_mov_b32_e32 v26, v30
	v_mov_b32_e32 v27, v29
	s_or_b64 exec, exec, s[2:3]
	s_and_saveexec_b64 s[20:21], s[0:1]
	s_cbranch_execz .LBB323_21
.LBB323_24:                             ;   in Loop: Header=BB323_10 Depth=1
	v_add_u32_e32 v28, s25, v20
	s_waitcnt lgkmcnt(1)
	v_ashrrev_i32_e32 v29, 31, v28
	v_cmp_le_i32_e64 s[2:3], s9, v26
	v_cmp_gt_i32_e64 s[4:5], s10, v26
	v_lshlrev_b64 v[28:29], 2, v[28:29]
	s_and_b64 s[4:5], s[2:3], s[4:5]
	v_mov_b32_e32 v31, s17
	s_waitcnt lgkmcnt(0)
	v_add_co_u32_e64 v30, s[2:3], s16, v28
	v_addc_co_u32_e64 v31, s[2:3], v31, v29, s[2:3]
	global_store_dword v[30:31], v27, off
	v_subrev_u32_e32 v30, s9, v26
	s_and_b64 s[2:3], s[18:19], s[4:5]
	v_cndmask_b32_e64 v32, 64, v30, s[2:3]
	v_mov_b32_e32 v31, s13
	v_add_co_u32_e64 v30, s[2:3], s12, v28
	v_addc_co_u32_e64 v31, s[2:3], v31, v29, s[2:3]
	global_store_dword v[30:31], v32, off
	v_mov_b32_e32 v30, s15
	v_add_co_u32_e64 v28, s[2:3], s14, v28
	v_add_f32_e32 v27, v19, v27
	v_addc_co_u32_e64 v29, s[2:3], v30, v29, s[2:3]
	v_cndmask_b32_e32 v19, v19, v27, vcc
	global_store_dword v[28:29], v25, off
	s_or_b64 exec, exec, s[20:21]
	s_add_i32 s25, s25, 1
	s_cmp_ge_i32 s25, s8
	s_cbranch_scc1 .LBB323_9
.LBB323_25:                             ;   in Loop: Header=BB323_10 Depth=1
	v_ashrrev_i32_e32 v28, 31, v26
	v_lshrrev_b32_e32 v27, 29, v28
	v_add_u32_e32 v27, v26, v27
	v_ashrrev_i32_e32 v27, 3, v27
	s_waitcnt lgkmcnt(1)
	v_lshrrev_b32_e32 v29, 29, v27
	v_add_u32_e32 v29, v27, v29
	v_and_b32_e32 v29, -8, v29
	v_sub_u32_e32 v29, v27, v29
	v_cmp_eq_u32_e64 s[2:3], v17, v29
	s_and_saveexec_b64 s[4:5], s[2:3]
	s_cbranch_execz .LBB323_8
; %bb.26:                               ;   in Loop: Header=BB323_10 Depth=1
	v_lshrrev_b32_e32 v28, 26, v28
	v_add_u32_e32 v28, v26, v28
	v_lshlrev_b32_e32 v27, 3, v27
	v_ashrrev_i32_e32 v28, 6, v28
	v_sub_u32_e32 v26, v26, v27
	v_lshl_add_u32 v26, v28, 3, v26
	v_cmp_ne_u32_e64 s[2:3], 7, v26
	v_cndmask_b32_e64 v15, v24, v15, s[2:3]
	v_cmp_ne_u32_e64 s[2:3], 6, v26
	v_cndmask_b32_e64 v14, v24, v14, s[2:3]
	;; [unrolled: 2-line block ×8, first 2 shown]
	s_branch .LBB323_8
.LBB323_27:
                                        ; implicit-def: $vgpr8_vgpr9_vgpr10_vgpr11_vgpr12_vgpr13_vgpr14_vgpr15
	s_andn2_b64 vcc, exec, s[8:9]
	s_cbranch_vccz .LBB323_5
	s_branch .LBB323_6
.LBB323_28:
	v_mov_b32_e32 v19, 0
.LBB323_29:
	v_cmp_eq_u32_e64 s[0:1], 0, v17
	s_and_b64 s[0:1], s[0:1], vcc
	s_and_b64 exec, exec, s[0:1]
	s_cbranch_execz .LBB323_38
; %bb.30:
	s_andn2_b64 vcc, exec, s[6:7]
	s_cbranch_vccnz .LBB323_38
; %bb.31:
	v_cmp_lt_f32_e32 vcc, 0, v19
	s_mov_b32 s2, 0
	v_cndmask_b32_e32 v0, 1.0, v19, vcc
	v_mul_lo_u32 v4, v16, s8
	s_cmp_eq_u32 s8, 1
	s_mov_b64 s[0:1], -1
	s_cbranch_scc1 .LBB323_35
; %bb.32:
	s_and_b32 s2, s8, 0x7ffffffe
	v_mov_b32_e32 v1, v0
	v_mov_b32_e32 v5, s17
	s_mov_b32 s3, s2
	v_mov_b32_e32 v2, v4
.LBB323_33:                             ; =>This Inner Loop Header: Depth=1
	v_ashrrev_i32_e32 v3, 31, v2
	v_lshlrev_b64 v[6:7], 2, v[2:3]
	v_add_co_u32_e32 v6, vcc, s16, v6
	v_addc_co_u32_e32 v7, vcc, v5, v7, vcc
	global_load_dwordx2 v[8:9], v[6:7], off
	s_add_i32 s3, s3, -2
	s_cmp_lg_u32 s3, 0
	v_add_u32_e32 v2, 2, v2
	s_waitcnt vmcnt(0)
	v_div_scale_f32 v3, s[0:1], v1, v1, v9
	v_div_scale_f32 v11, s[0:1], v0, v0, v8
	v_rcp_f32_e32 v12, v3
	v_rcp_f32_e32 v13, v11
	v_div_scale_f32 v10, vcc, v9, v1, v9
	v_fma_f32 v15, -v3, v12, 1.0
	v_fma_f32 v16, -v11, v13, 1.0
	v_fmac_f32_e32 v12, v15, v12
	v_div_scale_f32 v14, s[0:1], v8, v0, v8
	v_fmac_f32_e32 v13, v16, v13
	v_mul_f32_e32 v15, v10, v12
	v_mul_f32_e32 v16, v14, v13
	v_fma_f32 v17, -v3, v15, v10
	v_fma_f32 v18, -v11, v16, v14
	v_fmac_f32_e32 v15, v17, v12
	v_fmac_f32_e32 v16, v18, v13
	v_fma_f32 v3, -v3, v15, v10
	v_fma_f32 v10, -v11, v16, v14
	v_div_fmas_f32 v3, v3, v12, v15
	s_mov_b64 vcc, s[0:1]
	v_div_fixup_f32 v9, v3, v1, v9
	v_div_fmas_f32 v3, v10, v13, v16
	v_div_fixup_f32 v8, v3, v0, v8
	global_store_dwordx2 v[6:7], v[8:9], off
	s_cbranch_scc1 .LBB323_33
; %bb.34:
	s_cmp_lg_u32 s2, s8
	s_cselect_b64 s[0:1], -1, 0
.LBB323_35:
	s_and_b64 vcc, exec, s[0:1]
	s_cbranch_vccz .LBB323_38
; %bb.36:
	v_ashrrev_i32_e32 v1, 31, v4
	v_add_co_u32_e32 v2, vcc, s2, v4
	v_addc_co_u32_e32 v3, vcc, 0, v1, vcc
	v_lshlrev_b64 v[2:3], 2, v[2:3]
	v_mov_b32_e32 v1, s17
	v_add_co_u32_e32 v2, vcc, s16, v2
	s_sub_i32 s0, s8, s2
	v_addc_co_u32_e32 v3, vcc, v1, v3, vcc
.LBB323_37:                             ; =>This Inner Loop Header: Depth=1
	global_load_dword v1, v[2:3], off
	s_add_i32 s0, s0, -1
	s_cmp_lg_u32 s0, 0
	s_waitcnt vmcnt(0)
	v_div_scale_f32 v4, s[2:3], v0, v0, v1
	v_rcp_f32_e32 v5, v4
	v_div_scale_f32 v6, vcc, v1, v0, v1
	v_fma_f32 v7, -v4, v5, 1.0
	v_fmac_f32_e32 v5, v7, v5
	v_mul_f32_e32 v7, v6, v5
	v_fma_f32 v8, -v4, v7, v6
	v_fmac_f32_e32 v7, v8, v5
	v_fma_f32 v4, -v4, v7, v6
	v_div_fmas_f32 v4, v4, v5, v7
	v_div_fixup_f32 v1, v4, v0, v1
	global_store_dword v[2:3], v1, off
	v_add_co_u32_e32 v2, vcc, 4, v2
	v_addc_co_u32_e32 v3, vcc, 0, v3, vcc
	s_cbranch_scc1 .LBB323_37
.LBB323_38:
	s_endpgm
	.section	.rodata,"a",@progbits
	.p2align	6, 0x0
	.amdhsa_kernel _ZN4vllm3moe10topkGatingILi8ELi64ELi4ELi16ELi32Ei14__hip_bfloat16LNS0_11ScoringFuncE1EEEvPKT5_PKbPfiPT4_PiiiibPKf
		.amdhsa_group_segment_fixed_size 0
		.amdhsa_private_segment_fixed_size 0
		.amdhsa_kernarg_size 72
		.amdhsa_user_sgpr_count 6
		.amdhsa_user_sgpr_private_segment_buffer 1
		.amdhsa_user_sgpr_dispatch_ptr 0
		.amdhsa_user_sgpr_queue_ptr 0
		.amdhsa_user_sgpr_kernarg_segment_ptr 1
		.amdhsa_user_sgpr_dispatch_id 0
		.amdhsa_user_sgpr_flat_scratch_init 0
		.amdhsa_user_sgpr_kernarg_preload_length 0
		.amdhsa_user_sgpr_kernarg_preload_offset 0
		.amdhsa_user_sgpr_private_segment_size 0
		.amdhsa_uses_dynamic_stack 0
		.amdhsa_system_sgpr_private_segment_wavefront_offset 0
		.amdhsa_system_sgpr_workgroup_id_x 1
		.amdhsa_system_sgpr_workgroup_id_y 0
		.amdhsa_system_sgpr_workgroup_id_z 0
		.amdhsa_system_sgpr_workgroup_info 0
		.amdhsa_system_vgpr_workitem_id 1
		.amdhsa_next_free_vgpr 34
		.amdhsa_next_free_sgpr 26
		.amdhsa_accum_offset 36
		.amdhsa_reserve_vcc 1
		.amdhsa_reserve_flat_scratch 0
		.amdhsa_float_round_mode_32 0
		.amdhsa_float_round_mode_16_64 0
		.amdhsa_float_denorm_mode_32 3
		.amdhsa_float_denorm_mode_16_64 3
		.amdhsa_dx10_clamp 1
		.amdhsa_ieee_mode 1
		.amdhsa_fp16_overflow 0
		.amdhsa_tg_split 0
		.amdhsa_exception_fp_ieee_invalid_op 0
		.amdhsa_exception_fp_denorm_src 0
		.amdhsa_exception_fp_ieee_div_zero 0
		.amdhsa_exception_fp_ieee_overflow 0
		.amdhsa_exception_fp_ieee_underflow 0
		.amdhsa_exception_fp_ieee_inexact 0
		.amdhsa_exception_int_div_zero 0
	.end_amdhsa_kernel
	.section	.text._ZN4vllm3moe10topkGatingILi8ELi64ELi4ELi16ELi32Ei14__hip_bfloat16LNS0_11ScoringFuncE1EEEvPKT5_PKbPfiPT4_PiiiibPKf,"axG",@progbits,_ZN4vllm3moe10topkGatingILi8ELi64ELi4ELi16ELi32Ei14__hip_bfloat16LNS0_11ScoringFuncE1EEEvPKT5_PKbPfiPT4_PiiiibPKf,comdat
.Lfunc_end323:
	.size	_ZN4vllm3moe10topkGatingILi8ELi64ELi4ELi16ELi32Ei14__hip_bfloat16LNS0_11ScoringFuncE1EEEvPKT5_PKbPfiPT4_PiiiibPKf, .Lfunc_end323-_ZN4vllm3moe10topkGatingILi8ELi64ELi4ELi16ELi32Ei14__hip_bfloat16LNS0_11ScoringFuncE1EEEvPKT5_PKbPfiPT4_PiiiibPKf
                                        ; -- End function
	.section	.AMDGPU.csdata,"",@progbits
; Kernel info:
; codeLenInByte = 2872
; NumSgprs: 30
; NumVgprs: 34
; NumAgprs: 0
; TotalNumVgprs: 34
; ScratchSize: 0
; MemoryBound: 0
; FloatMode: 240
; IeeeMode: 1
; LDSByteSize: 0 bytes/workgroup (compile time only)
; SGPRBlocks: 3
; VGPRBlocks: 4
; NumSGPRsForWavesPerEU: 30
; NumVGPRsForWavesPerEU: 34
; AccumOffset: 36
; Occupancy: 8
; WaveLimiterHint : 0
; COMPUTE_PGM_RSRC2:SCRATCH_EN: 0
; COMPUTE_PGM_RSRC2:USER_SGPR: 6
; COMPUTE_PGM_RSRC2:TRAP_HANDLER: 0
; COMPUTE_PGM_RSRC2:TGID_X_EN: 1
; COMPUTE_PGM_RSRC2:TGID_Y_EN: 0
; COMPUTE_PGM_RSRC2:TGID_Z_EN: 0
; COMPUTE_PGM_RSRC2:TIDIG_COMP_CNT: 1
; COMPUTE_PGM_RSRC3_GFX90A:ACCUM_OFFSET: 8
; COMPUTE_PGM_RSRC3_GFX90A:TG_SPLIT: 0
	.section	.text._ZN4vllm3moe10topkGatingILi8ELi128ELi4ELi16ELi64Ei14__hip_bfloat16LNS0_11ScoringFuncE1EEEvPKT5_PKbPfiPT4_PiiiibPKf,"axG",@progbits,_ZN4vllm3moe10topkGatingILi8ELi128ELi4ELi16ELi64Ei14__hip_bfloat16LNS0_11ScoringFuncE1EEEvPKT5_PKbPfiPT4_PiiiibPKf,comdat
	.protected	_ZN4vllm3moe10topkGatingILi8ELi128ELi4ELi16ELi64Ei14__hip_bfloat16LNS0_11ScoringFuncE1EEEvPKT5_PKbPfiPT4_PiiiibPKf ; -- Begin function _ZN4vllm3moe10topkGatingILi8ELi128ELi4ELi16ELi64Ei14__hip_bfloat16LNS0_11ScoringFuncE1EEEvPKT5_PKbPfiPT4_PiiiibPKf
	.globl	_ZN4vllm3moe10topkGatingILi8ELi128ELi4ELi16ELi64Ei14__hip_bfloat16LNS0_11ScoringFuncE1EEEvPKT5_PKbPfiPT4_PiiiibPKf
	.p2align	8
	.type	_ZN4vllm3moe10topkGatingILi8ELi128ELi4ELi16ELi64Ei14__hip_bfloat16LNS0_11ScoringFuncE1EEEvPKT5_PKbPfiPT4_PiiiibPKf,@function
_ZN4vllm3moe10topkGatingILi8ELi128ELi4ELi16ELi64Ei14__hip_bfloat16LNS0_11ScoringFuncE1EEEvPKT5_PKbPfiPT4_PiiiibPKf: ; @_ZN4vllm3moe10topkGatingILi8ELi128ELi4ELi16ELi64Ei14__hip_bfloat16LNS0_11ScoringFuncE1EEEvPKT5_PKbPfiPT4_PiiiibPKf
; %bb.0:
	s_load_dword s24, s[4:5], 0x18
	v_bfe_u32 v1, v0, 10, 10
	v_and_b32_e32 v0, 0x3ff, v0
	s_lshl_b32 s0, s6, 4
	v_lshlrev_b32_e32 v1, 2, v1
	v_lshrrev_b32_e32 v2, 4, v0
	v_add3_u32 v17, s0, v1, v2
	s_waitcnt lgkmcnt(0)
	v_cmp_gt_i32_e32 vcc, s24, v17
	s_and_saveexec_b64 s[0:1], vcc
	s_cbranch_execz .LBB324_38
; %bb.1:
	s_load_dwordx4 s[0:3], s[4:5], 0x0
	s_load_dwordx2 s[16:17], s[4:5], 0x10
	s_mov_b64 s[8:9], -1
	s_mov_b64 s[18:19], -1
	s_waitcnt lgkmcnt(0)
	s_cmp_eq_u64 s[2:3], 0
	s_cbranch_scc1 .LBB324_3
; %bb.2:
	v_ashrrev_i32_e32 v1, 31, v17
	v_mov_b32_e32 v3, s3
	v_add_co_u32_e32 v2, vcc, s2, v17
	v_addc_co_u32_e32 v3, vcc, v3, v1, vcc
	global_load_ubyte v1, v[2:3], off
	s_waitcnt vmcnt(0)
	v_and_b32_e32 v1, 1, v1
	v_cmp_eq_u32_e32 vcc, 1, v1
	s_xor_b64 s[2:3], vcc, -1
	s_orn2_b64 s[18:19], s[2:3], exec
.LBB324_3:
	v_lshlrev_b32_e32 v2, 7, v17
	v_ashrrev_i32_e32 v3, 31, v2
	v_lshlrev_b64 v[2:3], 1, v[2:3]
	v_mov_b32_e32 v1, s1
	v_add_co_u32_e32 v2, vcc, s0, v2
	v_and_b32_e32 v21, 15, v0
	v_addc_co_u32_e32 v1, vcc, v1, v3, vcc
	v_lshlrev_b32_e32 v0, 4, v21
	v_add_co_u32_e32 v0, vcc, v2, v0
	v_addc_co_u32_e32 v1, vcc, 0, v1, vcc
	global_load_dwordx4 v[0:3], v[0:1], off
	v_mov_b32_e32 v8, 0x207
	s_load_dwordx2 s[10:11], s[4:5], 0x40
	v_lshlrev_b32_e32 v22, 3, v21
	s_waitcnt lgkmcnt(0)
	s_cmp_eq_u64 s[10:11], 0
	s_waitcnt vmcnt(0)
	v_lshlrev_b32_e32 v4, 16, v0
	v_and_b32_e32 v0, 0xffff0000, v0
	v_lshlrev_b32_e32 v5, 16, v1
	v_and_b32_e32 v1, 0xffff0000, v1
	v_mul_f32_e32 v4, 0xbfb8aa3b, v4
	v_mul_f32_e32 v9, 0xbfb8aa3b, v0
	;; [unrolled: 1-line block ×3, first 2 shown]
	v_exp_f32_e32 v0, v4
	v_exp_f32_e32 v1, v9
	v_lshlrev_b32_e32 v6, 16, v2
	v_and_b32_e32 v2, 0xffff0000, v2
	v_lshlrev_b32_e32 v7, 16, v3
	v_and_b32_e32 v3, 0xffff0000, v3
	v_mul_f32_e32 v5, 0xbfb8aa3b, v5
	v_mul_f32_e32 v11, 0xbfb8aa3b, v2
	;; [unrolled: 1-line block ×3, first 2 shown]
	v_exp_f32_e32 v2, v5
	v_exp_f32_e32 v3, v10
	v_pk_add_f32 v[0:1], v[0:1], 1.0 op_sel_hi:[1,0]
	v_div_scale_f32 v9, s[0:1], v1, v1, 1.0
	v_rcp_f32_e32 v19, v9
	v_exp_f32_e32 v5, v11
	v_div_scale_f32 v11, s[0:1], v0, v0, 1.0
	v_pk_add_f32 v[2:3], v[2:3], 1.0 op_sel_hi:[1,0]
	v_rcp_f32_e32 v20, v11
	v_div_scale_f32 v13, s[2:3], v3, v3, 1.0
	v_rcp_f32_e32 v23, v13
	v_fma_f32 v26, -v9, v19, 1.0
	v_div_scale_f32 v10, vcc, 1.0, v1, 1.0
	v_div_scale_f32 v15, s[6:7], v2, v2, 1.0
	v_fmac_f32_e32 v19, v26, v19
	v_mul_f32_e32 v6, 0xbfb8aa3b, v6
	v_mul_f32_e32 v7, 0xbfb8aa3b, v7
	v_rcp_f32_e32 v24, v15
	v_fma_f32 v27, -v11, v20, 1.0
	v_mul_f32_e32 v26, v10, v19
	v_exp_f32_e32 v4, v6
	v_exp_f32_e32 v6, v7
	;; [unrolled: 1-line block ×3, first 2 shown]
	v_div_scale_f32 v12, s[0:1], 1.0, v0, 1.0
	v_fmac_f32_e32 v20, v27, v20
	v_fma_f32 v30, -v9, v26, v10
	v_fma_f32 v28, -v13, v23, 1.0
	v_mul_f32_e32 v27, v12, v20
	v_fmac_f32_e32 v26, v30, v19
	v_div_scale_f32 v14, s[2:3], 1.0, v3, 1.0
	v_fmac_f32_e32 v23, v28, v23
	v_fma_f32 v31, -v11, v27, v12
	v_fma_f32 v9, -v9, v26, v10
	v_fma_f32 v29, -v15, v24, 1.0
	v_mul_f32_e32 v28, v14, v23
	v_fmac_f32_e32 v27, v31, v20
	v_div_fmas_f32 v9, v9, v19, v26
	v_div_scale_f32 v16, s[6:7], 1.0, v2, 1.0
	v_fmac_f32_e32 v24, v29, v24
	v_fma_f32 v32, -v13, v28, v14
	v_fma_f32 v10, -v11, v27, v12
	v_div_fixup_f32 v1, v9, v1, 1.0
	s_mov_b64 vcc, s[0:1]
	v_pk_add_f32 v[4:5], v[4:5], 1.0 op_sel_hi:[1,0]
	v_mul_f32_e32 v29, v16, v24
	v_fmac_f32_e32 v28, v32, v23
	v_div_fmas_f32 v9, v10, v20, v27
	v_cmp_class_f32_e32 vcc, v1, v8
	v_div_scale_f32 v18, s[12:13], v5, v5, 1.0
	v_fma_f32 v33, -v15, v29, v16
	v_fma_f32 v11, -v13, v28, v14
	v_div_fixup_f32 v0, v9, v0, 1.0
	v_cndmask_b32_e64 v1, v1, 0, vcc
	s_mov_b64 vcc, s[2:3]
	v_rcp_f32_e32 v25, v18
	v_fmac_f32_e32 v29, v33, v24
	v_div_fmas_f32 v9, v11, v23, v28
	v_cmp_class_f32_e32 vcc, v0, v8
	v_fma_f32 v12, -v15, v29, v16
	v_cndmask_b32_e64 v0, v0, 0, vcc
	s_mov_b64 vcc, s[6:7]
	v_div_fixup_f32 v3, v9, v3, 1.0
	v_div_fmas_f32 v9, v12, v24, v29
	v_div_fixup_f32 v2, v9, v2, 1.0
	v_cmp_class_f32_e32 vcc, v3, v8
	v_cndmask_b32_e64 v3, v3, 0, vcc
	v_cmp_class_f32_e32 vcc, v2, v8
	v_fma_f32 v9, -v18, v25, 1.0
	v_cndmask_b32_e64 v2, v2, 0, vcc
	v_fmac_f32_e32 v25, v9, v25
	v_div_scale_f32 v9, vcc, 1.0, v5, 1.0
	v_mul_f32_e32 v10, v9, v25
	v_fma_f32 v11, -v18, v10, v9
	v_fmac_f32_e32 v10, v11, v25
	v_div_scale_f32 v11, s[0:1], v4, v4, 1.0
	v_rcp_f32_e32 v12, v11
	v_fma_f32 v9, -v18, v10, v9
	v_div_fmas_f32 v9, v9, v25, v10
	v_div_fixup_f32 v5, v9, v5, 1.0
	v_fma_f32 v9, -v11, v12, 1.0
	v_fmac_f32_e32 v12, v9, v12
	v_div_scale_f32 v9, vcc, 1.0, v4, 1.0
	v_mul_f32_e32 v10, v9, v12
	v_fma_f32 v13, -v11, v10, v9
	v_fmac_f32_e32 v10, v13, v12
	v_fma_f32 v9, -v11, v10, v9
	v_div_fmas_f32 v9, v9, v12, v10
	v_pk_add_f32 v[6:7], v[6:7], 1.0 op_sel_hi:[1,0]
	v_div_fixup_f32 v4, v9, v4, 1.0
	v_div_scale_f32 v9, s[0:1], v7, v7, 1.0
	v_rcp_f32_e32 v10, v9
	v_cmp_class_f32_e32 vcc, v5, v8
	v_cndmask_b32_e64 v5, v5, 0, vcc
	v_cmp_class_f32_e32 vcc, v4, v8
	v_fma_f32 v11, -v9, v10, 1.0
	v_cndmask_b32_e64 v4, v4, 0, vcc
	v_fmac_f32_e32 v10, v11, v10
	v_div_scale_f32 v11, vcc, 1.0, v7, 1.0
	v_mul_f32_e32 v12, v11, v10
	v_fma_f32 v13, -v9, v12, v11
	v_fmac_f32_e32 v12, v13, v10
	v_fma_f32 v9, -v9, v12, v11
	v_div_scale_f32 v11, s[0:1], v6, v6, 1.0
	v_rcp_f32_e32 v13, v11
	v_div_fmas_f32 v9, v9, v10, v12
	v_div_fixup_f32 v7, v9, v7, 1.0
	v_fma_f32 v9, -v11, v13, 1.0
	v_fmac_f32_e32 v13, v9, v13
	v_div_scale_f32 v9, vcc, 1.0, v6, 1.0
	v_mul_f32_e32 v10, v9, v13
	v_fma_f32 v12, -v11, v10, v9
	v_fmac_f32_e32 v10, v12, v13
	v_fma_f32 v9, -v11, v10, v9
	v_div_fmas_f32 v9, v9, v13, v10
	v_div_fixup_f32 v6, v9, v6, 1.0
	v_cmp_class_f32_e32 vcc, v7, v8
	v_cndmask_b32_e64 v7, v7, 0, vcc
	v_cmp_class_f32_e32 vcc, v6, v8
	v_cndmask_b32_e64 v6, v6, 0, vcc
	s_cbranch_scc1 .LBB324_27
; %bb.4:
	v_lshlrev_b32_e32 v16, 2, v22
	global_load_dwordx4 v[8:11], v16, s[10:11]
	global_load_dwordx4 v[12:15], v16, s[10:11] offset:16
	s_waitcnt vmcnt(1)
	v_pk_add_f32 v[8:9], v[8:9], v[0:1]
	v_pk_add_f32 v[10:11], v[10:11], v[2:3]
	s_waitcnt vmcnt(0)
	v_pk_add_f32 v[12:13], v[12:13], v[4:5]
	v_pk_add_f32 v[14:15], v[14:15], v[6:7]
	s_cbranch_execnz .LBB324_6
.LBB324_5:
	v_pk_mov_b32 v[14:15], v[6:7], v[6:7] op_sel:[0,1]
	v_pk_mov_b32 v[12:13], v[4:5], v[4:5] op_sel:[0,1]
	;; [unrolled: 1-line block ×4, first 2 shown]
.LBB324_6:
	s_load_dwordx4 s[8:11], s[4:5], 0x30
	s_mov_b32 s25, 0
	v_cmp_eq_u32_e64 s[0:1], 0, v21
	s_waitcnt lgkmcnt(0)
	s_bitcmp1_b32 s11, 0
	s_cselect_b64 vcc, -1, 0
	s_cmp_gt_i32 s8, 0
	s_cselect_b64 s[20:21], -1, 0
	s_cmp_lt_i32 s8, 1
	s_cbranch_scc1 .LBB324_28
; %bb.7:
	v_mbcnt_lo_u32_b32 v16, -1, 0
	v_mbcnt_hi_u32_b32 v16, -1, v16
	v_and_b32_e32 v18, 0x70, v16
	v_add_u32_e32 v18, 16, v18
	v_xor_b32_e32 v19, 8, v16
	v_cmp_lt_i32_e64 s[2:3], v19, v18
	v_cndmask_b32_e64 v19, v16, v19, s[2:3]
	v_lshlrev_b32_e32 v25, 2, v19
	v_xor_b32_e32 v19, 4, v16
	v_cmp_lt_i32_e64 s[2:3], v19, v18
	v_cndmask_b32_e64 v19, v16, v19, s[2:3]
	v_lshlrev_b32_e32 v26, 2, v19
	v_xor_b32_e32 v19, 2, v16
	v_cmp_lt_i32_e64 s[2:3], v19, v18
	s_load_dwordx4 s[12:15], s[4:5], 0x20
	v_cndmask_b32_e64 v19, v16, v19, s[2:3]
	v_lshlrev_b32_e32 v27, 2, v19
	v_xor_b32_e32 v19, 1, v16
	v_cmp_lt_i32_e64 s[2:3], v19, v18
	v_cndmask_b32_e64 v16, v16, v19, s[2:3]
	v_mul_lo_u32 v24, v17, s8
	v_lshlrev_b32_e32 v28, 2, v16
	v_mov_b32_e32 v23, 0
	v_mov_b32_e32 v29, 0x80
	;; [unrolled: 1-line block ×4, first 2 shown]
	s_branch .LBB324_10
.LBB324_8:                              ;   in Loop: Header=BB324_10 Depth=1
	s_or_b64 exec, exec, s[4:5]
.LBB324_9:                              ;   in Loop: Header=BB324_10 Depth=1
	s_cmp_eq_u32 s8, s25
	v_add_u32_e32 v31, s24, v31
	s_cbranch_scc1 .LBB324_29
.LBB324_10:                             ; =>This Inner Loop Header: Depth=1
	v_cmp_gt_f32_e64 s[2:3], v9, v8
	s_waitcnt lgkmcnt(0)
	v_cndmask_b32_e64 v19, v8, v9, s[2:3]
	v_cndmask_b32_e64 v16, 0, 1, s[2:3]
	v_cndmask_b32_e64 v18, v0, v1, s[2:3]
	v_cmp_gt_f32_e64 s[2:3], v10, v19
	v_cndmask_b32_e64 v19, v19, v10, s[2:3]
	v_cndmask_b32_e64 v16, v16, 2, s[2:3]
	v_cndmask_b32_e64 v18, v18, v2, s[2:3]
	v_cmp_gt_f32_e64 s[2:3], v11, v19
	;; [unrolled: 4-line block ×6, first 2 shown]
	v_cndmask_b32_e64 v16, v16, 7, s[2:3]
	v_cndmask_b32_e64 v32, v19, v15, s[2:3]
	v_or_b32_e32 v33, v22, v16
	v_cndmask_b32_e64 v16, v18, v7, s[2:3]
	ds_bpermute_b32 v35, v25, v32
	ds_bpermute_b32 v20, v25, v16
	;; [unrolled: 1-line block ×3, first 2 shown]
                                        ; implicit-def: $vgpr18_vgpr19
	s_waitcnt lgkmcnt(0)
	v_cmp_lt_f32_e64 s[6:7], v32, v35
	v_cmp_nlt_f32_e64 s[2:3], v32, v35
	s_and_saveexec_b64 s[22:23], s[2:3]
; %bb.11:                               ;   in Loop: Header=BB324_10 Depth=1
	v_cmp_eq_f32_e64 s[2:3], v32, v35
	v_cmp_lt_i32_e64 s[4:5], v34, v33
	s_and_b64 s[2:3], s[2:3], s[4:5]
	s_andn2_b64 s[4:5], s[6:7], exec
	s_and_b64 s[2:3], s[2:3], exec
	s_or_b64 s[6:7], s[4:5], s[2:3]
	v_pk_mov_b32 v[18:19], v[16:17], v[16:17] op_sel:[0,1]
; %bb.12:                               ;   in Loop: Header=BB324_10 Depth=1
	s_or_b64 exec, exec, s[22:23]
	s_and_saveexec_b64 s[2:3], s[6:7]
; %bb.13:                               ;   in Loop: Header=BB324_10 Depth=1
	v_mov_b32_e32 v32, v35
	v_mov_b32_e32 v16, v20
	;; [unrolled: 1-line block ×3, first 2 shown]
	v_pk_mov_b32 v[18:19], v[20:21], v[20:21] op_sel:[0,1]
; %bb.14:                               ;   in Loop: Header=BB324_10 Depth=1
	s_or_b64 exec, exec, s[2:3]
	ds_bpermute_b32 v34, v26, v32
	ds_bpermute_b32 v20, v26, v16
	;; [unrolled: 1-line block ×3, first 2 shown]
	s_waitcnt lgkmcnt(2)
	v_cmp_lt_f32_e64 s[6:7], v32, v34
	v_cmp_nlt_f32_e64 s[2:3], v32, v34
	s_and_saveexec_b64 s[22:23], s[2:3]
	s_cbranch_execz .LBB324_16
; %bb.15:                               ;   in Loop: Header=BB324_10 Depth=1
	v_cmp_eq_f32_e64 s[2:3], v32, v34
	s_waitcnt lgkmcnt(0)
	v_cmp_lt_i32_e64 s[4:5], v19, v33
	s_and_b64 s[2:3], s[2:3], s[4:5]
	s_andn2_b64 s[4:5], s[6:7], exec
	s_and_b64 s[2:3], s[2:3], exec
	s_or_b64 s[6:7], s[4:5], s[2:3]
.LBB324_16:                             ;   in Loop: Header=BB324_10 Depth=1
	s_or_b64 exec, exec, s[22:23]
	s_and_saveexec_b64 s[2:3], s[6:7]
	s_cbranch_execz .LBB324_18
; %bb.17:                               ;   in Loop: Header=BB324_10 Depth=1
	v_mov_b32_e32 v32, v34
	s_waitcnt lgkmcnt(1)
	v_mov_b32_e32 v16, v20
	s_waitcnt lgkmcnt(0)
	v_mov_b32_e32 v33, v19
	v_pk_mov_b32 v[18:19], v[20:21], v[20:21] op_sel:[0,1]
.LBB324_18:                             ;   in Loop: Header=BB324_10 Depth=1
	s_or_b64 exec, exec, s[2:3]
	ds_bpermute_b32 v34, v27, v32
	s_waitcnt lgkmcnt(2)
	ds_bpermute_b32 v20, v27, v16
	s_waitcnt lgkmcnt(2)
	;; [unrolled: 2-line block ×3, first 2 shown]
	v_cmp_lt_f32_e64 s[6:7], v32, v34
	v_cmp_nlt_f32_e64 s[2:3], v32, v34
	s_and_saveexec_b64 s[22:23], s[2:3]
	s_cbranch_execz .LBB324_20
; %bb.19:                               ;   in Loop: Header=BB324_10 Depth=1
	v_cmp_eq_f32_e64 s[2:3], v32, v34
	s_waitcnt lgkmcnt(0)
	v_cmp_lt_i32_e64 s[4:5], v19, v33
	s_and_b64 s[2:3], s[2:3], s[4:5]
	s_andn2_b64 s[4:5], s[6:7], exec
	s_and_b64 s[2:3], s[2:3], exec
	s_or_b64 s[6:7], s[4:5], s[2:3]
.LBB324_20:                             ;   in Loop: Header=BB324_10 Depth=1
	s_or_b64 exec, exec, s[22:23]
	s_and_saveexec_b64 s[2:3], s[6:7]
	s_cbranch_execz .LBB324_22
; %bb.21:                               ;   in Loop: Header=BB324_10 Depth=1
	v_mov_b32_e32 v32, v34
	s_waitcnt lgkmcnt(1)
	v_mov_b32_e32 v16, v20
	s_waitcnt lgkmcnt(0)
	v_mov_b32_e32 v33, v19
	v_pk_mov_b32 v[18:19], v[20:21], v[20:21] op_sel:[0,1]
.LBB324_22:                             ;   in Loop: Header=BB324_10 Depth=1
	s_or_b64 exec, exec, s[2:3]
	s_waitcnt lgkmcnt(1)
	ds_bpermute_b32 v20, v28, v32
	ds_bpermute_b32 v34, v28, v33
	s_waitcnt lgkmcnt(2)
	ds_bpermute_b32 v19, v28, v16
	s_waitcnt lgkmcnt(2)
	v_cmp_eq_f32_e64 s[4:5], v32, v20
	s_waitcnt lgkmcnt(1)
	v_cmp_lt_i32_e64 s[6:7], v34, v33
	v_cmp_lt_f32_e64 s[2:3], v32, v20
	s_and_b64 s[4:5], s[4:5], s[6:7]
	s_or_b64 s[2:3], s[2:3], s[4:5]
	v_cndmask_b32_e64 v16, v33, v34, s[2:3]
	s_and_saveexec_b64 s[6:7], s[0:1]
	s_cbranch_execnz .LBB324_24
; %bb.23:                               ;   in Loop: Header=BB324_10 Depth=1
	s_or_b64 exec, exec, s[6:7]
	s_add_i32 s25, s25, 1
	s_cmp_ge_i32 s25, s8
	s_cbranch_scc1 .LBB324_9
	s_branch .LBB324_25
.LBB324_24:                             ;   in Loop: Header=BB324_10 Depth=1
	s_waitcnt lgkmcnt(0)
	v_cndmask_b32_e64 v20, v18, v19, s[2:3]
	v_add_u32_e32 v18, s25, v24
	v_ashrrev_i32_e32 v19, 31, v18
	v_cmp_le_i32_e64 s[2:3], s9, v16
	v_cmp_gt_i32_e64 s[4:5], s10, v16
	v_lshlrev_b64 v[18:19], 2, v[18:19]
	s_and_b64 s[4:5], s[2:3], s[4:5]
	v_mov_b32_e32 v33, s17
	v_add_co_u32_e64 v32, s[2:3], s16, v18
	v_addc_co_u32_e64 v33, s[2:3], v33, v19, s[2:3]
	global_store_dword v[32:33], v20, off
	v_subrev_u32_e32 v32, s9, v16
	s_and_b64 s[2:3], s[18:19], s[4:5]
	v_cndmask_b32_e64 v34, v29, v32, s[2:3]
	v_mov_b32_e32 v33, s13
	v_add_co_u32_e64 v32, s[2:3], s12, v18
	v_addc_co_u32_e64 v33, s[2:3], v33, v19, s[2:3]
	global_store_dword v[32:33], v34, off
	v_mov_b32_e32 v32, s15
	v_add_co_u32_e64 v18, s[2:3], s14, v18
	v_addc_co_u32_e64 v19, s[2:3], v32, v19, s[2:3]
	global_store_dword v[18:19], v31, off
	v_add_f32_e32 v18, v23, v20
	v_cndmask_b32_e32 v23, v23, v18, vcc
	s_or_b64 exec, exec, s[6:7]
	s_add_i32 s25, s25, 1
	s_cmp_ge_i32 s25, s8
	s_cbranch_scc1 .LBB324_9
.LBB324_25:                             ;   in Loop: Header=BB324_10 Depth=1
	s_waitcnt lgkmcnt(0)
	v_ashrrev_i32_e32 v19, 31, v16
	v_lshrrev_b32_e32 v18, 29, v19
	v_add_u32_e32 v18, v16, v18
	v_ashrrev_i32_e32 v18, 3, v18
	v_lshrrev_b32_e32 v20, 28, v18
	v_add_u32_e32 v20, v18, v20
	v_and_b32_e32 v20, -16, v20
	v_sub_u32_e32 v20, v18, v20
	v_cmp_eq_u32_e64 s[2:3], v21, v20
	s_and_saveexec_b64 s[4:5], s[2:3]
	s_cbranch_execz .LBB324_8
; %bb.26:                               ;   in Loop: Header=BB324_10 Depth=1
	v_lshrrev_b32_e32 v19, 25, v19
	v_add_u32_e32 v19, v16, v19
	v_lshlrev_b32_e32 v18, 3, v18
	v_ashrrev_i32_e32 v19, 7, v19
	v_sub_u32_e32 v16, v16, v18
	v_lshl_add_u32 v16, v19, 3, v16
	v_cmp_ne_u32_e64 s[2:3], 7, v16
	v_cndmask_b32_e64 v15, v30, v15, s[2:3]
	v_cmp_ne_u32_e64 s[2:3], 6, v16
	v_cndmask_b32_e64 v14, v30, v14, s[2:3]
	;; [unrolled: 2-line block ×8, first 2 shown]
	s_branch .LBB324_8
.LBB324_27:
                                        ; implicit-def: $vgpr8_vgpr9_vgpr10_vgpr11_vgpr12_vgpr13_vgpr14_vgpr15
	s_andn2_b64 vcc, exec, s[8:9]
	s_cbranch_vccz .LBB324_5
	s_branch .LBB324_6
.LBB324_28:
	v_mov_b32_e32 v23, 0
.LBB324_29:
	v_cmp_eq_u32_e64 s[0:1], 0, v21
	s_and_b64 s[0:1], s[0:1], vcc
	s_and_b64 exec, exec, s[0:1]
	s_cbranch_execz .LBB324_38
; %bb.30:
	s_andn2_b64 vcc, exec, s[20:21]
	s_cbranch_vccnz .LBB324_38
; %bb.31:
	v_cmp_lt_f32_e32 vcc, 0, v23
	s_mov_b32 s2, 0
	v_cndmask_b32_e32 v0, 1.0, v23, vcc
	v_mul_lo_u32 v4, v17, s8
	s_cmp_eq_u32 s8, 1
	s_mov_b64 s[0:1], -1
	s_cbranch_scc1 .LBB324_35
; %bb.32:
	s_and_b32 s2, s8, 0x7ffffffe
	v_mov_b32_e32 v1, v0
	v_mov_b32_e32 v5, s17
	s_mov_b32 s3, s2
	v_mov_b32_e32 v2, v4
.LBB324_33:                             ; =>This Inner Loop Header: Depth=1
	v_ashrrev_i32_e32 v3, 31, v2
	v_lshlrev_b64 v[6:7], 2, v[2:3]
	v_add_co_u32_e32 v6, vcc, s16, v6
	v_addc_co_u32_e32 v7, vcc, v5, v7, vcc
	global_load_dwordx2 v[8:9], v[6:7], off
	s_add_i32 s3, s3, -2
	s_cmp_lg_u32 s3, 0
	v_add_u32_e32 v2, 2, v2
	s_waitcnt vmcnt(0)
	v_div_scale_f32 v3, s[0:1], v1, v1, v9
	v_div_scale_f32 v11, s[0:1], v0, v0, v8
	v_rcp_f32_e32 v12, v3
	v_rcp_f32_e32 v13, v11
	v_div_scale_f32 v10, vcc, v9, v1, v9
	v_fma_f32 v15, -v3, v12, 1.0
	v_fma_f32 v16, -v11, v13, 1.0
	v_fmac_f32_e32 v12, v15, v12
	v_div_scale_f32 v14, s[0:1], v8, v0, v8
	v_fmac_f32_e32 v13, v16, v13
	v_mul_f32_e32 v15, v10, v12
	v_mul_f32_e32 v16, v14, v13
	v_fma_f32 v17, -v3, v15, v10
	v_fma_f32 v18, -v11, v16, v14
	v_fmac_f32_e32 v15, v17, v12
	v_fmac_f32_e32 v16, v18, v13
	v_fma_f32 v3, -v3, v15, v10
	v_fma_f32 v10, -v11, v16, v14
	v_div_fmas_f32 v3, v3, v12, v15
	s_mov_b64 vcc, s[0:1]
	v_div_fixup_f32 v9, v3, v1, v9
	v_div_fmas_f32 v3, v10, v13, v16
	v_div_fixup_f32 v8, v3, v0, v8
	global_store_dwordx2 v[6:7], v[8:9], off
	s_cbranch_scc1 .LBB324_33
; %bb.34:
	s_cmp_lg_u32 s2, s8
	s_cselect_b64 s[0:1], -1, 0
.LBB324_35:
	s_and_b64 vcc, exec, s[0:1]
	s_cbranch_vccz .LBB324_38
; %bb.36:
	v_ashrrev_i32_e32 v1, 31, v4
	v_add_co_u32_e32 v2, vcc, s2, v4
	v_addc_co_u32_e32 v3, vcc, 0, v1, vcc
	v_lshlrev_b64 v[2:3], 2, v[2:3]
	v_mov_b32_e32 v1, s17
	v_add_co_u32_e32 v2, vcc, s16, v2
	s_sub_i32 s0, s8, s2
	v_addc_co_u32_e32 v3, vcc, v1, v3, vcc
.LBB324_37:                             ; =>This Inner Loop Header: Depth=1
	global_load_dword v1, v[2:3], off
	s_add_i32 s0, s0, -1
	s_cmp_lg_u32 s0, 0
	s_waitcnt vmcnt(0)
	v_div_scale_f32 v4, s[2:3], v0, v0, v1
	v_rcp_f32_e32 v5, v4
	v_div_scale_f32 v6, vcc, v1, v0, v1
	v_fma_f32 v7, -v4, v5, 1.0
	v_fmac_f32_e32 v5, v7, v5
	v_mul_f32_e32 v7, v6, v5
	v_fma_f32 v8, -v4, v7, v6
	v_fmac_f32_e32 v7, v8, v5
	v_fma_f32 v4, -v4, v7, v6
	v_div_fmas_f32 v4, v4, v5, v7
	v_div_fixup_f32 v1, v4, v0, v1
	global_store_dword v[2:3], v1, off
	v_add_co_u32_e32 v2, vcc, 4, v2
	v_addc_co_u32_e32 v3, vcc, 0, v3, vcc
	s_cbranch_scc1 .LBB324_37
.LBB324_38:
	s_endpgm
	.section	.rodata,"a",@progbits
	.p2align	6, 0x0
	.amdhsa_kernel _ZN4vllm3moe10topkGatingILi8ELi128ELi4ELi16ELi64Ei14__hip_bfloat16LNS0_11ScoringFuncE1EEEvPKT5_PKbPfiPT4_PiiiibPKf
		.amdhsa_group_segment_fixed_size 0
		.amdhsa_private_segment_fixed_size 0
		.amdhsa_kernarg_size 72
		.amdhsa_user_sgpr_count 6
		.amdhsa_user_sgpr_private_segment_buffer 1
		.amdhsa_user_sgpr_dispatch_ptr 0
		.amdhsa_user_sgpr_queue_ptr 0
		.amdhsa_user_sgpr_kernarg_segment_ptr 1
		.amdhsa_user_sgpr_dispatch_id 0
		.amdhsa_user_sgpr_flat_scratch_init 0
		.amdhsa_user_sgpr_kernarg_preload_length 0
		.amdhsa_user_sgpr_kernarg_preload_offset 0
		.amdhsa_user_sgpr_private_segment_size 0
		.amdhsa_uses_dynamic_stack 0
		.amdhsa_system_sgpr_private_segment_wavefront_offset 0
		.amdhsa_system_sgpr_workgroup_id_x 1
		.amdhsa_system_sgpr_workgroup_id_y 0
		.amdhsa_system_sgpr_workgroup_id_z 0
		.amdhsa_system_sgpr_workgroup_info 0
		.amdhsa_system_vgpr_workitem_id 1
		.amdhsa_next_free_vgpr 36
		.amdhsa_next_free_sgpr 26
		.amdhsa_accum_offset 36
		.amdhsa_reserve_vcc 1
		.amdhsa_reserve_flat_scratch 0
		.amdhsa_float_round_mode_32 0
		.amdhsa_float_round_mode_16_64 0
		.amdhsa_float_denorm_mode_32 3
		.amdhsa_float_denorm_mode_16_64 3
		.amdhsa_dx10_clamp 1
		.amdhsa_ieee_mode 1
		.amdhsa_fp16_overflow 0
		.amdhsa_tg_split 0
		.amdhsa_exception_fp_ieee_invalid_op 0
		.amdhsa_exception_fp_denorm_src 0
		.amdhsa_exception_fp_ieee_div_zero 0
		.amdhsa_exception_fp_ieee_overflow 0
		.amdhsa_exception_fp_ieee_underflow 0
		.amdhsa_exception_fp_ieee_inexact 0
		.amdhsa_exception_int_div_zero 0
	.end_amdhsa_kernel
	.section	.text._ZN4vllm3moe10topkGatingILi8ELi128ELi4ELi16ELi64Ei14__hip_bfloat16LNS0_11ScoringFuncE1EEEvPKT5_PKbPfiPT4_PiiiibPKf,"axG",@progbits,_ZN4vllm3moe10topkGatingILi8ELi128ELi4ELi16ELi64Ei14__hip_bfloat16LNS0_11ScoringFuncE1EEEvPKT5_PKbPfiPT4_PiiiibPKf,comdat
.Lfunc_end324:
	.size	_ZN4vllm3moe10topkGatingILi8ELi128ELi4ELi16ELi64Ei14__hip_bfloat16LNS0_11ScoringFuncE1EEEvPKT5_PKbPfiPT4_PiiiibPKf, .Lfunc_end324-_ZN4vllm3moe10topkGatingILi8ELi128ELi4ELi16ELi64Ei14__hip_bfloat16LNS0_11ScoringFuncE1EEEvPKT5_PKbPfiPT4_PiiiibPKf
                                        ; -- End function
	.section	.AMDGPU.csdata,"",@progbits
; Kernel info:
; codeLenInByte = 3004
; NumSgprs: 30
; NumVgprs: 36
; NumAgprs: 0
; TotalNumVgprs: 36
; ScratchSize: 0
; MemoryBound: 0
; FloatMode: 240
; IeeeMode: 1
; LDSByteSize: 0 bytes/workgroup (compile time only)
; SGPRBlocks: 3
; VGPRBlocks: 4
; NumSGPRsForWavesPerEU: 30
; NumVGPRsForWavesPerEU: 36
; AccumOffset: 36
; Occupancy: 8
; WaveLimiterHint : 0
; COMPUTE_PGM_RSRC2:SCRATCH_EN: 0
; COMPUTE_PGM_RSRC2:USER_SGPR: 6
; COMPUTE_PGM_RSRC2:TRAP_HANDLER: 0
; COMPUTE_PGM_RSRC2:TGID_X_EN: 1
; COMPUTE_PGM_RSRC2:TGID_Y_EN: 0
; COMPUTE_PGM_RSRC2:TGID_Z_EN: 0
; COMPUTE_PGM_RSRC2:TIDIG_COMP_CNT: 1
; COMPUTE_PGM_RSRC3_GFX90A:ACCUM_OFFSET: 8
; COMPUTE_PGM_RSRC3_GFX90A:TG_SPLIT: 0
	.section	.text._ZN4vllm3moe10topkGatingILi8ELi128ELi4ELi16ELi32Ei14__hip_bfloat16LNS0_11ScoringFuncE1EEEvPKT5_PKbPfiPT4_PiiiibPKf,"axG",@progbits,_ZN4vllm3moe10topkGatingILi8ELi128ELi4ELi16ELi32Ei14__hip_bfloat16LNS0_11ScoringFuncE1EEEvPKT5_PKbPfiPT4_PiiiibPKf,comdat
	.protected	_ZN4vllm3moe10topkGatingILi8ELi128ELi4ELi16ELi32Ei14__hip_bfloat16LNS0_11ScoringFuncE1EEEvPKT5_PKbPfiPT4_PiiiibPKf ; -- Begin function _ZN4vllm3moe10topkGatingILi8ELi128ELi4ELi16ELi32Ei14__hip_bfloat16LNS0_11ScoringFuncE1EEEvPKT5_PKbPfiPT4_PiiiibPKf
	.globl	_ZN4vllm3moe10topkGatingILi8ELi128ELi4ELi16ELi32Ei14__hip_bfloat16LNS0_11ScoringFuncE1EEEvPKT5_PKbPfiPT4_PiiiibPKf
	.p2align	8
	.type	_ZN4vllm3moe10topkGatingILi8ELi128ELi4ELi16ELi32Ei14__hip_bfloat16LNS0_11ScoringFuncE1EEEvPKT5_PKbPfiPT4_PiiiibPKf,@function
_ZN4vllm3moe10topkGatingILi8ELi128ELi4ELi16ELi32Ei14__hip_bfloat16LNS0_11ScoringFuncE1EEEvPKT5_PKbPfiPT4_PiiiibPKf: ; @_ZN4vllm3moe10topkGatingILi8ELi128ELi4ELi16ELi32Ei14__hip_bfloat16LNS0_11ScoringFuncE1EEEvPKT5_PKbPfiPT4_PiiiibPKf
; %bb.0:
	s_load_dword s24, s[4:5], 0x18
	v_bfe_u32 v1, v0, 10, 10
	v_and_b32_e32 v0, 0x3ff, v0
	s_lshl_b32 s0, s6, 3
	v_lshlrev_b32_e32 v1, 1, v1
	v_lshrrev_b32_e32 v2, 4, v0
	v_add3_u32 v17, s0, v1, v2
	s_waitcnt lgkmcnt(0)
	v_cmp_gt_i32_e32 vcc, s24, v17
	s_and_saveexec_b64 s[0:1], vcc
	s_cbranch_execz .LBB325_38
; %bb.1:
	s_load_dwordx4 s[0:3], s[4:5], 0x0
	s_load_dwordx2 s[16:17], s[4:5], 0x10
	s_mov_b64 s[8:9], -1
	s_mov_b64 s[18:19], -1
	s_waitcnt lgkmcnt(0)
	s_cmp_eq_u64 s[2:3], 0
	s_cbranch_scc1 .LBB325_3
; %bb.2:
	v_ashrrev_i32_e32 v1, 31, v17
	v_mov_b32_e32 v3, s3
	v_add_co_u32_e32 v2, vcc, s2, v17
	v_addc_co_u32_e32 v3, vcc, v3, v1, vcc
	global_load_ubyte v1, v[2:3], off
	s_waitcnt vmcnt(0)
	v_and_b32_e32 v1, 1, v1
	v_cmp_eq_u32_e32 vcc, 1, v1
	s_xor_b64 s[2:3], vcc, -1
	s_orn2_b64 s[18:19], s[2:3], exec
.LBB325_3:
	v_lshlrev_b32_e32 v2, 7, v17
	v_ashrrev_i32_e32 v3, 31, v2
	v_lshlrev_b64 v[2:3], 1, v[2:3]
	v_mov_b32_e32 v1, s1
	v_add_co_u32_e32 v2, vcc, s0, v2
	v_and_b32_e32 v21, 15, v0
	v_addc_co_u32_e32 v1, vcc, v1, v3, vcc
	v_lshlrev_b32_e32 v0, 4, v21
	v_add_co_u32_e32 v0, vcc, v2, v0
	v_addc_co_u32_e32 v1, vcc, 0, v1, vcc
	global_load_dwordx4 v[0:3], v[0:1], off
	v_mov_b32_e32 v8, 0x207
	s_load_dwordx2 s[10:11], s[4:5], 0x40
	v_lshlrev_b32_e32 v22, 3, v21
	s_waitcnt lgkmcnt(0)
	s_cmp_eq_u64 s[10:11], 0
	s_waitcnt vmcnt(0)
	v_lshlrev_b32_e32 v4, 16, v0
	v_and_b32_e32 v0, 0xffff0000, v0
	v_lshlrev_b32_e32 v5, 16, v1
	v_and_b32_e32 v1, 0xffff0000, v1
	v_mul_f32_e32 v4, 0xbfb8aa3b, v4
	v_mul_f32_e32 v9, 0xbfb8aa3b, v0
	;; [unrolled: 1-line block ×3, first 2 shown]
	v_exp_f32_e32 v0, v4
	v_exp_f32_e32 v1, v9
	v_lshlrev_b32_e32 v6, 16, v2
	v_and_b32_e32 v2, 0xffff0000, v2
	v_lshlrev_b32_e32 v7, 16, v3
	v_and_b32_e32 v3, 0xffff0000, v3
	v_mul_f32_e32 v5, 0xbfb8aa3b, v5
	v_mul_f32_e32 v11, 0xbfb8aa3b, v2
	v_mul_f32_e32 v12, 0xbfb8aa3b, v3
	v_exp_f32_e32 v2, v5
	v_exp_f32_e32 v3, v10
	v_pk_add_f32 v[0:1], v[0:1], 1.0 op_sel_hi:[1,0]
	v_div_scale_f32 v9, s[0:1], v1, v1, 1.0
	v_rcp_f32_e32 v19, v9
	v_exp_f32_e32 v5, v11
	v_div_scale_f32 v11, s[0:1], v0, v0, 1.0
	v_pk_add_f32 v[2:3], v[2:3], 1.0 op_sel_hi:[1,0]
	v_rcp_f32_e32 v20, v11
	v_div_scale_f32 v13, s[2:3], v3, v3, 1.0
	v_rcp_f32_e32 v23, v13
	v_fma_f32 v26, -v9, v19, 1.0
	v_div_scale_f32 v10, vcc, 1.0, v1, 1.0
	v_div_scale_f32 v15, s[6:7], v2, v2, 1.0
	v_fmac_f32_e32 v19, v26, v19
	v_mul_f32_e32 v6, 0xbfb8aa3b, v6
	v_mul_f32_e32 v7, 0xbfb8aa3b, v7
	v_rcp_f32_e32 v24, v15
	v_fma_f32 v27, -v11, v20, 1.0
	v_mul_f32_e32 v26, v10, v19
	v_exp_f32_e32 v4, v6
	v_exp_f32_e32 v6, v7
	;; [unrolled: 1-line block ×3, first 2 shown]
	v_div_scale_f32 v12, s[0:1], 1.0, v0, 1.0
	v_fmac_f32_e32 v20, v27, v20
	v_fma_f32 v30, -v9, v26, v10
	v_fma_f32 v28, -v13, v23, 1.0
	v_mul_f32_e32 v27, v12, v20
	v_fmac_f32_e32 v26, v30, v19
	v_div_scale_f32 v14, s[2:3], 1.0, v3, 1.0
	v_fmac_f32_e32 v23, v28, v23
	v_fma_f32 v31, -v11, v27, v12
	v_fma_f32 v9, -v9, v26, v10
	v_fma_f32 v29, -v15, v24, 1.0
	v_mul_f32_e32 v28, v14, v23
	v_fmac_f32_e32 v27, v31, v20
	v_div_fmas_f32 v9, v9, v19, v26
	v_div_scale_f32 v16, s[6:7], 1.0, v2, 1.0
	v_fmac_f32_e32 v24, v29, v24
	v_fma_f32 v32, -v13, v28, v14
	v_fma_f32 v10, -v11, v27, v12
	v_div_fixup_f32 v1, v9, v1, 1.0
	s_mov_b64 vcc, s[0:1]
	v_pk_add_f32 v[4:5], v[4:5], 1.0 op_sel_hi:[1,0]
	v_mul_f32_e32 v29, v16, v24
	v_fmac_f32_e32 v28, v32, v23
	v_div_fmas_f32 v9, v10, v20, v27
	v_cmp_class_f32_e32 vcc, v1, v8
	v_div_scale_f32 v18, s[12:13], v5, v5, 1.0
	v_fma_f32 v33, -v15, v29, v16
	v_fma_f32 v11, -v13, v28, v14
	v_div_fixup_f32 v0, v9, v0, 1.0
	v_cndmask_b32_e64 v1, v1, 0, vcc
	s_mov_b64 vcc, s[2:3]
	v_rcp_f32_e32 v25, v18
	v_fmac_f32_e32 v29, v33, v24
	v_div_fmas_f32 v9, v11, v23, v28
	v_cmp_class_f32_e32 vcc, v0, v8
	v_fma_f32 v12, -v15, v29, v16
	v_cndmask_b32_e64 v0, v0, 0, vcc
	s_mov_b64 vcc, s[6:7]
	v_div_fixup_f32 v3, v9, v3, 1.0
	v_div_fmas_f32 v9, v12, v24, v29
	v_div_fixup_f32 v2, v9, v2, 1.0
	v_cmp_class_f32_e32 vcc, v3, v8
	v_cndmask_b32_e64 v3, v3, 0, vcc
	v_cmp_class_f32_e32 vcc, v2, v8
	v_fma_f32 v9, -v18, v25, 1.0
	v_cndmask_b32_e64 v2, v2, 0, vcc
	v_fmac_f32_e32 v25, v9, v25
	v_div_scale_f32 v9, vcc, 1.0, v5, 1.0
	v_mul_f32_e32 v10, v9, v25
	v_fma_f32 v11, -v18, v10, v9
	v_fmac_f32_e32 v10, v11, v25
	v_div_scale_f32 v11, s[0:1], v4, v4, 1.0
	v_rcp_f32_e32 v12, v11
	v_fma_f32 v9, -v18, v10, v9
	v_div_fmas_f32 v9, v9, v25, v10
	v_div_fixup_f32 v5, v9, v5, 1.0
	v_fma_f32 v9, -v11, v12, 1.0
	v_fmac_f32_e32 v12, v9, v12
	v_div_scale_f32 v9, vcc, 1.0, v4, 1.0
	v_mul_f32_e32 v10, v9, v12
	v_fma_f32 v13, -v11, v10, v9
	v_fmac_f32_e32 v10, v13, v12
	v_fma_f32 v9, -v11, v10, v9
	v_div_fmas_f32 v9, v9, v12, v10
	v_pk_add_f32 v[6:7], v[6:7], 1.0 op_sel_hi:[1,0]
	v_div_fixup_f32 v4, v9, v4, 1.0
	v_div_scale_f32 v9, s[0:1], v7, v7, 1.0
	v_rcp_f32_e32 v10, v9
	v_cmp_class_f32_e32 vcc, v5, v8
	v_cndmask_b32_e64 v5, v5, 0, vcc
	v_cmp_class_f32_e32 vcc, v4, v8
	v_fma_f32 v11, -v9, v10, 1.0
	v_cndmask_b32_e64 v4, v4, 0, vcc
	v_fmac_f32_e32 v10, v11, v10
	v_div_scale_f32 v11, vcc, 1.0, v7, 1.0
	v_mul_f32_e32 v12, v11, v10
	v_fma_f32 v13, -v9, v12, v11
	v_fmac_f32_e32 v12, v13, v10
	v_fma_f32 v9, -v9, v12, v11
	v_div_scale_f32 v11, s[0:1], v6, v6, 1.0
	v_rcp_f32_e32 v13, v11
	v_div_fmas_f32 v9, v9, v10, v12
	v_div_fixup_f32 v7, v9, v7, 1.0
	v_fma_f32 v9, -v11, v13, 1.0
	v_fmac_f32_e32 v13, v9, v13
	v_div_scale_f32 v9, vcc, 1.0, v6, 1.0
	v_mul_f32_e32 v10, v9, v13
	v_fma_f32 v12, -v11, v10, v9
	v_fmac_f32_e32 v10, v12, v13
	v_fma_f32 v9, -v11, v10, v9
	v_div_fmas_f32 v9, v9, v13, v10
	v_div_fixup_f32 v6, v9, v6, 1.0
	v_cmp_class_f32_e32 vcc, v7, v8
	v_cndmask_b32_e64 v7, v7, 0, vcc
	v_cmp_class_f32_e32 vcc, v6, v8
	v_cndmask_b32_e64 v6, v6, 0, vcc
	s_cbranch_scc1 .LBB325_27
; %bb.4:
	v_lshlrev_b32_e32 v16, 2, v22
	global_load_dwordx4 v[8:11], v16, s[10:11]
	global_load_dwordx4 v[12:15], v16, s[10:11] offset:16
	s_waitcnt vmcnt(1)
	v_pk_add_f32 v[8:9], v[8:9], v[0:1]
	v_pk_add_f32 v[10:11], v[10:11], v[2:3]
	s_waitcnt vmcnt(0)
	v_pk_add_f32 v[12:13], v[12:13], v[4:5]
	v_pk_add_f32 v[14:15], v[14:15], v[6:7]
	s_cbranch_execnz .LBB325_6
.LBB325_5:
	v_pk_mov_b32 v[14:15], v[6:7], v[6:7] op_sel:[0,1]
	v_pk_mov_b32 v[12:13], v[4:5], v[4:5] op_sel:[0,1]
	;; [unrolled: 1-line block ×4, first 2 shown]
.LBB325_6:
	s_load_dwordx4 s[8:11], s[4:5], 0x30
	s_mov_b32 s25, 0
	v_cmp_eq_u32_e64 s[0:1], 0, v21
	s_waitcnt lgkmcnt(0)
	s_bitcmp1_b32 s11, 0
	s_cselect_b64 vcc, -1, 0
	s_cmp_gt_i32 s8, 0
	s_cselect_b64 s[20:21], -1, 0
	s_cmp_lt_i32 s8, 1
	s_cbranch_scc1 .LBB325_28
; %bb.7:
	v_mbcnt_lo_u32_b32 v16, -1, 0
	v_mbcnt_hi_u32_b32 v16, -1, v16
	v_and_b32_e32 v18, 0x70, v16
	v_add_u32_e32 v18, 16, v18
	v_xor_b32_e32 v19, 8, v16
	v_cmp_lt_i32_e64 s[2:3], v19, v18
	v_cndmask_b32_e64 v19, v16, v19, s[2:3]
	v_lshlrev_b32_e32 v25, 2, v19
	v_xor_b32_e32 v19, 4, v16
	v_cmp_lt_i32_e64 s[2:3], v19, v18
	v_cndmask_b32_e64 v19, v16, v19, s[2:3]
	v_lshlrev_b32_e32 v26, 2, v19
	v_xor_b32_e32 v19, 2, v16
	v_cmp_lt_i32_e64 s[2:3], v19, v18
	s_load_dwordx4 s[12:15], s[4:5], 0x20
	v_cndmask_b32_e64 v19, v16, v19, s[2:3]
	v_lshlrev_b32_e32 v27, 2, v19
	v_xor_b32_e32 v19, 1, v16
	v_cmp_lt_i32_e64 s[2:3], v19, v18
	v_cndmask_b32_e64 v16, v16, v19, s[2:3]
	v_mul_lo_u32 v24, v17, s8
	v_lshlrev_b32_e32 v28, 2, v16
	v_mov_b32_e32 v23, 0
	v_mov_b32_e32 v29, 0x80
	;; [unrolled: 1-line block ×4, first 2 shown]
	s_branch .LBB325_10
.LBB325_8:                              ;   in Loop: Header=BB325_10 Depth=1
	s_or_b64 exec, exec, s[4:5]
.LBB325_9:                              ;   in Loop: Header=BB325_10 Depth=1
	s_cmp_eq_u32 s8, s25
	v_add_u32_e32 v31, s24, v31
	s_cbranch_scc1 .LBB325_29
.LBB325_10:                             ; =>This Inner Loop Header: Depth=1
	v_cmp_gt_f32_e64 s[2:3], v9, v8
	s_waitcnt lgkmcnt(0)
	v_cndmask_b32_e64 v19, v8, v9, s[2:3]
	v_cndmask_b32_e64 v16, 0, 1, s[2:3]
	v_cndmask_b32_e64 v18, v0, v1, s[2:3]
	v_cmp_gt_f32_e64 s[2:3], v10, v19
	v_cndmask_b32_e64 v19, v19, v10, s[2:3]
	v_cndmask_b32_e64 v16, v16, 2, s[2:3]
	v_cndmask_b32_e64 v18, v18, v2, s[2:3]
	v_cmp_gt_f32_e64 s[2:3], v11, v19
	;; [unrolled: 4-line block ×6, first 2 shown]
	v_cndmask_b32_e64 v16, v16, 7, s[2:3]
	v_cndmask_b32_e64 v32, v19, v15, s[2:3]
	v_or_b32_e32 v33, v22, v16
	v_cndmask_b32_e64 v16, v18, v7, s[2:3]
	ds_bpermute_b32 v35, v25, v32
	ds_bpermute_b32 v20, v25, v16
	;; [unrolled: 1-line block ×3, first 2 shown]
                                        ; implicit-def: $vgpr18_vgpr19
	s_waitcnt lgkmcnt(0)
	v_cmp_lt_f32_e64 s[6:7], v32, v35
	v_cmp_nlt_f32_e64 s[2:3], v32, v35
	s_and_saveexec_b64 s[22:23], s[2:3]
; %bb.11:                               ;   in Loop: Header=BB325_10 Depth=1
	v_cmp_eq_f32_e64 s[2:3], v32, v35
	v_cmp_lt_i32_e64 s[4:5], v34, v33
	s_and_b64 s[2:3], s[2:3], s[4:5]
	s_andn2_b64 s[4:5], s[6:7], exec
	s_and_b64 s[2:3], s[2:3], exec
	s_or_b64 s[6:7], s[4:5], s[2:3]
	v_pk_mov_b32 v[18:19], v[16:17], v[16:17] op_sel:[0,1]
; %bb.12:                               ;   in Loop: Header=BB325_10 Depth=1
	s_or_b64 exec, exec, s[22:23]
	s_and_saveexec_b64 s[2:3], s[6:7]
; %bb.13:                               ;   in Loop: Header=BB325_10 Depth=1
	v_mov_b32_e32 v32, v35
	v_mov_b32_e32 v16, v20
	;; [unrolled: 1-line block ×3, first 2 shown]
	v_pk_mov_b32 v[18:19], v[20:21], v[20:21] op_sel:[0,1]
; %bb.14:                               ;   in Loop: Header=BB325_10 Depth=1
	s_or_b64 exec, exec, s[2:3]
	ds_bpermute_b32 v34, v26, v32
	ds_bpermute_b32 v20, v26, v16
	;; [unrolled: 1-line block ×3, first 2 shown]
	s_waitcnt lgkmcnt(2)
	v_cmp_lt_f32_e64 s[6:7], v32, v34
	v_cmp_nlt_f32_e64 s[2:3], v32, v34
	s_and_saveexec_b64 s[22:23], s[2:3]
	s_cbranch_execz .LBB325_16
; %bb.15:                               ;   in Loop: Header=BB325_10 Depth=1
	v_cmp_eq_f32_e64 s[2:3], v32, v34
	s_waitcnt lgkmcnt(0)
	v_cmp_lt_i32_e64 s[4:5], v19, v33
	s_and_b64 s[2:3], s[2:3], s[4:5]
	s_andn2_b64 s[4:5], s[6:7], exec
	s_and_b64 s[2:3], s[2:3], exec
	s_or_b64 s[6:7], s[4:5], s[2:3]
.LBB325_16:                             ;   in Loop: Header=BB325_10 Depth=1
	s_or_b64 exec, exec, s[22:23]
	s_and_saveexec_b64 s[2:3], s[6:7]
	s_cbranch_execz .LBB325_18
; %bb.17:                               ;   in Loop: Header=BB325_10 Depth=1
	v_mov_b32_e32 v32, v34
	s_waitcnt lgkmcnt(1)
	v_mov_b32_e32 v16, v20
	s_waitcnt lgkmcnt(0)
	v_mov_b32_e32 v33, v19
	v_pk_mov_b32 v[18:19], v[20:21], v[20:21] op_sel:[0,1]
.LBB325_18:                             ;   in Loop: Header=BB325_10 Depth=1
	s_or_b64 exec, exec, s[2:3]
	ds_bpermute_b32 v34, v27, v32
	s_waitcnt lgkmcnt(2)
	ds_bpermute_b32 v20, v27, v16
	s_waitcnt lgkmcnt(2)
	;; [unrolled: 2-line block ×3, first 2 shown]
	v_cmp_lt_f32_e64 s[6:7], v32, v34
	v_cmp_nlt_f32_e64 s[2:3], v32, v34
	s_and_saveexec_b64 s[22:23], s[2:3]
	s_cbranch_execz .LBB325_20
; %bb.19:                               ;   in Loop: Header=BB325_10 Depth=1
	v_cmp_eq_f32_e64 s[2:3], v32, v34
	s_waitcnt lgkmcnt(0)
	v_cmp_lt_i32_e64 s[4:5], v19, v33
	s_and_b64 s[2:3], s[2:3], s[4:5]
	s_andn2_b64 s[4:5], s[6:7], exec
	s_and_b64 s[2:3], s[2:3], exec
	s_or_b64 s[6:7], s[4:5], s[2:3]
.LBB325_20:                             ;   in Loop: Header=BB325_10 Depth=1
	s_or_b64 exec, exec, s[22:23]
	s_and_saveexec_b64 s[2:3], s[6:7]
	s_cbranch_execz .LBB325_22
; %bb.21:                               ;   in Loop: Header=BB325_10 Depth=1
	v_mov_b32_e32 v32, v34
	s_waitcnt lgkmcnt(1)
	v_mov_b32_e32 v16, v20
	s_waitcnt lgkmcnt(0)
	v_mov_b32_e32 v33, v19
	v_pk_mov_b32 v[18:19], v[20:21], v[20:21] op_sel:[0,1]
.LBB325_22:                             ;   in Loop: Header=BB325_10 Depth=1
	s_or_b64 exec, exec, s[2:3]
	s_waitcnt lgkmcnt(1)
	ds_bpermute_b32 v20, v28, v32
	ds_bpermute_b32 v34, v28, v33
	s_waitcnt lgkmcnt(2)
	ds_bpermute_b32 v19, v28, v16
	s_waitcnt lgkmcnt(2)
	v_cmp_eq_f32_e64 s[4:5], v32, v20
	s_waitcnt lgkmcnt(1)
	v_cmp_lt_i32_e64 s[6:7], v34, v33
	v_cmp_lt_f32_e64 s[2:3], v32, v20
	s_and_b64 s[4:5], s[4:5], s[6:7]
	s_or_b64 s[2:3], s[2:3], s[4:5]
	v_cndmask_b32_e64 v16, v33, v34, s[2:3]
	s_and_saveexec_b64 s[6:7], s[0:1]
	s_cbranch_execnz .LBB325_24
; %bb.23:                               ;   in Loop: Header=BB325_10 Depth=1
	s_or_b64 exec, exec, s[6:7]
	s_add_i32 s25, s25, 1
	s_cmp_ge_i32 s25, s8
	s_cbranch_scc1 .LBB325_9
	s_branch .LBB325_25
.LBB325_24:                             ;   in Loop: Header=BB325_10 Depth=1
	s_waitcnt lgkmcnt(0)
	v_cndmask_b32_e64 v20, v18, v19, s[2:3]
	v_add_u32_e32 v18, s25, v24
	v_ashrrev_i32_e32 v19, 31, v18
	v_cmp_le_i32_e64 s[2:3], s9, v16
	v_cmp_gt_i32_e64 s[4:5], s10, v16
	v_lshlrev_b64 v[18:19], 2, v[18:19]
	s_and_b64 s[4:5], s[2:3], s[4:5]
	v_mov_b32_e32 v33, s17
	v_add_co_u32_e64 v32, s[2:3], s16, v18
	v_addc_co_u32_e64 v33, s[2:3], v33, v19, s[2:3]
	global_store_dword v[32:33], v20, off
	v_subrev_u32_e32 v32, s9, v16
	s_and_b64 s[2:3], s[18:19], s[4:5]
	v_cndmask_b32_e64 v34, v29, v32, s[2:3]
	v_mov_b32_e32 v33, s13
	v_add_co_u32_e64 v32, s[2:3], s12, v18
	v_addc_co_u32_e64 v33, s[2:3], v33, v19, s[2:3]
	global_store_dword v[32:33], v34, off
	v_mov_b32_e32 v32, s15
	v_add_co_u32_e64 v18, s[2:3], s14, v18
	v_addc_co_u32_e64 v19, s[2:3], v32, v19, s[2:3]
	global_store_dword v[18:19], v31, off
	v_add_f32_e32 v18, v23, v20
	v_cndmask_b32_e32 v23, v23, v18, vcc
	s_or_b64 exec, exec, s[6:7]
	s_add_i32 s25, s25, 1
	s_cmp_ge_i32 s25, s8
	s_cbranch_scc1 .LBB325_9
.LBB325_25:                             ;   in Loop: Header=BB325_10 Depth=1
	s_waitcnt lgkmcnt(0)
	v_ashrrev_i32_e32 v19, 31, v16
	v_lshrrev_b32_e32 v18, 29, v19
	v_add_u32_e32 v18, v16, v18
	v_ashrrev_i32_e32 v18, 3, v18
	v_lshrrev_b32_e32 v20, 28, v18
	v_add_u32_e32 v20, v18, v20
	v_and_b32_e32 v20, -16, v20
	v_sub_u32_e32 v20, v18, v20
	v_cmp_eq_u32_e64 s[2:3], v21, v20
	s_and_saveexec_b64 s[4:5], s[2:3]
	s_cbranch_execz .LBB325_8
; %bb.26:                               ;   in Loop: Header=BB325_10 Depth=1
	v_lshrrev_b32_e32 v19, 25, v19
	v_add_u32_e32 v19, v16, v19
	v_lshlrev_b32_e32 v18, 3, v18
	v_ashrrev_i32_e32 v19, 7, v19
	v_sub_u32_e32 v16, v16, v18
	v_lshl_add_u32 v16, v19, 3, v16
	v_cmp_ne_u32_e64 s[2:3], 7, v16
	v_cndmask_b32_e64 v15, v30, v15, s[2:3]
	v_cmp_ne_u32_e64 s[2:3], 6, v16
	v_cndmask_b32_e64 v14, v30, v14, s[2:3]
	;; [unrolled: 2-line block ×8, first 2 shown]
	s_branch .LBB325_8
.LBB325_27:
                                        ; implicit-def: $vgpr8_vgpr9_vgpr10_vgpr11_vgpr12_vgpr13_vgpr14_vgpr15
	s_andn2_b64 vcc, exec, s[8:9]
	s_cbranch_vccz .LBB325_5
	s_branch .LBB325_6
.LBB325_28:
	v_mov_b32_e32 v23, 0
.LBB325_29:
	v_cmp_eq_u32_e64 s[0:1], 0, v21
	s_and_b64 s[0:1], s[0:1], vcc
	s_and_b64 exec, exec, s[0:1]
	s_cbranch_execz .LBB325_38
; %bb.30:
	s_andn2_b64 vcc, exec, s[20:21]
	s_cbranch_vccnz .LBB325_38
; %bb.31:
	v_cmp_lt_f32_e32 vcc, 0, v23
	s_mov_b32 s2, 0
	v_cndmask_b32_e32 v0, 1.0, v23, vcc
	v_mul_lo_u32 v4, v17, s8
	s_cmp_eq_u32 s8, 1
	s_mov_b64 s[0:1], -1
	s_cbranch_scc1 .LBB325_35
; %bb.32:
	s_and_b32 s2, s8, 0x7ffffffe
	v_mov_b32_e32 v1, v0
	v_mov_b32_e32 v5, s17
	s_mov_b32 s3, s2
	v_mov_b32_e32 v2, v4
.LBB325_33:                             ; =>This Inner Loop Header: Depth=1
	v_ashrrev_i32_e32 v3, 31, v2
	v_lshlrev_b64 v[6:7], 2, v[2:3]
	v_add_co_u32_e32 v6, vcc, s16, v6
	v_addc_co_u32_e32 v7, vcc, v5, v7, vcc
	global_load_dwordx2 v[8:9], v[6:7], off
	s_add_i32 s3, s3, -2
	s_cmp_lg_u32 s3, 0
	v_add_u32_e32 v2, 2, v2
	s_waitcnt vmcnt(0)
	v_div_scale_f32 v3, s[0:1], v1, v1, v9
	v_div_scale_f32 v11, s[0:1], v0, v0, v8
	v_rcp_f32_e32 v12, v3
	v_rcp_f32_e32 v13, v11
	v_div_scale_f32 v10, vcc, v9, v1, v9
	v_fma_f32 v15, -v3, v12, 1.0
	v_fma_f32 v16, -v11, v13, 1.0
	v_fmac_f32_e32 v12, v15, v12
	v_div_scale_f32 v14, s[0:1], v8, v0, v8
	v_fmac_f32_e32 v13, v16, v13
	v_mul_f32_e32 v15, v10, v12
	v_mul_f32_e32 v16, v14, v13
	v_fma_f32 v17, -v3, v15, v10
	v_fma_f32 v18, -v11, v16, v14
	v_fmac_f32_e32 v15, v17, v12
	v_fmac_f32_e32 v16, v18, v13
	v_fma_f32 v3, -v3, v15, v10
	v_fma_f32 v10, -v11, v16, v14
	v_div_fmas_f32 v3, v3, v12, v15
	s_mov_b64 vcc, s[0:1]
	v_div_fixup_f32 v9, v3, v1, v9
	v_div_fmas_f32 v3, v10, v13, v16
	v_div_fixup_f32 v8, v3, v0, v8
	global_store_dwordx2 v[6:7], v[8:9], off
	s_cbranch_scc1 .LBB325_33
; %bb.34:
	s_cmp_lg_u32 s2, s8
	s_cselect_b64 s[0:1], -1, 0
.LBB325_35:
	s_and_b64 vcc, exec, s[0:1]
	s_cbranch_vccz .LBB325_38
; %bb.36:
	v_ashrrev_i32_e32 v1, 31, v4
	v_add_co_u32_e32 v2, vcc, s2, v4
	v_addc_co_u32_e32 v3, vcc, 0, v1, vcc
	v_lshlrev_b64 v[2:3], 2, v[2:3]
	v_mov_b32_e32 v1, s17
	v_add_co_u32_e32 v2, vcc, s16, v2
	s_sub_i32 s0, s8, s2
	v_addc_co_u32_e32 v3, vcc, v1, v3, vcc
.LBB325_37:                             ; =>This Inner Loop Header: Depth=1
	global_load_dword v1, v[2:3], off
	s_add_i32 s0, s0, -1
	s_cmp_lg_u32 s0, 0
	s_waitcnt vmcnt(0)
	v_div_scale_f32 v4, s[2:3], v0, v0, v1
	v_rcp_f32_e32 v5, v4
	v_div_scale_f32 v6, vcc, v1, v0, v1
	v_fma_f32 v7, -v4, v5, 1.0
	v_fmac_f32_e32 v5, v7, v5
	v_mul_f32_e32 v7, v6, v5
	v_fma_f32 v8, -v4, v7, v6
	v_fmac_f32_e32 v7, v8, v5
	v_fma_f32 v4, -v4, v7, v6
	v_div_fmas_f32 v4, v4, v5, v7
	v_div_fixup_f32 v1, v4, v0, v1
	global_store_dword v[2:3], v1, off
	v_add_co_u32_e32 v2, vcc, 4, v2
	v_addc_co_u32_e32 v3, vcc, 0, v3, vcc
	s_cbranch_scc1 .LBB325_37
.LBB325_38:
	s_endpgm
	.section	.rodata,"a",@progbits
	.p2align	6, 0x0
	.amdhsa_kernel _ZN4vllm3moe10topkGatingILi8ELi128ELi4ELi16ELi32Ei14__hip_bfloat16LNS0_11ScoringFuncE1EEEvPKT5_PKbPfiPT4_PiiiibPKf
		.amdhsa_group_segment_fixed_size 0
		.amdhsa_private_segment_fixed_size 0
		.amdhsa_kernarg_size 72
		.amdhsa_user_sgpr_count 6
		.amdhsa_user_sgpr_private_segment_buffer 1
		.amdhsa_user_sgpr_dispatch_ptr 0
		.amdhsa_user_sgpr_queue_ptr 0
		.amdhsa_user_sgpr_kernarg_segment_ptr 1
		.amdhsa_user_sgpr_dispatch_id 0
		.amdhsa_user_sgpr_flat_scratch_init 0
		.amdhsa_user_sgpr_kernarg_preload_length 0
		.amdhsa_user_sgpr_kernarg_preload_offset 0
		.amdhsa_user_sgpr_private_segment_size 0
		.amdhsa_uses_dynamic_stack 0
		.amdhsa_system_sgpr_private_segment_wavefront_offset 0
		.amdhsa_system_sgpr_workgroup_id_x 1
		.amdhsa_system_sgpr_workgroup_id_y 0
		.amdhsa_system_sgpr_workgroup_id_z 0
		.amdhsa_system_sgpr_workgroup_info 0
		.amdhsa_system_vgpr_workitem_id 1
		.amdhsa_next_free_vgpr 36
		.amdhsa_next_free_sgpr 26
		.amdhsa_accum_offset 36
		.amdhsa_reserve_vcc 1
		.amdhsa_reserve_flat_scratch 0
		.amdhsa_float_round_mode_32 0
		.amdhsa_float_round_mode_16_64 0
		.amdhsa_float_denorm_mode_32 3
		.amdhsa_float_denorm_mode_16_64 3
		.amdhsa_dx10_clamp 1
		.amdhsa_ieee_mode 1
		.amdhsa_fp16_overflow 0
		.amdhsa_tg_split 0
		.amdhsa_exception_fp_ieee_invalid_op 0
		.amdhsa_exception_fp_denorm_src 0
		.amdhsa_exception_fp_ieee_div_zero 0
		.amdhsa_exception_fp_ieee_overflow 0
		.amdhsa_exception_fp_ieee_underflow 0
		.amdhsa_exception_fp_ieee_inexact 0
		.amdhsa_exception_int_div_zero 0
	.end_amdhsa_kernel
	.section	.text._ZN4vllm3moe10topkGatingILi8ELi128ELi4ELi16ELi32Ei14__hip_bfloat16LNS0_11ScoringFuncE1EEEvPKT5_PKbPfiPT4_PiiiibPKf,"axG",@progbits,_ZN4vllm3moe10topkGatingILi8ELi128ELi4ELi16ELi32Ei14__hip_bfloat16LNS0_11ScoringFuncE1EEEvPKT5_PKbPfiPT4_PiiiibPKf,comdat
.Lfunc_end325:
	.size	_ZN4vllm3moe10topkGatingILi8ELi128ELi4ELi16ELi32Ei14__hip_bfloat16LNS0_11ScoringFuncE1EEEvPKT5_PKbPfiPT4_PiiiibPKf, .Lfunc_end325-_ZN4vllm3moe10topkGatingILi8ELi128ELi4ELi16ELi32Ei14__hip_bfloat16LNS0_11ScoringFuncE1EEEvPKT5_PKbPfiPT4_PiiiibPKf
                                        ; -- End function
	.section	.AMDGPU.csdata,"",@progbits
; Kernel info:
; codeLenInByte = 3004
; NumSgprs: 30
; NumVgprs: 36
; NumAgprs: 0
; TotalNumVgprs: 36
; ScratchSize: 0
; MemoryBound: 0
; FloatMode: 240
; IeeeMode: 1
; LDSByteSize: 0 bytes/workgroup (compile time only)
; SGPRBlocks: 3
; VGPRBlocks: 4
; NumSGPRsForWavesPerEU: 30
; NumVGPRsForWavesPerEU: 36
; AccumOffset: 36
; Occupancy: 8
; WaveLimiterHint : 0
; COMPUTE_PGM_RSRC2:SCRATCH_EN: 0
; COMPUTE_PGM_RSRC2:USER_SGPR: 6
; COMPUTE_PGM_RSRC2:TRAP_HANDLER: 0
; COMPUTE_PGM_RSRC2:TGID_X_EN: 1
; COMPUTE_PGM_RSRC2:TGID_Y_EN: 0
; COMPUTE_PGM_RSRC2:TGID_Z_EN: 0
; COMPUTE_PGM_RSRC2:TIDIG_COMP_CNT: 1
; COMPUTE_PGM_RSRC3_GFX90A:ACCUM_OFFSET: 8
; COMPUTE_PGM_RSRC3_GFX90A:TG_SPLIT: 0
	.section	.text._ZN4vllm3moe10topkGatingILi8ELi256ELi4ELi16ELi64Ei14__hip_bfloat16LNS0_11ScoringFuncE1EEEvPKT5_PKbPfiPT4_PiiiibPKf,"axG",@progbits,_ZN4vllm3moe10topkGatingILi8ELi256ELi4ELi16ELi64Ei14__hip_bfloat16LNS0_11ScoringFuncE1EEEvPKT5_PKbPfiPT4_PiiiibPKf,comdat
	.protected	_ZN4vllm3moe10topkGatingILi8ELi256ELi4ELi16ELi64Ei14__hip_bfloat16LNS0_11ScoringFuncE1EEEvPKT5_PKbPfiPT4_PiiiibPKf ; -- Begin function _ZN4vllm3moe10topkGatingILi8ELi256ELi4ELi16ELi64Ei14__hip_bfloat16LNS0_11ScoringFuncE1EEEvPKT5_PKbPfiPT4_PiiiibPKf
	.globl	_ZN4vllm3moe10topkGatingILi8ELi256ELi4ELi16ELi64Ei14__hip_bfloat16LNS0_11ScoringFuncE1EEEvPKT5_PKbPfiPT4_PiiiibPKf
	.p2align	8
	.type	_ZN4vllm3moe10topkGatingILi8ELi256ELi4ELi16ELi64Ei14__hip_bfloat16LNS0_11ScoringFuncE1EEEvPKT5_PKbPfiPT4_PiiiibPKf,@function
_ZN4vllm3moe10topkGatingILi8ELi256ELi4ELi16ELi64Ei14__hip_bfloat16LNS0_11ScoringFuncE1EEEvPKT5_PKbPfiPT4_PiiiibPKf: ; @_ZN4vllm3moe10topkGatingILi8ELi256ELi4ELi16ELi64Ei14__hip_bfloat16LNS0_11ScoringFuncE1EEEvPKT5_PKbPfiPT4_PiiiibPKf
; %bb.0:
	s_load_dword s24, s[4:5], 0x18
	v_bfe_u32 v1, v0, 10, 10
	v_and_b32_e32 v0, 0x3ff, v0
	s_lshl_b32 s0, s6, 3
	v_lshlrev_b32_e32 v1, 1, v1
	v_lshrrev_b32_e32 v2, 5, v0
	v_add3_u32 v17, s0, v1, v2
	s_waitcnt lgkmcnt(0)
	v_cmp_gt_i32_e32 vcc, s24, v17
	s_and_saveexec_b64 s[0:1], vcc
	s_cbranch_execz .LBB326_42
; %bb.1:
	s_load_dwordx4 s[0:3], s[4:5], 0x0
	s_load_dwordx2 s[16:17], s[4:5], 0x10
	s_mov_b64 s[8:9], -1
	s_mov_b64 s[18:19], -1
	s_waitcnt lgkmcnt(0)
	s_cmp_eq_u64 s[2:3], 0
	s_cbranch_scc1 .LBB326_3
; %bb.2:
	v_ashrrev_i32_e32 v1, 31, v17
	v_mov_b32_e32 v3, s3
	v_add_co_u32_e32 v2, vcc, s2, v17
	v_addc_co_u32_e32 v3, vcc, v3, v1, vcc
	global_load_ubyte v1, v[2:3], off
	s_waitcnt vmcnt(0)
	v_and_b32_e32 v1, 1, v1
	v_cmp_eq_u32_e32 vcc, 1, v1
	s_xor_b64 s[2:3], vcc, -1
	s_orn2_b64 s[18:19], s[2:3], exec
.LBB326_3:
	v_lshlrev_b32_e32 v2, 8, v17
	v_ashrrev_i32_e32 v3, 31, v2
	v_lshlrev_b64 v[2:3], 1, v[2:3]
	v_mov_b32_e32 v1, s1
	v_add_co_u32_e32 v2, vcc, s0, v2
	v_and_b32_e32 v21, 31, v0
	v_addc_co_u32_e32 v1, vcc, v1, v3, vcc
	v_lshlrev_b32_e32 v0, 4, v21
	v_add_co_u32_e32 v0, vcc, v2, v0
	v_addc_co_u32_e32 v1, vcc, 0, v1, vcc
	global_load_dwordx4 v[0:3], v[0:1], off
	v_mov_b32_e32 v8, 0x207
	s_load_dwordx2 s[10:11], s[4:5], 0x40
	v_lshlrev_b32_e32 v22, 3, v21
	s_waitcnt lgkmcnt(0)
	s_cmp_eq_u64 s[10:11], 0
	s_waitcnt vmcnt(0)
	v_lshlrev_b32_e32 v4, 16, v0
	v_and_b32_e32 v0, 0xffff0000, v0
	v_lshlrev_b32_e32 v5, 16, v1
	v_and_b32_e32 v1, 0xffff0000, v1
	v_mul_f32_e32 v4, 0xbfb8aa3b, v4
	v_mul_f32_e32 v9, 0xbfb8aa3b, v0
	;; [unrolled: 1-line block ×3, first 2 shown]
	v_exp_f32_e32 v0, v4
	v_exp_f32_e32 v1, v9
	v_lshlrev_b32_e32 v6, 16, v2
	v_and_b32_e32 v2, 0xffff0000, v2
	v_lshlrev_b32_e32 v7, 16, v3
	v_and_b32_e32 v3, 0xffff0000, v3
	v_mul_f32_e32 v5, 0xbfb8aa3b, v5
	v_mul_f32_e32 v11, 0xbfb8aa3b, v2
	;; [unrolled: 1-line block ×3, first 2 shown]
	v_exp_f32_e32 v2, v5
	v_exp_f32_e32 v3, v10
	v_pk_add_f32 v[0:1], v[0:1], 1.0 op_sel_hi:[1,0]
	v_div_scale_f32 v9, s[0:1], v1, v1, 1.0
	v_rcp_f32_e32 v19, v9
	v_exp_f32_e32 v5, v11
	v_div_scale_f32 v11, s[0:1], v0, v0, 1.0
	v_pk_add_f32 v[2:3], v[2:3], 1.0 op_sel_hi:[1,0]
	v_rcp_f32_e32 v20, v11
	v_div_scale_f32 v13, s[2:3], v3, v3, 1.0
	v_rcp_f32_e32 v23, v13
	v_fma_f32 v26, -v9, v19, 1.0
	v_div_scale_f32 v10, vcc, 1.0, v1, 1.0
	v_div_scale_f32 v15, s[6:7], v2, v2, 1.0
	v_fmac_f32_e32 v19, v26, v19
	v_mul_f32_e32 v6, 0xbfb8aa3b, v6
	v_mul_f32_e32 v7, 0xbfb8aa3b, v7
	v_rcp_f32_e32 v24, v15
	v_fma_f32 v27, -v11, v20, 1.0
	v_mul_f32_e32 v26, v10, v19
	v_exp_f32_e32 v4, v6
	v_exp_f32_e32 v6, v7
	;; [unrolled: 1-line block ×3, first 2 shown]
	v_div_scale_f32 v12, s[0:1], 1.0, v0, 1.0
	v_fmac_f32_e32 v20, v27, v20
	v_fma_f32 v30, -v9, v26, v10
	v_fma_f32 v28, -v13, v23, 1.0
	v_mul_f32_e32 v27, v12, v20
	v_fmac_f32_e32 v26, v30, v19
	v_div_scale_f32 v14, s[2:3], 1.0, v3, 1.0
	v_fmac_f32_e32 v23, v28, v23
	v_fma_f32 v31, -v11, v27, v12
	v_fma_f32 v9, -v9, v26, v10
	v_fma_f32 v29, -v15, v24, 1.0
	v_mul_f32_e32 v28, v14, v23
	v_fmac_f32_e32 v27, v31, v20
	v_div_fmas_f32 v9, v9, v19, v26
	v_div_scale_f32 v16, s[6:7], 1.0, v2, 1.0
	v_fmac_f32_e32 v24, v29, v24
	v_fma_f32 v32, -v13, v28, v14
	v_fma_f32 v10, -v11, v27, v12
	v_div_fixup_f32 v1, v9, v1, 1.0
	s_mov_b64 vcc, s[0:1]
	v_pk_add_f32 v[4:5], v[4:5], 1.0 op_sel_hi:[1,0]
	v_mul_f32_e32 v29, v16, v24
	v_fmac_f32_e32 v28, v32, v23
	v_div_fmas_f32 v9, v10, v20, v27
	v_cmp_class_f32_e32 vcc, v1, v8
	v_div_scale_f32 v18, s[12:13], v5, v5, 1.0
	v_fma_f32 v33, -v15, v29, v16
	v_fma_f32 v11, -v13, v28, v14
	v_div_fixup_f32 v0, v9, v0, 1.0
	v_cndmask_b32_e64 v1, v1, 0, vcc
	s_mov_b64 vcc, s[2:3]
	v_rcp_f32_e32 v25, v18
	v_fmac_f32_e32 v29, v33, v24
	v_div_fmas_f32 v9, v11, v23, v28
	v_cmp_class_f32_e32 vcc, v0, v8
	v_fma_f32 v12, -v15, v29, v16
	v_cndmask_b32_e64 v0, v0, 0, vcc
	s_mov_b64 vcc, s[6:7]
	v_div_fixup_f32 v3, v9, v3, 1.0
	v_div_fmas_f32 v9, v12, v24, v29
	v_div_fixup_f32 v2, v9, v2, 1.0
	v_cmp_class_f32_e32 vcc, v3, v8
	v_cndmask_b32_e64 v3, v3, 0, vcc
	v_cmp_class_f32_e32 vcc, v2, v8
	v_fma_f32 v9, -v18, v25, 1.0
	v_cndmask_b32_e64 v2, v2, 0, vcc
	v_fmac_f32_e32 v25, v9, v25
	v_div_scale_f32 v9, vcc, 1.0, v5, 1.0
	v_mul_f32_e32 v10, v9, v25
	v_fma_f32 v11, -v18, v10, v9
	v_fmac_f32_e32 v10, v11, v25
	v_div_scale_f32 v11, s[0:1], v4, v4, 1.0
	v_rcp_f32_e32 v12, v11
	v_fma_f32 v9, -v18, v10, v9
	v_div_fmas_f32 v9, v9, v25, v10
	v_div_fixup_f32 v5, v9, v5, 1.0
	v_fma_f32 v9, -v11, v12, 1.0
	v_fmac_f32_e32 v12, v9, v12
	v_div_scale_f32 v9, vcc, 1.0, v4, 1.0
	v_mul_f32_e32 v10, v9, v12
	v_fma_f32 v13, -v11, v10, v9
	v_fmac_f32_e32 v10, v13, v12
	v_fma_f32 v9, -v11, v10, v9
	v_div_fmas_f32 v9, v9, v12, v10
	v_pk_add_f32 v[6:7], v[6:7], 1.0 op_sel_hi:[1,0]
	v_div_fixup_f32 v4, v9, v4, 1.0
	v_div_scale_f32 v9, s[0:1], v7, v7, 1.0
	v_rcp_f32_e32 v10, v9
	v_cmp_class_f32_e32 vcc, v5, v8
	v_cndmask_b32_e64 v5, v5, 0, vcc
	v_cmp_class_f32_e32 vcc, v4, v8
	v_fma_f32 v11, -v9, v10, 1.0
	v_cndmask_b32_e64 v4, v4, 0, vcc
	v_fmac_f32_e32 v10, v11, v10
	v_div_scale_f32 v11, vcc, 1.0, v7, 1.0
	v_mul_f32_e32 v12, v11, v10
	v_fma_f32 v13, -v9, v12, v11
	v_fmac_f32_e32 v12, v13, v10
	v_fma_f32 v9, -v9, v12, v11
	v_div_scale_f32 v11, s[0:1], v6, v6, 1.0
	v_rcp_f32_e32 v13, v11
	v_div_fmas_f32 v9, v9, v10, v12
	v_div_fixup_f32 v7, v9, v7, 1.0
	v_fma_f32 v9, -v11, v13, 1.0
	v_fmac_f32_e32 v13, v9, v13
	v_div_scale_f32 v9, vcc, 1.0, v6, 1.0
	v_mul_f32_e32 v10, v9, v13
	v_fma_f32 v12, -v11, v10, v9
	v_fmac_f32_e32 v10, v12, v13
	v_fma_f32 v9, -v11, v10, v9
	v_div_fmas_f32 v9, v9, v13, v10
	v_div_fixup_f32 v6, v9, v6, 1.0
	v_cmp_class_f32_e32 vcc, v7, v8
	v_cndmask_b32_e64 v7, v7, 0, vcc
	v_cmp_class_f32_e32 vcc, v6, v8
	v_cndmask_b32_e64 v6, v6, 0, vcc
	s_cbranch_scc1 .LBB326_31
; %bb.4:
	v_lshlrev_b32_e32 v16, 2, v22
	global_load_dwordx4 v[8:11], v16, s[10:11]
	global_load_dwordx4 v[12:15], v16, s[10:11] offset:16
	s_waitcnt vmcnt(1)
	v_pk_add_f32 v[8:9], v[8:9], v[0:1]
	v_pk_add_f32 v[10:11], v[10:11], v[2:3]
	s_waitcnt vmcnt(0)
	v_pk_add_f32 v[12:13], v[12:13], v[4:5]
	v_pk_add_f32 v[14:15], v[14:15], v[6:7]
	s_cbranch_execnz .LBB326_6
.LBB326_5:
	v_pk_mov_b32 v[14:15], v[6:7], v[6:7] op_sel:[0,1]
	v_pk_mov_b32 v[12:13], v[4:5], v[4:5] op_sel:[0,1]
	;; [unrolled: 1-line block ×4, first 2 shown]
.LBB326_6:
	s_load_dwordx4 s[8:11], s[4:5], 0x30
	s_mov_b32 s25, 0
	v_cmp_eq_u32_e64 s[0:1], 0, v21
	s_waitcnt lgkmcnt(0)
	s_bitcmp1_b32 s11, 0
	s_cselect_b64 vcc, -1, 0
	s_cmp_gt_i32 s8, 0
	s_cselect_b64 s[20:21], -1, 0
	s_cmp_lt_i32 s8, 1
	s_cbranch_scc1 .LBB326_32
; %bb.7:
	v_mbcnt_lo_u32_b32 v16, -1, 0
	v_mbcnt_hi_u32_b32 v16, -1, v16
	v_and_b32_e32 v18, 0x60, v16
	v_add_u32_e32 v18, 32, v18
	v_xor_b32_e32 v19, 16, v16
	v_cmp_lt_i32_e64 s[2:3], v19, v18
	v_cndmask_b32_e64 v19, v16, v19, s[2:3]
	v_lshlrev_b32_e32 v25, 2, v19
	v_xor_b32_e32 v19, 8, v16
	v_cmp_lt_i32_e64 s[2:3], v19, v18
	v_cndmask_b32_e64 v19, v16, v19, s[2:3]
	v_lshlrev_b32_e32 v26, 2, v19
	;; [unrolled: 4-line block ×3, first 2 shown]
	v_xor_b32_e32 v19, 2, v16
	v_cmp_lt_i32_e64 s[2:3], v19, v18
	s_load_dwordx4 s[12:15], s[4:5], 0x20
	v_cndmask_b32_e64 v19, v16, v19, s[2:3]
	v_lshlrev_b32_e32 v28, 2, v19
	v_xor_b32_e32 v19, 1, v16
	v_cmp_lt_i32_e64 s[2:3], v19, v18
	v_cndmask_b32_e64 v16, v16, v19, s[2:3]
	v_mul_lo_u32 v24, v17, s8
	v_lshlrev_b32_e32 v29, 2, v16
	v_mov_b32_e32 v23, 0
	v_mov_b32_e32 v30, 0x100
	;; [unrolled: 1-line block ×4, first 2 shown]
	s_branch .LBB326_10
.LBB326_8:                              ;   in Loop: Header=BB326_10 Depth=1
	s_or_b64 exec, exec, s[4:5]
.LBB326_9:                              ;   in Loop: Header=BB326_10 Depth=1
	s_cmp_eq_u32 s8, s25
	v_add_u32_e32 v32, s24, v32
	s_cbranch_scc1 .LBB326_33
.LBB326_10:                             ; =>This Inner Loop Header: Depth=1
	v_cmp_gt_f32_e64 s[2:3], v9, v8
	s_waitcnt lgkmcnt(0)
	v_cndmask_b32_e64 v19, v8, v9, s[2:3]
	v_cndmask_b32_e64 v16, 0, 1, s[2:3]
	v_cndmask_b32_e64 v18, v0, v1, s[2:3]
	v_cmp_gt_f32_e64 s[2:3], v10, v19
	v_cndmask_b32_e64 v19, v19, v10, s[2:3]
	v_cndmask_b32_e64 v16, v16, 2, s[2:3]
	v_cndmask_b32_e64 v18, v18, v2, s[2:3]
	v_cmp_gt_f32_e64 s[2:3], v11, v19
	;; [unrolled: 4-line block ×6, first 2 shown]
	v_cndmask_b32_e64 v16, v16, 7, s[2:3]
	v_cndmask_b32_e64 v33, v19, v15, s[2:3]
	v_or_b32_e32 v34, v22, v16
	v_cndmask_b32_e64 v16, v18, v7, s[2:3]
	ds_bpermute_b32 v36, v25, v33
	ds_bpermute_b32 v20, v25, v16
	;; [unrolled: 1-line block ×3, first 2 shown]
                                        ; implicit-def: $vgpr18_vgpr19
	s_waitcnt lgkmcnt(0)
	v_cmp_lt_f32_e64 s[6:7], v33, v36
	v_cmp_nlt_f32_e64 s[2:3], v33, v36
	s_and_saveexec_b64 s[22:23], s[2:3]
; %bb.11:                               ;   in Loop: Header=BB326_10 Depth=1
	v_cmp_eq_f32_e64 s[2:3], v33, v36
	v_cmp_lt_i32_e64 s[4:5], v35, v34
	s_and_b64 s[2:3], s[2:3], s[4:5]
	s_andn2_b64 s[4:5], s[6:7], exec
	s_and_b64 s[2:3], s[2:3], exec
	s_or_b64 s[6:7], s[4:5], s[2:3]
	v_pk_mov_b32 v[18:19], v[16:17], v[16:17] op_sel:[0,1]
; %bb.12:                               ;   in Loop: Header=BB326_10 Depth=1
	s_or_b64 exec, exec, s[22:23]
	s_and_saveexec_b64 s[2:3], s[6:7]
; %bb.13:                               ;   in Loop: Header=BB326_10 Depth=1
	v_mov_b32_e32 v33, v36
	v_mov_b32_e32 v16, v20
	;; [unrolled: 1-line block ×3, first 2 shown]
	v_pk_mov_b32 v[18:19], v[20:21], v[20:21] op_sel:[0,1]
; %bb.14:                               ;   in Loop: Header=BB326_10 Depth=1
	s_or_b64 exec, exec, s[2:3]
	ds_bpermute_b32 v35, v26, v33
	ds_bpermute_b32 v20, v26, v16
	;; [unrolled: 1-line block ×3, first 2 shown]
	s_waitcnt lgkmcnt(2)
	v_cmp_lt_f32_e64 s[6:7], v33, v35
	v_cmp_nlt_f32_e64 s[2:3], v33, v35
	s_and_saveexec_b64 s[22:23], s[2:3]
	s_cbranch_execz .LBB326_16
; %bb.15:                               ;   in Loop: Header=BB326_10 Depth=1
	v_cmp_eq_f32_e64 s[2:3], v33, v35
	s_waitcnt lgkmcnt(0)
	v_cmp_lt_i32_e64 s[4:5], v19, v34
	s_and_b64 s[2:3], s[2:3], s[4:5]
	s_andn2_b64 s[4:5], s[6:7], exec
	s_and_b64 s[2:3], s[2:3], exec
	s_or_b64 s[6:7], s[4:5], s[2:3]
.LBB326_16:                             ;   in Loop: Header=BB326_10 Depth=1
	s_or_b64 exec, exec, s[22:23]
	s_and_saveexec_b64 s[2:3], s[6:7]
	s_cbranch_execz .LBB326_18
; %bb.17:                               ;   in Loop: Header=BB326_10 Depth=1
	v_mov_b32_e32 v33, v35
	s_waitcnt lgkmcnt(1)
	v_mov_b32_e32 v16, v20
	s_waitcnt lgkmcnt(0)
	v_mov_b32_e32 v34, v19
	v_pk_mov_b32 v[18:19], v[20:21], v[20:21] op_sel:[0,1]
.LBB326_18:                             ;   in Loop: Header=BB326_10 Depth=1
	s_or_b64 exec, exec, s[2:3]
	ds_bpermute_b32 v35, v27, v33
	s_waitcnt lgkmcnt(2)
	ds_bpermute_b32 v20, v27, v16
	s_waitcnt lgkmcnt(2)
	;; [unrolled: 2-line block ×3, first 2 shown]
	v_cmp_lt_f32_e64 s[6:7], v33, v35
	v_cmp_nlt_f32_e64 s[2:3], v33, v35
	s_and_saveexec_b64 s[22:23], s[2:3]
	s_cbranch_execz .LBB326_20
; %bb.19:                               ;   in Loop: Header=BB326_10 Depth=1
	v_cmp_eq_f32_e64 s[2:3], v33, v35
	s_waitcnt lgkmcnt(0)
	v_cmp_lt_i32_e64 s[4:5], v19, v34
	s_and_b64 s[2:3], s[2:3], s[4:5]
	s_andn2_b64 s[4:5], s[6:7], exec
	s_and_b64 s[2:3], s[2:3], exec
	s_or_b64 s[6:7], s[4:5], s[2:3]
.LBB326_20:                             ;   in Loop: Header=BB326_10 Depth=1
	s_or_b64 exec, exec, s[22:23]
	s_and_saveexec_b64 s[2:3], s[6:7]
	s_cbranch_execz .LBB326_22
; %bb.21:                               ;   in Loop: Header=BB326_10 Depth=1
	v_mov_b32_e32 v33, v35
	s_waitcnt lgkmcnt(1)
	v_mov_b32_e32 v16, v20
	s_waitcnt lgkmcnt(0)
	v_mov_b32_e32 v34, v19
	v_pk_mov_b32 v[18:19], v[20:21], v[20:21] op_sel:[0,1]
.LBB326_22:                             ;   in Loop: Header=BB326_10 Depth=1
	s_or_b64 exec, exec, s[2:3]
	ds_bpermute_b32 v35, v28, v33
	s_waitcnt lgkmcnt(2)
	ds_bpermute_b32 v20, v28, v16
	s_waitcnt lgkmcnt(2)
	;; [unrolled: 2-line block ×3, first 2 shown]
	v_cmp_lt_f32_e64 s[6:7], v33, v35
	v_cmp_nlt_f32_e64 s[2:3], v33, v35
	s_and_saveexec_b64 s[22:23], s[2:3]
	s_cbranch_execz .LBB326_24
; %bb.23:                               ;   in Loop: Header=BB326_10 Depth=1
	v_cmp_eq_f32_e64 s[2:3], v33, v35
	s_waitcnt lgkmcnt(0)
	v_cmp_lt_i32_e64 s[4:5], v19, v34
	s_and_b64 s[2:3], s[2:3], s[4:5]
	s_andn2_b64 s[4:5], s[6:7], exec
	s_and_b64 s[2:3], s[2:3], exec
	s_or_b64 s[6:7], s[4:5], s[2:3]
.LBB326_24:                             ;   in Loop: Header=BB326_10 Depth=1
	s_or_b64 exec, exec, s[22:23]
	s_and_saveexec_b64 s[2:3], s[6:7]
	s_cbranch_execz .LBB326_26
; %bb.25:                               ;   in Loop: Header=BB326_10 Depth=1
	v_mov_b32_e32 v33, v35
	s_waitcnt lgkmcnt(1)
	v_mov_b32_e32 v16, v20
	s_waitcnt lgkmcnt(0)
	v_mov_b32_e32 v34, v19
	v_pk_mov_b32 v[18:19], v[20:21], v[20:21] op_sel:[0,1]
.LBB326_26:                             ;   in Loop: Header=BB326_10 Depth=1
	s_or_b64 exec, exec, s[2:3]
	s_waitcnt lgkmcnt(1)
	ds_bpermute_b32 v20, v29, v33
	ds_bpermute_b32 v35, v29, v34
	s_waitcnt lgkmcnt(2)
	ds_bpermute_b32 v19, v29, v16
	s_waitcnt lgkmcnt(2)
	v_cmp_eq_f32_e64 s[4:5], v33, v20
	s_waitcnt lgkmcnt(1)
	v_cmp_lt_i32_e64 s[6:7], v35, v34
	v_cmp_lt_f32_e64 s[2:3], v33, v20
	s_and_b64 s[4:5], s[4:5], s[6:7]
	s_or_b64 s[2:3], s[2:3], s[4:5]
	v_cndmask_b32_e64 v16, v34, v35, s[2:3]
	s_and_saveexec_b64 s[6:7], s[0:1]
	s_cbranch_execnz .LBB326_28
; %bb.27:                               ;   in Loop: Header=BB326_10 Depth=1
	s_or_b64 exec, exec, s[6:7]
	s_add_i32 s25, s25, 1
	s_cmp_ge_i32 s25, s8
	s_cbranch_scc1 .LBB326_9
	s_branch .LBB326_29
.LBB326_28:                             ;   in Loop: Header=BB326_10 Depth=1
	s_waitcnt lgkmcnt(0)
	v_cndmask_b32_e64 v20, v18, v19, s[2:3]
	v_add_u32_e32 v18, s25, v24
	v_ashrrev_i32_e32 v19, 31, v18
	v_cmp_le_i32_e64 s[2:3], s9, v16
	v_cmp_gt_i32_e64 s[4:5], s10, v16
	v_lshlrev_b64 v[18:19], 2, v[18:19]
	s_and_b64 s[4:5], s[2:3], s[4:5]
	v_mov_b32_e32 v33, s17
	v_add_co_u32_e64 v34, s[2:3], s16, v18
	v_addc_co_u32_e64 v35, s[2:3], v33, v19, s[2:3]
	v_subrev_u32_e32 v33, s9, v16
	s_and_b64 s[2:3], s[18:19], s[4:5]
	global_store_dword v[34:35], v20, off
	v_cndmask_b32_e64 v33, v30, v33, s[2:3]
	v_mov_b32_e32 v35, s13
	v_add_co_u32_e64 v34, s[2:3], s12, v18
	v_addc_co_u32_e64 v35, s[2:3], v35, v19, s[2:3]
	global_store_dword v[34:35], v33, off
	v_mov_b32_e32 v33, s15
	v_add_co_u32_e64 v18, s[2:3], s14, v18
	v_addc_co_u32_e64 v19, s[2:3], v33, v19, s[2:3]
	global_store_dword v[18:19], v32, off
	v_add_f32_e32 v18, v23, v20
	v_cndmask_b32_e32 v23, v23, v18, vcc
	s_or_b64 exec, exec, s[6:7]
	s_add_i32 s25, s25, 1
	s_cmp_ge_i32 s25, s8
	s_cbranch_scc1 .LBB326_9
.LBB326_29:                             ;   in Loop: Header=BB326_10 Depth=1
	v_ashrrev_i32_e32 v18, 31, v16
	s_waitcnt lgkmcnt(0)
	v_lshrrev_b32_e32 v19, 29, v18
	v_add_u32_e32 v20, v16, v19
	v_ashrrev_i32_e32 v19, 3, v20
	v_ashrrev_i32_e32 v20, 31, v20
	v_lshrrev_b32_e32 v20, 27, v20
	v_add_u32_e32 v20, v19, v20
	v_and_b32_e32 v20, 0xffffffe0, v20
	v_sub_u32_e32 v20, v19, v20
	v_cmp_eq_u32_e64 s[2:3], v21, v20
	s_and_saveexec_b64 s[4:5], s[2:3]
	s_cbranch_execz .LBB326_8
; %bb.30:                               ;   in Loop: Header=BB326_10 Depth=1
	v_add_u32_sdwa v18, v16, v18 dst_sel:DWORD dst_unused:UNUSED_PAD src0_sel:DWORD src1_sel:BYTE_3
	v_lshlrev_b32_e32 v19, 3, v19
	v_ashrrev_i32_e32 v18, 8, v18
	v_sub_u32_e32 v16, v16, v19
	v_lshl_add_u32 v16, v18, 3, v16
	v_cmp_ne_u32_e64 s[2:3], 7, v16
	v_cndmask_b32_e64 v15, v31, v15, s[2:3]
	v_cmp_ne_u32_e64 s[2:3], 6, v16
	v_cndmask_b32_e64 v14, v31, v14, s[2:3]
	;; [unrolled: 2-line block ×8, first 2 shown]
	s_branch .LBB326_8
.LBB326_31:
                                        ; implicit-def: $vgpr8_vgpr9_vgpr10_vgpr11_vgpr12_vgpr13_vgpr14_vgpr15
	s_andn2_b64 vcc, exec, s[8:9]
	s_cbranch_vccz .LBB326_5
	s_branch .LBB326_6
.LBB326_32:
	v_mov_b32_e32 v23, 0
.LBB326_33:
	v_cmp_eq_u32_e64 s[0:1], 0, v21
	s_and_b64 s[0:1], s[0:1], vcc
	s_and_b64 exec, exec, s[0:1]
	s_cbranch_execz .LBB326_42
; %bb.34:
	s_andn2_b64 vcc, exec, s[20:21]
	s_cbranch_vccnz .LBB326_42
; %bb.35:
	v_cmp_lt_f32_e32 vcc, 0, v23
	s_mov_b32 s2, 0
	v_cndmask_b32_e32 v0, 1.0, v23, vcc
	v_mul_lo_u32 v4, v17, s8
	s_cmp_eq_u32 s8, 1
	s_mov_b64 s[0:1], -1
	s_cbranch_scc1 .LBB326_39
; %bb.36:
	s_and_b32 s2, s8, 0x7ffffffe
	v_mov_b32_e32 v1, v0
	v_mov_b32_e32 v5, s17
	s_mov_b32 s3, s2
	v_mov_b32_e32 v2, v4
.LBB326_37:                             ; =>This Inner Loop Header: Depth=1
	v_ashrrev_i32_e32 v3, 31, v2
	v_lshlrev_b64 v[6:7], 2, v[2:3]
	v_add_co_u32_e32 v6, vcc, s16, v6
	v_addc_co_u32_e32 v7, vcc, v5, v7, vcc
	global_load_dwordx2 v[8:9], v[6:7], off
	s_add_i32 s3, s3, -2
	s_cmp_lg_u32 s3, 0
	v_add_u32_e32 v2, 2, v2
	s_waitcnt vmcnt(0)
	v_div_scale_f32 v3, s[0:1], v1, v1, v9
	v_div_scale_f32 v11, s[0:1], v0, v0, v8
	v_rcp_f32_e32 v12, v3
	v_rcp_f32_e32 v13, v11
	v_div_scale_f32 v10, vcc, v9, v1, v9
	v_fma_f32 v15, -v3, v12, 1.0
	v_fma_f32 v16, -v11, v13, 1.0
	v_fmac_f32_e32 v12, v15, v12
	v_div_scale_f32 v14, s[0:1], v8, v0, v8
	v_fmac_f32_e32 v13, v16, v13
	v_mul_f32_e32 v15, v10, v12
	v_mul_f32_e32 v16, v14, v13
	v_fma_f32 v17, -v3, v15, v10
	v_fma_f32 v18, -v11, v16, v14
	v_fmac_f32_e32 v15, v17, v12
	v_fmac_f32_e32 v16, v18, v13
	v_fma_f32 v3, -v3, v15, v10
	v_fma_f32 v10, -v11, v16, v14
	v_div_fmas_f32 v3, v3, v12, v15
	s_mov_b64 vcc, s[0:1]
	v_div_fixup_f32 v9, v3, v1, v9
	v_div_fmas_f32 v3, v10, v13, v16
	v_div_fixup_f32 v8, v3, v0, v8
	global_store_dwordx2 v[6:7], v[8:9], off
	s_cbranch_scc1 .LBB326_37
; %bb.38:
	s_cmp_lg_u32 s2, s8
	s_cselect_b64 s[0:1], -1, 0
.LBB326_39:
	s_and_b64 vcc, exec, s[0:1]
	s_cbranch_vccz .LBB326_42
; %bb.40:
	v_ashrrev_i32_e32 v1, 31, v4
	v_add_co_u32_e32 v2, vcc, s2, v4
	v_addc_co_u32_e32 v3, vcc, 0, v1, vcc
	v_lshlrev_b64 v[2:3], 2, v[2:3]
	v_mov_b32_e32 v1, s17
	v_add_co_u32_e32 v2, vcc, s16, v2
	s_sub_i32 s0, s8, s2
	v_addc_co_u32_e32 v3, vcc, v1, v3, vcc
.LBB326_41:                             ; =>This Inner Loop Header: Depth=1
	global_load_dword v1, v[2:3], off
	s_add_i32 s0, s0, -1
	s_cmp_lg_u32 s0, 0
	s_waitcnt vmcnt(0)
	v_div_scale_f32 v4, s[2:3], v0, v0, v1
	v_rcp_f32_e32 v5, v4
	v_div_scale_f32 v6, vcc, v1, v0, v1
	v_fma_f32 v7, -v4, v5, 1.0
	v_fmac_f32_e32 v5, v7, v5
	v_mul_f32_e32 v7, v6, v5
	v_fma_f32 v8, -v4, v7, v6
	v_fmac_f32_e32 v7, v8, v5
	v_fma_f32 v4, -v4, v7, v6
	v_div_fmas_f32 v4, v4, v5, v7
	v_div_fixup_f32 v1, v4, v0, v1
	global_store_dword v[2:3], v1, off
	v_add_co_u32_e32 v2, vcc, 4, v2
	v_addc_co_u32_e32 v3, vcc, 0, v3, vcc
	s_cbranch_scc1 .LBB326_41
.LBB326_42:
	s_endpgm
	.section	.rodata,"a",@progbits
	.p2align	6, 0x0
	.amdhsa_kernel _ZN4vllm3moe10topkGatingILi8ELi256ELi4ELi16ELi64Ei14__hip_bfloat16LNS0_11ScoringFuncE1EEEvPKT5_PKbPfiPT4_PiiiibPKf
		.amdhsa_group_segment_fixed_size 0
		.amdhsa_private_segment_fixed_size 0
		.amdhsa_kernarg_size 72
		.amdhsa_user_sgpr_count 6
		.amdhsa_user_sgpr_private_segment_buffer 1
		.amdhsa_user_sgpr_dispatch_ptr 0
		.amdhsa_user_sgpr_queue_ptr 0
		.amdhsa_user_sgpr_kernarg_segment_ptr 1
		.amdhsa_user_sgpr_dispatch_id 0
		.amdhsa_user_sgpr_flat_scratch_init 0
		.amdhsa_user_sgpr_kernarg_preload_length 0
		.amdhsa_user_sgpr_kernarg_preload_offset 0
		.amdhsa_user_sgpr_private_segment_size 0
		.amdhsa_uses_dynamic_stack 0
		.amdhsa_system_sgpr_private_segment_wavefront_offset 0
		.amdhsa_system_sgpr_workgroup_id_x 1
		.amdhsa_system_sgpr_workgroup_id_y 0
		.amdhsa_system_sgpr_workgroup_id_z 0
		.amdhsa_system_sgpr_workgroup_info 0
		.amdhsa_system_vgpr_workitem_id 1
		.amdhsa_next_free_vgpr 37
		.amdhsa_next_free_sgpr 26
		.amdhsa_accum_offset 40
		.amdhsa_reserve_vcc 1
		.amdhsa_reserve_flat_scratch 0
		.amdhsa_float_round_mode_32 0
		.amdhsa_float_round_mode_16_64 0
		.amdhsa_float_denorm_mode_32 3
		.amdhsa_float_denorm_mode_16_64 3
		.amdhsa_dx10_clamp 1
		.amdhsa_ieee_mode 1
		.amdhsa_fp16_overflow 0
		.amdhsa_tg_split 0
		.amdhsa_exception_fp_ieee_invalid_op 0
		.amdhsa_exception_fp_denorm_src 0
		.amdhsa_exception_fp_ieee_div_zero 0
		.amdhsa_exception_fp_ieee_overflow 0
		.amdhsa_exception_fp_ieee_underflow 0
		.amdhsa_exception_fp_ieee_inexact 0
		.amdhsa_exception_int_div_zero 0
	.end_amdhsa_kernel
	.section	.text._ZN4vllm3moe10topkGatingILi8ELi256ELi4ELi16ELi64Ei14__hip_bfloat16LNS0_11ScoringFuncE1EEEvPKT5_PKbPfiPT4_PiiiibPKf,"axG",@progbits,_ZN4vllm3moe10topkGatingILi8ELi256ELi4ELi16ELi64Ei14__hip_bfloat16LNS0_11ScoringFuncE1EEEvPKT5_PKbPfiPT4_PiiiibPKf,comdat
.Lfunc_end326:
	.size	_ZN4vllm3moe10topkGatingILi8ELi256ELi4ELi16ELi64Ei14__hip_bfloat16LNS0_11ScoringFuncE1EEEvPKT5_PKbPfiPT4_PiiiibPKf, .Lfunc_end326-_ZN4vllm3moe10topkGatingILi8ELi256ELi4ELi16ELi64Ei14__hip_bfloat16LNS0_11ScoringFuncE1EEEvPKT5_PKbPfiPT4_PiiiibPKf
                                        ; -- End function
	.section	.AMDGPU.csdata,"",@progbits
; Kernel info:
; codeLenInByte = 3176
; NumSgprs: 30
; NumVgprs: 37
; NumAgprs: 0
; TotalNumVgprs: 37
; ScratchSize: 0
; MemoryBound: 0
; FloatMode: 240
; IeeeMode: 1
; LDSByteSize: 0 bytes/workgroup (compile time only)
; SGPRBlocks: 3
; VGPRBlocks: 4
; NumSGPRsForWavesPerEU: 30
; NumVGPRsForWavesPerEU: 37
; AccumOffset: 40
; Occupancy: 8
; WaveLimiterHint : 0
; COMPUTE_PGM_RSRC2:SCRATCH_EN: 0
; COMPUTE_PGM_RSRC2:USER_SGPR: 6
; COMPUTE_PGM_RSRC2:TRAP_HANDLER: 0
; COMPUTE_PGM_RSRC2:TGID_X_EN: 1
; COMPUTE_PGM_RSRC2:TGID_Y_EN: 0
; COMPUTE_PGM_RSRC2:TGID_Z_EN: 0
; COMPUTE_PGM_RSRC2:TIDIG_COMP_CNT: 1
; COMPUTE_PGM_RSRC3_GFX90A:ACCUM_OFFSET: 9
; COMPUTE_PGM_RSRC3_GFX90A:TG_SPLIT: 0
	.section	.text._ZN4vllm3moe10topkGatingILi8ELi256ELi4ELi16ELi32Ei14__hip_bfloat16LNS0_11ScoringFuncE1EEEvPKT5_PKbPfiPT4_PiiiibPKf,"axG",@progbits,_ZN4vllm3moe10topkGatingILi8ELi256ELi4ELi16ELi32Ei14__hip_bfloat16LNS0_11ScoringFuncE1EEEvPKT5_PKbPfiPT4_PiiiibPKf,comdat
	.protected	_ZN4vllm3moe10topkGatingILi8ELi256ELi4ELi16ELi32Ei14__hip_bfloat16LNS0_11ScoringFuncE1EEEvPKT5_PKbPfiPT4_PiiiibPKf ; -- Begin function _ZN4vllm3moe10topkGatingILi8ELi256ELi4ELi16ELi32Ei14__hip_bfloat16LNS0_11ScoringFuncE1EEEvPKT5_PKbPfiPT4_PiiiibPKf
	.globl	_ZN4vllm3moe10topkGatingILi8ELi256ELi4ELi16ELi32Ei14__hip_bfloat16LNS0_11ScoringFuncE1EEEvPKT5_PKbPfiPT4_PiiiibPKf
	.p2align	8
	.type	_ZN4vllm3moe10topkGatingILi8ELi256ELi4ELi16ELi32Ei14__hip_bfloat16LNS0_11ScoringFuncE1EEEvPKT5_PKbPfiPT4_PiiiibPKf,@function
_ZN4vllm3moe10topkGatingILi8ELi256ELi4ELi16ELi32Ei14__hip_bfloat16LNS0_11ScoringFuncE1EEEvPKT5_PKbPfiPT4_PiiiibPKf: ; @_ZN4vllm3moe10topkGatingILi8ELi256ELi4ELi16ELi32Ei14__hip_bfloat16LNS0_11ScoringFuncE1EEEvPKT5_PKbPfiPT4_PiiiibPKf
; %bb.0:
	s_load_dword s24, s[4:5], 0x18
	v_and_b32_e32 v1, 0x3ff, v0
	s_lshl_b32 s0, s6, 2
	v_lshrrev_b32_e32 v2, 5, v1
	v_bfe_u32 v0, v0, 10, 10
	v_add3_u32 v17, s0, v0, v2
	s_waitcnt lgkmcnt(0)
	v_cmp_gt_i32_e32 vcc, s24, v17
	s_and_saveexec_b64 s[0:1], vcc
	s_cbranch_execz .LBB327_42
; %bb.1:
	s_load_dwordx4 s[0:3], s[4:5], 0x0
	s_load_dwordx2 s[16:17], s[4:5], 0x10
	s_mov_b64 s[8:9], -1
	s_mov_b64 s[18:19], -1
	s_waitcnt lgkmcnt(0)
	s_cmp_eq_u64 s[2:3], 0
	s_cbranch_scc1 .LBB327_3
; %bb.2:
	v_ashrrev_i32_e32 v0, 31, v17
	v_mov_b32_e32 v3, s3
	v_add_co_u32_e32 v2, vcc, s2, v17
	v_addc_co_u32_e32 v3, vcc, v3, v0, vcc
	global_load_ubyte v0, v[2:3], off
	s_waitcnt vmcnt(0)
	v_and_b32_e32 v0, 1, v0
	v_cmp_eq_u32_e32 vcc, 1, v0
	s_xor_b64 s[2:3], vcc, -1
	s_orn2_b64 s[18:19], s[2:3], exec
.LBB327_3:
	v_lshlrev_b32_e32 v2, 8, v17
	v_ashrrev_i32_e32 v3, 31, v2
	v_lshlrev_b64 v[2:3], 1, v[2:3]
	v_mov_b32_e32 v0, s1
	v_add_co_u32_e32 v2, vcc, s0, v2
	v_and_b32_e32 v21, 31, v1
	v_addc_co_u32_e32 v3, vcc, v0, v3, vcc
	v_lshlrev_b32_e32 v0, 4, v21
	v_add_co_u32_e32 v0, vcc, v2, v0
	v_addc_co_u32_e32 v1, vcc, 0, v3, vcc
	global_load_dwordx4 v[0:3], v[0:1], off
	v_mov_b32_e32 v8, 0x207
	s_load_dwordx2 s[10:11], s[4:5], 0x40
	v_lshlrev_b32_e32 v22, 3, v21
	s_waitcnt lgkmcnt(0)
	s_cmp_eq_u64 s[10:11], 0
	s_waitcnt vmcnt(0)
	v_lshlrev_b32_e32 v4, 16, v0
	v_and_b32_e32 v0, 0xffff0000, v0
	v_lshlrev_b32_e32 v5, 16, v1
	v_and_b32_e32 v1, 0xffff0000, v1
	v_mul_f32_e32 v4, 0xbfb8aa3b, v4
	v_mul_f32_e32 v9, 0xbfb8aa3b, v0
	;; [unrolled: 1-line block ×3, first 2 shown]
	v_exp_f32_e32 v0, v4
	v_exp_f32_e32 v1, v9
	v_lshlrev_b32_e32 v6, 16, v2
	v_and_b32_e32 v2, 0xffff0000, v2
	v_lshlrev_b32_e32 v7, 16, v3
	v_and_b32_e32 v3, 0xffff0000, v3
	v_mul_f32_e32 v5, 0xbfb8aa3b, v5
	v_mul_f32_e32 v11, 0xbfb8aa3b, v2
	;; [unrolled: 1-line block ×3, first 2 shown]
	v_exp_f32_e32 v2, v5
	v_exp_f32_e32 v3, v10
	v_pk_add_f32 v[0:1], v[0:1], 1.0 op_sel_hi:[1,0]
	v_div_scale_f32 v9, s[0:1], v1, v1, 1.0
	v_rcp_f32_e32 v19, v9
	v_exp_f32_e32 v5, v11
	v_div_scale_f32 v11, s[0:1], v0, v0, 1.0
	v_pk_add_f32 v[2:3], v[2:3], 1.0 op_sel_hi:[1,0]
	v_rcp_f32_e32 v20, v11
	v_div_scale_f32 v13, s[2:3], v3, v3, 1.0
	v_rcp_f32_e32 v23, v13
	v_fma_f32 v26, -v9, v19, 1.0
	v_div_scale_f32 v10, vcc, 1.0, v1, 1.0
	v_div_scale_f32 v15, s[6:7], v2, v2, 1.0
	v_fmac_f32_e32 v19, v26, v19
	v_mul_f32_e32 v6, 0xbfb8aa3b, v6
	v_mul_f32_e32 v7, 0xbfb8aa3b, v7
	v_rcp_f32_e32 v24, v15
	v_fma_f32 v27, -v11, v20, 1.0
	v_mul_f32_e32 v26, v10, v19
	v_exp_f32_e32 v4, v6
	v_exp_f32_e32 v6, v7
	v_exp_f32_e32 v7, v12
	v_div_scale_f32 v12, s[0:1], 1.0, v0, 1.0
	v_fmac_f32_e32 v20, v27, v20
	v_fma_f32 v30, -v9, v26, v10
	v_fma_f32 v28, -v13, v23, 1.0
	v_mul_f32_e32 v27, v12, v20
	v_fmac_f32_e32 v26, v30, v19
	v_div_scale_f32 v14, s[2:3], 1.0, v3, 1.0
	v_fmac_f32_e32 v23, v28, v23
	v_fma_f32 v31, -v11, v27, v12
	v_fma_f32 v9, -v9, v26, v10
	v_fma_f32 v29, -v15, v24, 1.0
	v_mul_f32_e32 v28, v14, v23
	v_fmac_f32_e32 v27, v31, v20
	v_div_fmas_f32 v9, v9, v19, v26
	v_div_scale_f32 v16, s[6:7], 1.0, v2, 1.0
	v_fmac_f32_e32 v24, v29, v24
	v_fma_f32 v32, -v13, v28, v14
	v_fma_f32 v10, -v11, v27, v12
	v_div_fixup_f32 v1, v9, v1, 1.0
	s_mov_b64 vcc, s[0:1]
	v_pk_add_f32 v[4:5], v[4:5], 1.0 op_sel_hi:[1,0]
	v_mul_f32_e32 v29, v16, v24
	v_fmac_f32_e32 v28, v32, v23
	v_div_fmas_f32 v9, v10, v20, v27
	v_cmp_class_f32_e32 vcc, v1, v8
	v_div_scale_f32 v18, s[12:13], v5, v5, 1.0
	v_fma_f32 v33, -v15, v29, v16
	v_fma_f32 v11, -v13, v28, v14
	v_div_fixup_f32 v0, v9, v0, 1.0
	v_cndmask_b32_e64 v1, v1, 0, vcc
	s_mov_b64 vcc, s[2:3]
	v_rcp_f32_e32 v25, v18
	v_fmac_f32_e32 v29, v33, v24
	v_div_fmas_f32 v9, v11, v23, v28
	v_cmp_class_f32_e32 vcc, v0, v8
	v_fma_f32 v12, -v15, v29, v16
	v_cndmask_b32_e64 v0, v0, 0, vcc
	s_mov_b64 vcc, s[6:7]
	v_div_fixup_f32 v3, v9, v3, 1.0
	v_div_fmas_f32 v9, v12, v24, v29
	v_div_fixup_f32 v2, v9, v2, 1.0
	v_cmp_class_f32_e32 vcc, v3, v8
	v_cndmask_b32_e64 v3, v3, 0, vcc
	v_cmp_class_f32_e32 vcc, v2, v8
	v_fma_f32 v9, -v18, v25, 1.0
	v_cndmask_b32_e64 v2, v2, 0, vcc
	v_fmac_f32_e32 v25, v9, v25
	v_div_scale_f32 v9, vcc, 1.0, v5, 1.0
	v_mul_f32_e32 v10, v9, v25
	v_fma_f32 v11, -v18, v10, v9
	v_fmac_f32_e32 v10, v11, v25
	v_div_scale_f32 v11, s[0:1], v4, v4, 1.0
	v_rcp_f32_e32 v12, v11
	v_fma_f32 v9, -v18, v10, v9
	v_div_fmas_f32 v9, v9, v25, v10
	v_div_fixup_f32 v5, v9, v5, 1.0
	v_fma_f32 v9, -v11, v12, 1.0
	v_fmac_f32_e32 v12, v9, v12
	v_div_scale_f32 v9, vcc, 1.0, v4, 1.0
	v_mul_f32_e32 v10, v9, v12
	v_fma_f32 v13, -v11, v10, v9
	v_fmac_f32_e32 v10, v13, v12
	v_fma_f32 v9, -v11, v10, v9
	v_div_fmas_f32 v9, v9, v12, v10
	v_pk_add_f32 v[6:7], v[6:7], 1.0 op_sel_hi:[1,0]
	v_div_fixup_f32 v4, v9, v4, 1.0
	v_div_scale_f32 v9, s[0:1], v7, v7, 1.0
	v_rcp_f32_e32 v10, v9
	v_cmp_class_f32_e32 vcc, v5, v8
	v_cndmask_b32_e64 v5, v5, 0, vcc
	v_cmp_class_f32_e32 vcc, v4, v8
	v_fma_f32 v11, -v9, v10, 1.0
	v_cndmask_b32_e64 v4, v4, 0, vcc
	v_fmac_f32_e32 v10, v11, v10
	v_div_scale_f32 v11, vcc, 1.0, v7, 1.0
	v_mul_f32_e32 v12, v11, v10
	v_fma_f32 v13, -v9, v12, v11
	v_fmac_f32_e32 v12, v13, v10
	v_fma_f32 v9, -v9, v12, v11
	v_div_scale_f32 v11, s[0:1], v6, v6, 1.0
	v_rcp_f32_e32 v13, v11
	v_div_fmas_f32 v9, v9, v10, v12
	v_div_fixup_f32 v7, v9, v7, 1.0
	v_fma_f32 v9, -v11, v13, 1.0
	v_fmac_f32_e32 v13, v9, v13
	v_div_scale_f32 v9, vcc, 1.0, v6, 1.0
	v_mul_f32_e32 v10, v9, v13
	v_fma_f32 v12, -v11, v10, v9
	v_fmac_f32_e32 v10, v12, v13
	v_fma_f32 v9, -v11, v10, v9
	v_div_fmas_f32 v9, v9, v13, v10
	v_div_fixup_f32 v6, v9, v6, 1.0
	v_cmp_class_f32_e32 vcc, v7, v8
	v_cndmask_b32_e64 v7, v7, 0, vcc
	v_cmp_class_f32_e32 vcc, v6, v8
	v_cndmask_b32_e64 v6, v6, 0, vcc
	s_cbranch_scc1 .LBB327_31
; %bb.4:
	v_lshlrev_b32_e32 v16, 2, v22
	global_load_dwordx4 v[8:11], v16, s[10:11]
	global_load_dwordx4 v[12:15], v16, s[10:11] offset:16
	s_waitcnt vmcnt(1)
	v_pk_add_f32 v[8:9], v[8:9], v[0:1]
	v_pk_add_f32 v[10:11], v[10:11], v[2:3]
	s_waitcnt vmcnt(0)
	v_pk_add_f32 v[12:13], v[12:13], v[4:5]
	v_pk_add_f32 v[14:15], v[14:15], v[6:7]
	s_cbranch_execnz .LBB327_6
.LBB327_5:
	v_pk_mov_b32 v[14:15], v[6:7], v[6:7] op_sel:[0,1]
	v_pk_mov_b32 v[12:13], v[4:5], v[4:5] op_sel:[0,1]
	;; [unrolled: 1-line block ×4, first 2 shown]
.LBB327_6:
	s_load_dwordx4 s[8:11], s[4:5], 0x30
	s_mov_b32 s25, 0
	v_cmp_eq_u32_e64 s[0:1], 0, v21
	s_waitcnt lgkmcnt(0)
	s_bitcmp1_b32 s11, 0
	s_cselect_b64 vcc, -1, 0
	s_cmp_gt_i32 s8, 0
	s_cselect_b64 s[20:21], -1, 0
	s_cmp_lt_i32 s8, 1
	s_cbranch_scc1 .LBB327_32
; %bb.7:
	v_mbcnt_lo_u32_b32 v16, -1, 0
	v_mbcnt_hi_u32_b32 v16, -1, v16
	v_and_b32_e32 v18, 0x60, v16
	v_add_u32_e32 v18, 32, v18
	v_xor_b32_e32 v19, 16, v16
	v_cmp_lt_i32_e64 s[2:3], v19, v18
	v_cndmask_b32_e64 v19, v16, v19, s[2:3]
	v_lshlrev_b32_e32 v25, 2, v19
	v_xor_b32_e32 v19, 8, v16
	v_cmp_lt_i32_e64 s[2:3], v19, v18
	v_cndmask_b32_e64 v19, v16, v19, s[2:3]
	v_lshlrev_b32_e32 v26, 2, v19
	;; [unrolled: 4-line block ×3, first 2 shown]
	v_xor_b32_e32 v19, 2, v16
	v_cmp_lt_i32_e64 s[2:3], v19, v18
	s_load_dwordx4 s[12:15], s[4:5], 0x20
	v_cndmask_b32_e64 v19, v16, v19, s[2:3]
	v_lshlrev_b32_e32 v28, 2, v19
	v_xor_b32_e32 v19, 1, v16
	v_cmp_lt_i32_e64 s[2:3], v19, v18
	v_cndmask_b32_e64 v16, v16, v19, s[2:3]
	v_mul_lo_u32 v24, v17, s8
	v_lshlrev_b32_e32 v29, 2, v16
	v_mov_b32_e32 v23, 0
	v_mov_b32_e32 v30, 0x100
	;; [unrolled: 1-line block ×4, first 2 shown]
	s_branch .LBB327_10
.LBB327_8:                              ;   in Loop: Header=BB327_10 Depth=1
	s_or_b64 exec, exec, s[4:5]
.LBB327_9:                              ;   in Loop: Header=BB327_10 Depth=1
	s_cmp_eq_u32 s8, s25
	v_add_u32_e32 v32, s24, v32
	s_cbranch_scc1 .LBB327_33
.LBB327_10:                             ; =>This Inner Loop Header: Depth=1
	v_cmp_gt_f32_e64 s[2:3], v9, v8
	s_waitcnt lgkmcnt(0)
	v_cndmask_b32_e64 v19, v8, v9, s[2:3]
	v_cndmask_b32_e64 v16, 0, 1, s[2:3]
	v_cndmask_b32_e64 v18, v0, v1, s[2:3]
	v_cmp_gt_f32_e64 s[2:3], v10, v19
	v_cndmask_b32_e64 v19, v19, v10, s[2:3]
	v_cndmask_b32_e64 v16, v16, 2, s[2:3]
	v_cndmask_b32_e64 v18, v18, v2, s[2:3]
	v_cmp_gt_f32_e64 s[2:3], v11, v19
	;; [unrolled: 4-line block ×6, first 2 shown]
	v_cndmask_b32_e64 v16, v16, 7, s[2:3]
	v_cndmask_b32_e64 v33, v19, v15, s[2:3]
	v_or_b32_e32 v34, v22, v16
	v_cndmask_b32_e64 v16, v18, v7, s[2:3]
	ds_bpermute_b32 v36, v25, v33
	ds_bpermute_b32 v20, v25, v16
	;; [unrolled: 1-line block ×3, first 2 shown]
                                        ; implicit-def: $vgpr18_vgpr19
	s_waitcnt lgkmcnt(0)
	v_cmp_lt_f32_e64 s[6:7], v33, v36
	v_cmp_nlt_f32_e64 s[2:3], v33, v36
	s_and_saveexec_b64 s[22:23], s[2:3]
; %bb.11:                               ;   in Loop: Header=BB327_10 Depth=1
	v_cmp_eq_f32_e64 s[2:3], v33, v36
	v_cmp_lt_i32_e64 s[4:5], v35, v34
	s_and_b64 s[2:3], s[2:3], s[4:5]
	s_andn2_b64 s[4:5], s[6:7], exec
	s_and_b64 s[2:3], s[2:3], exec
	s_or_b64 s[6:7], s[4:5], s[2:3]
	v_pk_mov_b32 v[18:19], v[16:17], v[16:17] op_sel:[0,1]
; %bb.12:                               ;   in Loop: Header=BB327_10 Depth=1
	s_or_b64 exec, exec, s[22:23]
	s_and_saveexec_b64 s[2:3], s[6:7]
; %bb.13:                               ;   in Loop: Header=BB327_10 Depth=1
	v_mov_b32_e32 v33, v36
	v_mov_b32_e32 v16, v20
	;; [unrolled: 1-line block ×3, first 2 shown]
	v_pk_mov_b32 v[18:19], v[20:21], v[20:21] op_sel:[0,1]
; %bb.14:                               ;   in Loop: Header=BB327_10 Depth=1
	s_or_b64 exec, exec, s[2:3]
	ds_bpermute_b32 v35, v26, v33
	ds_bpermute_b32 v20, v26, v16
	;; [unrolled: 1-line block ×3, first 2 shown]
	s_waitcnt lgkmcnt(2)
	v_cmp_lt_f32_e64 s[6:7], v33, v35
	v_cmp_nlt_f32_e64 s[2:3], v33, v35
	s_and_saveexec_b64 s[22:23], s[2:3]
	s_cbranch_execz .LBB327_16
; %bb.15:                               ;   in Loop: Header=BB327_10 Depth=1
	v_cmp_eq_f32_e64 s[2:3], v33, v35
	s_waitcnt lgkmcnt(0)
	v_cmp_lt_i32_e64 s[4:5], v19, v34
	s_and_b64 s[2:3], s[2:3], s[4:5]
	s_andn2_b64 s[4:5], s[6:7], exec
	s_and_b64 s[2:3], s[2:3], exec
	s_or_b64 s[6:7], s[4:5], s[2:3]
.LBB327_16:                             ;   in Loop: Header=BB327_10 Depth=1
	s_or_b64 exec, exec, s[22:23]
	s_and_saveexec_b64 s[2:3], s[6:7]
	s_cbranch_execz .LBB327_18
; %bb.17:                               ;   in Loop: Header=BB327_10 Depth=1
	v_mov_b32_e32 v33, v35
	s_waitcnt lgkmcnt(1)
	v_mov_b32_e32 v16, v20
	s_waitcnt lgkmcnt(0)
	v_mov_b32_e32 v34, v19
	v_pk_mov_b32 v[18:19], v[20:21], v[20:21] op_sel:[0,1]
.LBB327_18:                             ;   in Loop: Header=BB327_10 Depth=1
	s_or_b64 exec, exec, s[2:3]
	ds_bpermute_b32 v35, v27, v33
	s_waitcnt lgkmcnt(2)
	ds_bpermute_b32 v20, v27, v16
	s_waitcnt lgkmcnt(2)
	;; [unrolled: 2-line block ×3, first 2 shown]
	v_cmp_lt_f32_e64 s[6:7], v33, v35
	v_cmp_nlt_f32_e64 s[2:3], v33, v35
	s_and_saveexec_b64 s[22:23], s[2:3]
	s_cbranch_execz .LBB327_20
; %bb.19:                               ;   in Loop: Header=BB327_10 Depth=1
	v_cmp_eq_f32_e64 s[2:3], v33, v35
	s_waitcnt lgkmcnt(0)
	v_cmp_lt_i32_e64 s[4:5], v19, v34
	s_and_b64 s[2:3], s[2:3], s[4:5]
	s_andn2_b64 s[4:5], s[6:7], exec
	s_and_b64 s[2:3], s[2:3], exec
	s_or_b64 s[6:7], s[4:5], s[2:3]
.LBB327_20:                             ;   in Loop: Header=BB327_10 Depth=1
	s_or_b64 exec, exec, s[22:23]
	s_and_saveexec_b64 s[2:3], s[6:7]
	s_cbranch_execz .LBB327_22
; %bb.21:                               ;   in Loop: Header=BB327_10 Depth=1
	v_mov_b32_e32 v33, v35
	s_waitcnt lgkmcnt(1)
	v_mov_b32_e32 v16, v20
	s_waitcnt lgkmcnt(0)
	v_mov_b32_e32 v34, v19
	v_pk_mov_b32 v[18:19], v[20:21], v[20:21] op_sel:[0,1]
.LBB327_22:                             ;   in Loop: Header=BB327_10 Depth=1
	s_or_b64 exec, exec, s[2:3]
	ds_bpermute_b32 v35, v28, v33
	s_waitcnt lgkmcnt(2)
	ds_bpermute_b32 v20, v28, v16
	s_waitcnt lgkmcnt(2)
	;; [unrolled: 2-line block ×3, first 2 shown]
	v_cmp_lt_f32_e64 s[6:7], v33, v35
	v_cmp_nlt_f32_e64 s[2:3], v33, v35
	s_and_saveexec_b64 s[22:23], s[2:3]
	s_cbranch_execz .LBB327_24
; %bb.23:                               ;   in Loop: Header=BB327_10 Depth=1
	v_cmp_eq_f32_e64 s[2:3], v33, v35
	s_waitcnt lgkmcnt(0)
	v_cmp_lt_i32_e64 s[4:5], v19, v34
	s_and_b64 s[2:3], s[2:3], s[4:5]
	s_andn2_b64 s[4:5], s[6:7], exec
	s_and_b64 s[2:3], s[2:3], exec
	s_or_b64 s[6:7], s[4:5], s[2:3]
.LBB327_24:                             ;   in Loop: Header=BB327_10 Depth=1
	s_or_b64 exec, exec, s[22:23]
	s_and_saveexec_b64 s[2:3], s[6:7]
	s_cbranch_execz .LBB327_26
; %bb.25:                               ;   in Loop: Header=BB327_10 Depth=1
	v_mov_b32_e32 v33, v35
	s_waitcnt lgkmcnt(1)
	v_mov_b32_e32 v16, v20
	s_waitcnt lgkmcnt(0)
	v_mov_b32_e32 v34, v19
	v_pk_mov_b32 v[18:19], v[20:21], v[20:21] op_sel:[0,1]
.LBB327_26:                             ;   in Loop: Header=BB327_10 Depth=1
	s_or_b64 exec, exec, s[2:3]
	s_waitcnt lgkmcnt(1)
	ds_bpermute_b32 v20, v29, v33
	ds_bpermute_b32 v35, v29, v34
	s_waitcnt lgkmcnt(2)
	ds_bpermute_b32 v19, v29, v16
	s_waitcnt lgkmcnt(2)
	v_cmp_eq_f32_e64 s[4:5], v33, v20
	s_waitcnt lgkmcnt(1)
	v_cmp_lt_i32_e64 s[6:7], v35, v34
	v_cmp_lt_f32_e64 s[2:3], v33, v20
	s_and_b64 s[4:5], s[4:5], s[6:7]
	s_or_b64 s[2:3], s[2:3], s[4:5]
	v_cndmask_b32_e64 v16, v34, v35, s[2:3]
	s_and_saveexec_b64 s[6:7], s[0:1]
	s_cbranch_execnz .LBB327_28
; %bb.27:                               ;   in Loop: Header=BB327_10 Depth=1
	s_or_b64 exec, exec, s[6:7]
	s_add_i32 s25, s25, 1
	s_cmp_ge_i32 s25, s8
	s_cbranch_scc1 .LBB327_9
	s_branch .LBB327_29
.LBB327_28:                             ;   in Loop: Header=BB327_10 Depth=1
	s_waitcnt lgkmcnt(0)
	v_cndmask_b32_e64 v20, v18, v19, s[2:3]
	v_add_u32_e32 v18, s25, v24
	v_ashrrev_i32_e32 v19, 31, v18
	v_cmp_le_i32_e64 s[2:3], s9, v16
	v_cmp_gt_i32_e64 s[4:5], s10, v16
	v_lshlrev_b64 v[18:19], 2, v[18:19]
	s_and_b64 s[4:5], s[2:3], s[4:5]
	v_mov_b32_e32 v33, s17
	v_add_co_u32_e64 v34, s[2:3], s16, v18
	v_addc_co_u32_e64 v35, s[2:3], v33, v19, s[2:3]
	v_subrev_u32_e32 v33, s9, v16
	s_and_b64 s[2:3], s[18:19], s[4:5]
	global_store_dword v[34:35], v20, off
	v_cndmask_b32_e64 v33, v30, v33, s[2:3]
	v_mov_b32_e32 v35, s13
	v_add_co_u32_e64 v34, s[2:3], s12, v18
	v_addc_co_u32_e64 v35, s[2:3], v35, v19, s[2:3]
	global_store_dword v[34:35], v33, off
	v_mov_b32_e32 v33, s15
	v_add_co_u32_e64 v18, s[2:3], s14, v18
	v_addc_co_u32_e64 v19, s[2:3], v33, v19, s[2:3]
	global_store_dword v[18:19], v32, off
	v_add_f32_e32 v18, v23, v20
	v_cndmask_b32_e32 v23, v23, v18, vcc
	s_or_b64 exec, exec, s[6:7]
	s_add_i32 s25, s25, 1
	s_cmp_ge_i32 s25, s8
	s_cbranch_scc1 .LBB327_9
.LBB327_29:                             ;   in Loop: Header=BB327_10 Depth=1
	v_ashrrev_i32_e32 v18, 31, v16
	s_waitcnt lgkmcnt(0)
	v_lshrrev_b32_e32 v19, 29, v18
	v_add_u32_e32 v20, v16, v19
	v_ashrrev_i32_e32 v19, 3, v20
	v_ashrrev_i32_e32 v20, 31, v20
	v_lshrrev_b32_e32 v20, 27, v20
	v_add_u32_e32 v20, v19, v20
	v_and_b32_e32 v20, 0xffffffe0, v20
	v_sub_u32_e32 v20, v19, v20
	v_cmp_eq_u32_e64 s[2:3], v21, v20
	s_and_saveexec_b64 s[4:5], s[2:3]
	s_cbranch_execz .LBB327_8
; %bb.30:                               ;   in Loop: Header=BB327_10 Depth=1
	v_add_u32_sdwa v18, v16, v18 dst_sel:DWORD dst_unused:UNUSED_PAD src0_sel:DWORD src1_sel:BYTE_3
	v_lshlrev_b32_e32 v19, 3, v19
	v_ashrrev_i32_e32 v18, 8, v18
	v_sub_u32_e32 v16, v16, v19
	v_lshl_add_u32 v16, v18, 3, v16
	v_cmp_ne_u32_e64 s[2:3], 7, v16
	v_cndmask_b32_e64 v15, v31, v15, s[2:3]
	v_cmp_ne_u32_e64 s[2:3], 6, v16
	v_cndmask_b32_e64 v14, v31, v14, s[2:3]
	;; [unrolled: 2-line block ×8, first 2 shown]
	s_branch .LBB327_8
.LBB327_31:
                                        ; implicit-def: $vgpr8_vgpr9_vgpr10_vgpr11_vgpr12_vgpr13_vgpr14_vgpr15
	s_andn2_b64 vcc, exec, s[8:9]
	s_cbranch_vccz .LBB327_5
	s_branch .LBB327_6
.LBB327_32:
	v_mov_b32_e32 v23, 0
.LBB327_33:
	v_cmp_eq_u32_e64 s[0:1], 0, v21
	s_and_b64 s[0:1], s[0:1], vcc
	s_and_b64 exec, exec, s[0:1]
	s_cbranch_execz .LBB327_42
; %bb.34:
	s_andn2_b64 vcc, exec, s[20:21]
	s_cbranch_vccnz .LBB327_42
; %bb.35:
	v_cmp_lt_f32_e32 vcc, 0, v23
	s_mov_b32 s2, 0
	v_cndmask_b32_e32 v0, 1.0, v23, vcc
	v_mul_lo_u32 v4, v17, s8
	s_cmp_eq_u32 s8, 1
	s_mov_b64 s[0:1], -1
	s_cbranch_scc1 .LBB327_39
; %bb.36:
	s_and_b32 s2, s8, 0x7ffffffe
	v_mov_b32_e32 v1, v0
	v_mov_b32_e32 v5, s17
	s_mov_b32 s3, s2
	v_mov_b32_e32 v2, v4
.LBB327_37:                             ; =>This Inner Loop Header: Depth=1
	v_ashrrev_i32_e32 v3, 31, v2
	v_lshlrev_b64 v[6:7], 2, v[2:3]
	v_add_co_u32_e32 v6, vcc, s16, v6
	v_addc_co_u32_e32 v7, vcc, v5, v7, vcc
	global_load_dwordx2 v[8:9], v[6:7], off
	s_add_i32 s3, s3, -2
	s_cmp_lg_u32 s3, 0
	v_add_u32_e32 v2, 2, v2
	s_waitcnt vmcnt(0)
	v_div_scale_f32 v3, s[0:1], v1, v1, v9
	v_div_scale_f32 v11, s[0:1], v0, v0, v8
	v_rcp_f32_e32 v12, v3
	v_rcp_f32_e32 v13, v11
	v_div_scale_f32 v10, vcc, v9, v1, v9
	v_fma_f32 v15, -v3, v12, 1.0
	v_fma_f32 v16, -v11, v13, 1.0
	v_fmac_f32_e32 v12, v15, v12
	v_div_scale_f32 v14, s[0:1], v8, v0, v8
	v_fmac_f32_e32 v13, v16, v13
	v_mul_f32_e32 v15, v10, v12
	v_mul_f32_e32 v16, v14, v13
	v_fma_f32 v17, -v3, v15, v10
	v_fma_f32 v18, -v11, v16, v14
	v_fmac_f32_e32 v15, v17, v12
	v_fmac_f32_e32 v16, v18, v13
	v_fma_f32 v3, -v3, v15, v10
	v_fma_f32 v10, -v11, v16, v14
	v_div_fmas_f32 v3, v3, v12, v15
	s_mov_b64 vcc, s[0:1]
	v_div_fixup_f32 v9, v3, v1, v9
	v_div_fmas_f32 v3, v10, v13, v16
	v_div_fixup_f32 v8, v3, v0, v8
	global_store_dwordx2 v[6:7], v[8:9], off
	s_cbranch_scc1 .LBB327_37
; %bb.38:
	s_cmp_lg_u32 s2, s8
	s_cselect_b64 s[0:1], -1, 0
.LBB327_39:
	s_and_b64 vcc, exec, s[0:1]
	s_cbranch_vccz .LBB327_42
; %bb.40:
	v_ashrrev_i32_e32 v1, 31, v4
	v_add_co_u32_e32 v2, vcc, s2, v4
	v_addc_co_u32_e32 v3, vcc, 0, v1, vcc
	v_lshlrev_b64 v[2:3], 2, v[2:3]
	v_mov_b32_e32 v1, s17
	v_add_co_u32_e32 v2, vcc, s16, v2
	s_sub_i32 s0, s8, s2
	v_addc_co_u32_e32 v3, vcc, v1, v3, vcc
.LBB327_41:                             ; =>This Inner Loop Header: Depth=1
	global_load_dword v1, v[2:3], off
	s_add_i32 s0, s0, -1
	s_cmp_lg_u32 s0, 0
	s_waitcnt vmcnt(0)
	v_div_scale_f32 v4, s[2:3], v0, v0, v1
	v_rcp_f32_e32 v5, v4
	v_div_scale_f32 v6, vcc, v1, v0, v1
	v_fma_f32 v7, -v4, v5, 1.0
	v_fmac_f32_e32 v5, v7, v5
	v_mul_f32_e32 v7, v6, v5
	v_fma_f32 v8, -v4, v7, v6
	v_fmac_f32_e32 v7, v8, v5
	v_fma_f32 v4, -v4, v7, v6
	v_div_fmas_f32 v4, v4, v5, v7
	v_div_fixup_f32 v1, v4, v0, v1
	global_store_dword v[2:3], v1, off
	v_add_co_u32_e32 v2, vcc, 4, v2
	v_addc_co_u32_e32 v3, vcc, 0, v3, vcc
	s_cbranch_scc1 .LBB327_41
.LBB327_42:
	s_endpgm
	.section	.rodata,"a",@progbits
	.p2align	6, 0x0
	.amdhsa_kernel _ZN4vllm3moe10topkGatingILi8ELi256ELi4ELi16ELi32Ei14__hip_bfloat16LNS0_11ScoringFuncE1EEEvPKT5_PKbPfiPT4_PiiiibPKf
		.amdhsa_group_segment_fixed_size 0
		.amdhsa_private_segment_fixed_size 0
		.amdhsa_kernarg_size 72
		.amdhsa_user_sgpr_count 6
		.amdhsa_user_sgpr_private_segment_buffer 1
		.amdhsa_user_sgpr_dispatch_ptr 0
		.amdhsa_user_sgpr_queue_ptr 0
		.amdhsa_user_sgpr_kernarg_segment_ptr 1
		.amdhsa_user_sgpr_dispatch_id 0
		.amdhsa_user_sgpr_flat_scratch_init 0
		.amdhsa_user_sgpr_kernarg_preload_length 0
		.amdhsa_user_sgpr_kernarg_preload_offset 0
		.amdhsa_user_sgpr_private_segment_size 0
		.amdhsa_uses_dynamic_stack 0
		.amdhsa_system_sgpr_private_segment_wavefront_offset 0
		.amdhsa_system_sgpr_workgroup_id_x 1
		.amdhsa_system_sgpr_workgroup_id_y 0
		.amdhsa_system_sgpr_workgroup_id_z 0
		.amdhsa_system_sgpr_workgroup_info 0
		.amdhsa_system_vgpr_workitem_id 1
		.amdhsa_next_free_vgpr 37
		.amdhsa_next_free_sgpr 26
		.amdhsa_accum_offset 40
		.amdhsa_reserve_vcc 1
		.amdhsa_reserve_flat_scratch 0
		.amdhsa_float_round_mode_32 0
		.amdhsa_float_round_mode_16_64 0
		.amdhsa_float_denorm_mode_32 3
		.amdhsa_float_denorm_mode_16_64 3
		.amdhsa_dx10_clamp 1
		.amdhsa_ieee_mode 1
		.amdhsa_fp16_overflow 0
		.amdhsa_tg_split 0
		.amdhsa_exception_fp_ieee_invalid_op 0
		.amdhsa_exception_fp_denorm_src 0
		.amdhsa_exception_fp_ieee_div_zero 0
		.amdhsa_exception_fp_ieee_overflow 0
		.amdhsa_exception_fp_ieee_underflow 0
		.amdhsa_exception_fp_ieee_inexact 0
		.amdhsa_exception_int_div_zero 0
	.end_amdhsa_kernel
	.section	.text._ZN4vllm3moe10topkGatingILi8ELi256ELi4ELi16ELi32Ei14__hip_bfloat16LNS0_11ScoringFuncE1EEEvPKT5_PKbPfiPT4_PiiiibPKf,"axG",@progbits,_ZN4vllm3moe10topkGatingILi8ELi256ELi4ELi16ELi32Ei14__hip_bfloat16LNS0_11ScoringFuncE1EEEvPKT5_PKbPfiPT4_PiiiibPKf,comdat
.Lfunc_end327:
	.size	_ZN4vllm3moe10topkGatingILi8ELi256ELi4ELi16ELi32Ei14__hip_bfloat16LNS0_11ScoringFuncE1EEEvPKT5_PKbPfiPT4_PiiiibPKf, .Lfunc_end327-_ZN4vllm3moe10topkGatingILi8ELi256ELi4ELi16ELi32Ei14__hip_bfloat16LNS0_11ScoringFuncE1EEEvPKT5_PKbPfiPT4_PiiiibPKf
                                        ; -- End function
	.section	.AMDGPU.csdata,"",@progbits
; Kernel info:
; codeLenInByte = 3172
; NumSgprs: 30
; NumVgprs: 37
; NumAgprs: 0
; TotalNumVgprs: 37
; ScratchSize: 0
; MemoryBound: 0
; FloatMode: 240
; IeeeMode: 1
; LDSByteSize: 0 bytes/workgroup (compile time only)
; SGPRBlocks: 3
; VGPRBlocks: 4
; NumSGPRsForWavesPerEU: 30
; NumVGPRsForWavesPerEU: 37
; AccumOffset: 40
; Occupancy: 8
; WaveLimiterHint : 0
; COMPUTE_PGM_RSRC2:SCRATCH_EN: 0
; COMPUTE_PGM_RSRC2:USER_SGPR: 6
; COMPUTE_PGM_RSRC2:TRAP_HANDLER: 0
; COMPUTE_PGM_RSRC2:TGID_X_EN: 1
; COMPUTE_PGM_RSRC2:TGID_Y_EN: 0
; COMPUTE_PGM_RSRC2:TGID_Z_EN: 0
; COMPUTE_PGM_RSRC2:TIDIG_COMP_CNT: 1
; COMPUTE_PGM_RSRC3_GFX90A:ACCUM_OFFSET: 9
; COMPUTE_PGM_RSRC3_GFX90A:TG_SPLIT: 0
	.section	.text._ZN4vllm3moe10topkGatingILi8ELi512ELi4ELi16ELi64Ei14__hip_bfloat16LNS0_11ScoringFuncE1EEEvPKT5_PKbPfiPT4_PiiiibPKf,"axG",@progbits,_ZN4vllm3moe10topkGatingILi8ELi512ELi4ELi16ELi64Ei14__hip_bfloat16LNS0_11ScoringFuncE1EEEvPKT5_PKbPfiPT4_PiiiibPKf,comdat
	.protected	_ZN4vllm3moe10topkGatingILi8ELi512ELi4ELi16ELi64Ei14__hip_bfloat16LNS0_11ScoringFuncE1EEEvPKT5_PKbPfiPT4_PiiiibPKf ; -- Begin function _ZN4vllm3moe10topkGatingILi8ELi512ELi4ELi16ELi64Ei14__hip_bfloat16LNS0_11ScoringFuncE1EEEvPKT5_PKbPfiPT4_PiiiibPKf
	.globl	_ZN4vllm3moe10topkGatingILi8ELi512ELi4ELi16ELi64Ei14__hip_bfloat16LNS0_11ScoringFuncE1EEEvPKT5_PKbPfiPT4_PiiiibPKf
	.p2align	8
	.type	_ZN4vllm3moe10topkGatingILi8ELi512ELi4ELi16ELi64Ei14__hip_bfloat16LNS0_11ScoringFuncE1EEEvPKT5_PKbPfiPT4_PiiiibPKf,@function
_ZN4vllm3moe10topkGatingILi8ELi512ELi4ELi16ELi64Ei14__hip_bfloat16LNS0_11ScoringFuncE1EEEvPKT5_PKbPfiPT4_PiiiibPKf: ; @_ZN4vllm3moe10topkGatingILi8ELi512ELi4ELi16ELi64Ei14__hip_bfloat16LNS0_11ScoringFuncE1EEEvPKT5_PKbPfiPT4_PiiiibPKf
; %bb.0:
	s_load_dword s24, s[4:5], 0x18
	v_and_b32_e32 v1, 0x3ff, v0
	s_lshl_b32 s0, s6, 2
	v_lshrrev_b32_e32 v2, 6, v1
	v_bfe_u32 v0, v0, 10, 10
	v_add3_u32 v17, s0, v0, v2
	s_waitcnt lgkmcnt(0)
	v_cmp_gt_i32_e32 vcc, s24, v17
	s_and_saveexec_b64 s[0:1], vcc
	s_cbranch_execz .LBB328_46
; %bb.1:
	s_load_dwordx4 s[0:3], s[4:5], 0x0
	s_load_dwordx2 s[16:17], s[4:5], 0x10
	s_mov_b64 s[8:9], -1
	s_mov_b64 s[18:19], -1
	s_waitcnt lgkmcnt(0)
	s_cmp_eq_u64 s[2:3], 0
	s_cbranch_scc1 .LBB328_3
; %bb.2:
	v_ashrrev_i32_e32 v0, 31, v17
	v_mov_b32_e32 v3, s3
	v_add_co_u32_e32 v2, vcc, s2, v17
	v_addc_co_u32_e32 v3, vcc, v3, v0, vcc
	global_load_ubyte v0, v[2:3], off
	s_waitcnt vmcnt(0)
	v_and_b32_e32 v0, 1, v0
	v_cmp_eq_u32_e32 vcc, 1, v0
	s_xor_b64 s[2:3], vcc, -1
	s_orn2_b64 s[18:19], s[2:3], exec
.LBB328_3:
	v_lshlrev_b32_e32 v2, 9, v17
	v_ashrrev_i32_e32 v3, 31, v2
	v_lshlrev_b64 v[2:3], 1, v[2:3]
	v_mov_b32_e32 v0, s1
	v_add_co_u32_e32 v2, vcc, s0, v2
	v_and_b32_e32 v21, 63, v1
	v_addc_co_u32_e32 v3, vcc, v0, v3, vcc
	v_lshlrev_b32_e32 v0, 4, v21
	v_add_co_u32_e32 v0, vcc, v2, v0
	v_addc_co_u32_e32 v1, vcc, 0, v3, vcc
	global_load_dwordx4 v[0:3], v[0:1], off
	v_mov_b32_e32 v8, 0x207
	s_load_dwordx2 s[10:11], s[4:5], 0x40
	v_lshlrev_b32_e32 v22, 3, v21
	s_waitcnt lgkmcnt(0)
	s_cmp_eq_u64 s[10:11], 0
	s_waitcnt vmcnt(0)
	v_lshlrev_b32_e32 v4, 16, v0
	v_and_b32_e32 v0, 0xffff0000, v0
	v_lshlrev_b32_e32 v5, 16, v1
	v_and_b32_e32 v1, 0xffff0000, v1
	v_mul_f32_e32 v4, 0xbfb8aa3b, v4
	v_mul_f32_e32 v9, 0xbfb8aa3b, v0
	;; [unrolled: 1-line block ×3, first 2 shown]
	v_exp_f32_e32 v0, v4
	v_exp_f32_e32 v1, v9
	v_lshlrev_b32_e32 v6, 16, v2
	v_and_b32_e32 v2, 0xffff0000, v2
	v_lshlrev_b32_e32 v7, 16, v3
	v_and_b32_e32 v3, 0xffff0000, v3
	v_mul_f32_e32 v5, 0xbfb8aa3b, v5
	v_mul_f32_e32 v11, 0xbfb8aa3b, v2
	;; [unrolled: 1-line block ×3, first 2 shown]
	v_exp_f32_e32 v2, v5
	v_exp_f32_e32 v3, v10
	v_pk_add_f32 v[0:1], v[0:1], 1.0 op_sel_hi:[1,0]
	v_div_scale_f32 v9, s[0:1], v1, v1, 1.0
	v_rcp_f32_e32 v19, v9
	v_exp_f32_e32 v5, v11
	v_div_scale_f32 v11, s[0:1], v0, v0, 1.0
	v_pk_add_f32 v[2:3], v[2:3], 1.0 op_sel_hi:[1,0]
	v_rcp_f32_e32 v20, v11
	v_div_scale_f32 v13, s[2:3], v3, v3, 1.0
	v_rcp_f32_e32 v23, v13
	v_fma_f32 v26, -v9, v19, 1.0
	v_div_scale_f32 v10, vcc, 1.0, v1, 1.0
	v_div_scale_f32 v15, s[6:7], v2, v2, 1.0
	v_fmac_f32_e32 v19, v26, v19
	v_mul_f32_e32 v6, 0xbfb8aa3b, v6
	v_mul_f32_e32 v7, 0xbfb8aa3b, v7
	v_rcp_f32_e32 v24, v15
	v_fma_f32 v27, -v11, v20, 1.0
	v_mul_f32_e32 v26, v10, v19
	v_exp_f32_e32 v4, v6
	v_exp_f32_e32 v6, v7
	;; [unrolled: 1-line block ×3, first 2 shown]
	v_div_scale_f32 v12, s[0:1], 1.0, v0, 1.0
	v_fmac_f32_e32 v20, v27, v20
	v_fma_f32 v30, -v9, v26, v10
	v_fma_f32 v28, -v13, v23, 1.0
	v_mul_f32_e32 v27, v12, v20
	v_fmac_f32_e32 v26, v30, v19
	v_div_scale_f32 v14, s[2:3], 1.0, v3, 1.0
	v_fmac_f32_e32 v23, v28, v23
	v_fma_f32 v31, -v11, v27, v12
	v_fma_f32 v9, -v9, v26, v10
	v_fma_f32 v29, -v15, v24, 1.0
	v_mul_f32_e32 v28, v14, v23
	v_fmac_f32_e32 v27, v31, v20
	v_div_fmas_f32 v9, v9, v19, v26
	v_div_scale_f32 v16, s[6:7], 1.0, v2, 1.0
	v_fmac_f32_e32 v24, v29, v24
	v_fma_f32 v32, -v13, v28, v14
	v_fma_f32 v10, -v11, v27, v12
	v_div_fixup_f32 v1, v9, v1, 1.0
	s_mov_b64 vcc, s[0:1]
	v_pk_add_f32 v[4:5], v[4:5], 1.0 op_sel_hi:[1,0]
	v_mul_f32_e32 v29, v16, v24
	v_fmac_f32_e32 v28, v32, v23
	v_div_fmas_f32 v9, v10, v20, v27
	v_cmp_class_f32_e32 vcc, v1, v8
	v_div_scale_f32 v18, s[12:13], v5, v5, 1.0
	v_fma_f32 v33, -v15, v29, v16
	v_fma_f32 v11, -v13, v28, v14
	v_div_fixup_f32 v0, v9, v0, 1.0
	v_cndmask_b32_e64 v1, v1, 0, vcc
	s_mov_b64 vcc, s[2:3]
	v_rcp_f32_e32 v25, v18
	v_fmac_f32_e32 v29, v33, v24
	v_div_fmas_f32 v9, v11, v23, v28
	v_cmp_class_f32_e32 vcc, v0, v8
	v_fma_f32 v12, -v15, v29, v16
	v_cndmask_b32_e64 v0, v0, 0, vcc
	s_mov_b64 vcc, s[6:7]
	v_div_fixup_f32 v3, v9, v3, 1.0
	v_div_fmas_f32 v9, v12, v24, v29
	v_div_fixup_f32 v2, v9, v2, 1.0
	v_cmp_class_f32_e32 vcc, v3, v8
	v_cndmask_b32_e64 v3, v3, 0, vcc
	v_cmp_class_f32_e32 vcc, v2, v8
	v_fma_f32 v9, -v18, v25, 1.0
	v_cndmask_b32_e64 v2, v2, 0, vcc
	v_fmac_f32_e32 v25, v9, v25
	v_div_scale_f32 v9, vcc, 1.0, v5, 1.0
	v_mul_f32_e32 v10, v9, v25
	v_fma_f32 v11, -v18, v10, v9
	v_fmac_f32_e32 v10, v11, v25
	v_div_scale_f32 v11, s[0:1], v4, v4, 1.0
	v_rcp_f32_e32 v12, v11
	v_fma_f32 v9, -v18, v10, v9
	v_div_fmas_f32 v9, v9, v25, v10
	v_div_fixup_f32 v5, v9, v5, 1.0
	v_fma_f32 v9, -v11, v12, 1.0
	v_fmac_f32_e32 v12, v9, v12
	v_div_scale_f32 v9, vcc, 1.0, v4, 1.0
	v_mul_f32_e32 v10, v9, v12
	v_fma_f32 v13, -v11, v10, v9
	v_fmac_f32_e32 v10, v13, v12
	v_fma_f32 v9, -v11, v10, v9
	v_div_fmas_f32 v9, v9, v12, v10
	v_pk_add_f32 v[6:7], v[6:7], 1.0 op_sel_hi:[1,0]
	v_div_fixup_f32 v4, v9, v4, 1.0
	v_div_scale_f32 v9, s[0:1], v7, v7, 1.0
	v_rcp_f32_e32 v10, v9
	v_cmp_class_f32_e32 vcc, v5, v8
	v_cndmask_b32_e64 v5, v5, 0, vcc
	v_cmp_class_f32_e32 vcc, v4, v8
	v_fma_f32 v11, -v9, v10, 1.0
	v_cndmask_b32_e64 v4, v4, 0, vcc
	v_fmac_f32_e32 v10, v11, v10
	v_div_scale_f32 v11, vcc, 1.0, v7, 1.0
	v_mul_f32_e32 v12, v11, v10
	v_fma_f32 v13, -v9, v12, v11
	v_fmac_f32_e32 v12, v13, v10
	v_fma_f32 v9, -v9, v12, v11
	v_div_scale_f32 v11, s[0:1], v6, v6, 1.0
	v_rcp_f32_e32 v13, v11
	v_div_fmas_f32 v9, v9, v10, v12
	v_div_fixup_f32 v7, v9, v7, 1.0
	v_fma_f32 v9, -v11, v13, 1.0
	v_fmac_f32_e32 v13, v9, v13
	v_div_scale_f32 v9, vcc, 1.0, v6, 1.0
	v_mul_f32_e32 v10, v9, v13
	v_fma_f32 v12, -v11, v10, v9
	v_fmac_f32_e32 v10, v12, v13
	v_fma_f32 v9, -v11, v10, v9
	v_div_fmas_f32 v9, v9, v13, v10
	v_div_fixup_f32 v6, v9, v6, 1.0
	v_cmp_class_f32_e32 vcc, v7, v8
	v_cndmask_b32_e64 v7, v7, 0, vcc
	v_cmp_class_f32_e32 vcc, v6, v8
	v_cndmask_b32_e64 v6, v6, 0, vcc
	s_cbranch_scc1 .LBB328_35
; %bb.4:
	v_lshlrev_b32_e32 v16, 2, v22
	global_load_dwordx4 v[8:11], v16, s[10:11]
	global_load_dwordx4 v[12:15], v16, s[10:11] offset:16
	s_waitcnt vmcnt(1)
	v_pk_add_f32 v[8:9], v[8:9], v[0:1]
	v_pk_add_f32 v[10:11], v[10:11], v[2:3]
	s_waitcnt vmcnt(0)
	v_pk_add_f32 v[12:13], v[12:13], v[4:5]
	v_pk_add_f32 v[14:15], v[14:15], v[6:7]
	s_cbranch_execnz .LBB328_6
.LBB328_5:
	v_pk_mov_b32 v[14:15], v[6:7], v[6:7] op_sel:[0,1]
	v_pk_mov_b32 v[12:13], v[4:5], v[4:5] op_sel:[0,1]
	;; [unrolled: 1-line block ×4, first 2 shown]
.LBB328_6:
	s_load_dwordx4 s[8:11], s[4:5], 0x30
	s_mov_b32 s25, 0
	v_cmp_eq_u32_e64 s[0:1], 0, v21
	s_waitcnt lgkmcnt(0)
	s_bitcmp1_b32 s11, 0
	s_cselect_b64 vcc, -1, 0
	s_cmp_gt_i32 s8, 0
	s_cselect_b64 s[20:21], -1, 0
	s_cmp_lt_i32 s8, 1
	s_cbranch_scc1 .LBB328_36
; %bb.7:
	v_mbcnt_lo_u32_b32 v16, -1, 0
	v_mbcnt_hi_u32_b32 v16, -1, v16
	v_and_b32_e32 v18, 64, v16
	v_add_u32_e32 v18, 64, v18
	v_xor_b32_e32 v19, 32, v16
	v_cmp_lt_i32_e64 s[2:3], v19, v18
	v_cndmask_b32_e64 v19, v16, v19, s[2:3]
	v_lshlrev_b32_e32 v25, 2, v19
	v_xor_b32_e32 v19, 16, v16
	v_cmp_lt_i32_e64 s[2:3], v19, v18
	v_cndmask_b32_e64 v19, v16, v19, s[2:3]
	v_lshlrev_b32_e32 v26, 2, v19
	;; [unrolled: 4-line block ×4, first 2 shown]
	v_xor_b32_e32 v19, 2, v16
	v_cmp_lt_i32_e64 s[2:3], v19, v18
	s_load_dwordx4 s[12:15], s[4:5], 0x20
	v_cndmask_b32_e64 v19, v16, v19, s[2:3]
	v_lshlrev_b32_e32 v29, 2, v19
	v_xor_b32_e32 v19, 1, v16
	v_cmp_lt_i32_e64 s[2:3], v19, v18
	v_cndmask_b32_e64 v16, v16, v19, s[2:3]
	v_mul_lo_u32 v24, v17, s8
	v_lshlrev_b32_e32 v30, 2, v16
	v_mov_b32_e32 v23, 0
	v_mov_b32_e32 v31, 0x200
	v_mov_b32_e32 v32, 0xc61c4000
	v_mov_b32_e32 v33, v17
	s_branch .LBB328_10
.LBB328_8:                              ;   in Loop: Header=BB328_10 Depth=1
	s_or_b64 exec, exec, s[4:5]
.LBB328_9:                              ;   in Loop: Header=BB328_10 Depth=1
	s_cmp_eq_u32 s8, s25
	v_add_u32_e32 v33, s24, v33
	s_cbranch_scc1 .LBB328_37
.LBB328_10:                             ; =>This Inner Loop Header: Depth=1
	v_cmp_gt_f32_e64 s[2:3], v9, v8
	s_waitcnt lgkmcnt(0)
	v_cndmask_b32_e64 v19, v8, v9, s[2:3]
	v_cndmask_b32_e64 v16, 0, 1, s[2:3]
	v_cndmask_b32_e64 v18, v0, v1, s[2:3]
	v_cmp_gt_f32_e64 s[2:3], v10, v19
	v_cndmask_b32_e64 v19, v19, v10, s[2:3]
	v_cndmask_b32_e64 v16, v16, 2, s[2:3]
	v_cndmask_b32_e64 v18, v18, v2, s[2:3]
	v_cmp_gt_f32_e64 s[2:3], v11, v19
	;; [unrolled: 4-line block ×6, first 2 shown]
	v_cndmask_b32_e64 v16, v16, 7, s[2:3]
	v_cndmask_b32_e64 v34, v19, v15, s[2:3]
	v_or_b32_e32 v35, v22, v16
	v_cndmask_b32_e64 v16, v18, v7, s[2:3]
	ds_bpermute_b32 v37, v25, v34
	ds_bpermute_b32 v20, v25, v16
	;; [unrolled: 1-line block ×3, first 2 shown]
                                        ; implicit-def: $vgpr18_vgpr19
	s_waitcnt lgkmcnt(0)
	v_cmp_lt_f32_e64 s[6:7], v34, v37
	v_cmp_nlt_f32_e64 s[2:3], v34, v37
	s_and_saveexec_b64 s[22:23], s[2:3]
; %bb.11:                               ;   in Loop: Header=BB328_10 Depth=1
	v_cmp_eq_f32_e64 s[2:3], v34, v37
	v_cmp_lt_i32_e64 s[4:5], v36, v35
	s_and_b64 s[2:3], s[2:3], s[4:5]
	s_andn2_b64 s[4:5], s[6:7], exec
	s_and_b64 s[2:3], s[2:3], exec
	s_or_b64 s[6:7], s[4:5], s[2:3]
	v_pk_mov_b32 v[18:19], v[16:17], v[16:17] op_sel:[0,1]
; %bb.12:                               ;   in Loop: Header=BB328_10 Depth=1
	s_or_b64 exec, exec, s[22:23]
	s_and_saveexec_b64 s[2:3], s[6:7]
; %bb.13:                               ;   in Loop: Header=BB328_10 Depth=1
	v_mov_b32_e32 v34, v37
	v_mov_b32_e32 v16, v20
	;; [unrolled: 1-line block ×3, first 2 shown]
	v_pk_mov_b32 v[18:19], v[20:21], v[20:21] op_sel:[0,1]
; %bb.14:                               ;   in Loop: Header=BB328_10 Depth=1
	s_or_b64 exec, exec, s[2:3]
	ds_bpermute_b32 v36, v26, v34
	ds_bpermute_b32 v20, v26, v16
	;; [unrolled: 1-line block ×3, first 2 shown]
	s_waitcnt lgkmcnt(2)
	v_cmp_lt_f32_e64 s[6:7], v34, v36
	v_cmp_nlt_f32_e64 s[2:3], v34, v36
	s_and_saveexec_b64 s[22:23], s[2:3]
	s_cbranch_execz .LBB328_16
; %bb.15:                               ;   in Loop: Header=BB328_10 Depth=1
	v_cmp_eq_f32_e64 s[2:3], v34, v36
	s_waitcnt lgkmcnt(0)
	v_cmp_lt_i32_e64 s[4:5], v19, v35
	s_and_b64 s[2:3], s[2:3], s[4:5]
	s_andn2_b64 s[4:5], s[6:7], exec
	s_and_b64 s[2:3], s[2:3], exec
	s_or_b64 s[6:7], s[4:5], s[2:3]
.LBB328_16:                             ;   in Loop: Header=BB328_10 Depth=1
	s_or_b64 exec, exec, s[22:23]
	s_and_saveexec_b64 s[2:3], s[6:7]
	s_cbranch_execz .LBB328_18
; %bb.17:                               ;   in Loop: Header=BB328_10 Depth=1
	v_mov_b32_e32 v34, v36
	s_waitcnt lgkmcnt(1)
	v_mov_b32_e32 v16, v20
	s_waitcnt lgkmcnt(0)
	v_mov_b32_e32 v35, v19
	v_pk_mov_b32 v[18:19], v[20:21], v[20:21] op_sel:[0,1]
.LBB328_18:                             ;   in Loop: Header=BB328_10 Depth=1
	s_or_b64 exec, exec, s[2:3]
	ds_bpermute_b32 v36, v27, v34
	s_waitcnt lgkmcnt(2)
	ds_bpermute_b32 v20, v27, v16
	s_waitcnt lgkmcnt(2)
	ds_bpermute_b32 v19, v27, v35
	s_waitcnt lgkmcnt(2)
	v_cmp_lt_f32_e64 s[6:7], v34, v36
	v_cmp_nlt_f32_e64 s[2:3], v34, v36
	s_and_saveexec_b64 s[22:23], s[2:3]
	s_cbranch_execz .LBB328_20
; %bb.19:                               ;   in Loop: Header=BB328_10 Depth=1
	v_cmp_eq_f32_e64 s[2:3], v34, v36
	s_waitcnt lgkmcnt(0)
	v_cmp_lt_i32_e64 s[4:5], v19, v35
	s_and_b64 s[2:3], s[2:3], s[4:5]
	s_andn2_b64 s[4:5], s[6:7], exec
	s_and_b64 s[2:3], s[2:3], exec
	s_or_b64 s[6:7], s[4:5], s[2:3]
.LBB328_20:                             ;   in Loop: Header=BB328_10 Depth=1
	s_or_b64 exec, exec, s[22:23]
	s_and_saveexec_b64 s[2:3], s[6:7]
	s_cbranch_execz .LBB328_22
; %bb.21:                               ;   in Loop: Header=BB328_10 Depth=1
	v_mov_b32_e32 v34, v36
	s_waitcnt lgkmcnt(1)
	v_mov_b32_e32 v16, v20
	s_waitcnt lgkmcnt(0)
	v_mov_b32_e32 v35, v19
	v_pk_mov_b32 v[18:19], v[20:21], v[20:21] op_sel:[0,1]
.LBB328_22:                             ;   in Loop: Header=BB328_10 Depth=1
	s_or_b64 exec, exec, s[2:3]
	ds_bpermute_b32 v36, v28, v34
	s_waitcnt lgkmcnt(2)
	ds_bpermute_b32 v20, v28, v16
	s_waitcnt lgkmcnt(2)
	ds_bpermute_b32 v19, v28, v35
	;; [unrolled: 31-line block ×3, first 2 shown]
	s_waitcnt lgkmcnt(2)
	v_cmp_lt_f32_e64 s[6:7], v34, v36
	v_cmp_nlt_f32_e64 s[2:3], v34, v36
	s_and_saveexec_b64 s[22:23], s[2:3]
	s_cbranch_execz .LBB328_28
; %bb.27:                               ;   in Loop: Header=BB328_10 Depth=1
	v_cmp_eq_f32_e64 s[2:3], v34, v36
	s_waitcnt lgkmcnt(0)
	v_cmp_lt_i32_e64 s[4:5], v19, v35
	s_and_b64 s[2:3], s[2:3], s[4:5]
	s_andn2_b64 s[4:5], s[6:7], exec
	s_and_b64 s[2:3], s[2:3], exec
	s_or_b64 s[6:7], s[4:5], s[2:3]
.LBB328_28:                             ;   in Loop: Header=BB328_10 Depth=1
	s_or_b64 exec, exec, s[22:23]
	s_and_saveexec_b64 s[2:3], s[6:7]
	s_cbranch_execz .LBB328_30
; %bb.29:                               ;   in Loop: Header=BB328_10 Depth=1
	v_mov_b32_e32 v34, v36
	s_waitcnt lgkmcnt(1)
	v_mov_b32_e32 v16, v20
	s_waitcnt lgkmcnt(0)
	v_mov_b32_e32 v35, v19
	v_pk_mov_b32 v[18:19], v[20:21], v[20:21] op_sel:[0,1]
.LBB328_30:                             ;   in Loop: Header=BB328_10 Depth=1
	s_or_b64 exec, exec, s[2:3]
	s_waitcnt lgkmcnt(1)
	ds_bpermute_b32 v20, v30, v34
	ds_bpermute_b32 v36, v30, v35
	s_waitcnt lgkmcnt(2)
	ds_bpermute_b32 v19, v30, v16
	s_waitcnt lgkmcnt(2)
	v_cmp_eq_f32_e64 s[4:5], v34, v20
	s_waitcnt lgkmcnt(1)
	v_cmp_lt_i32_e64 s[6:7], v36, v35
	v_cmp_lt_f32_e64 s[2:3], v34, v20
	s_and_b64 s[4:5], s[4:5], s[6:7]
	s_or_b64 s[2:3], s[2:3], s[4:5]
	v_cndmask_b32_e64 v16, v35, v36, s[2:3]
	s_and_saveexec_b64 s[6:7], s[0:1]
	s_cbranch_execnz .LBB328_32
; %bb.31:                               ;   in Loop: Header=BB328_10 Depth=1
	s_or_b64 exec, exec, s[6:7]
	s_add_i32 s25, s25, 1
	s_cmp_ge_i32 s25, s8
	s_cbranch_scc1 .LBB328_9
	s_branch .LBB328_33
.LBB328_32:                             ;   in Loop: Header=BB328_10 Depth=1
	s_waitcnt lgkmcnt(0)
	v_cndmask_b32_e64 v20, v18, v19, s[2:3]
	v_add_u32_e32 v18, s25, v24
	v_ashrrev_i32_e32 v19, 31, v18
	v_cmp_le_i32_e64 s[2:3], s9, v16
	v_cmp_gt_i32_e64 s[4:5], s10, v16
	v_lshlrev_b64 v[18:19], 2, v[18:19]
	s_and_b64 s[4:5], s[2:3], s[4:5]
	v_mov_b32_e32 v35, s17
	v_add_co_u32_e64 v34, s[2:3], s16, v18
	v_addc_co_u32_e64 v35, s[2:3], v35, v19, s[2:3]
	global_store_dword v[34:35], v20, off
	v_subrev_u32_e32 v34, s9, v16
	s_and_b64 s[2:3], s[18:19], s[4:5]
	v_cndmask_b32_e64 v36, v31, v34, s[2:3]
	v_mov_b32_e32 v35, s13
	v_add_co_u32_e64 v34, s[2:3], s12, v18
	v_addc_co_u32_e64 v35, s[2:3], v35, v19, s[2:3]
	global_store_dword v[34:35], v36, off
	v_mov_b32_e32 v34, s15
	v_add_co_u32_e64 v18, s[2:3], s14, v18
	v_addc_co_u32_e64 v19, s[2:3], v34, v19, s[2:3]
	global_store_dword v[18:19], v33, off
	v_add_f32_e32 v18, v23, v20
	v_cndmask_b32_e32 v23, v23, v18, vcc
	s_or_b64 exec, exec, s[6:7]
	s_add_i32 s25, s25, 1
	s_cmp_ge_i32 s25, s8
	s_cbranch_scc1 .LBB328_9
.LBB328_33:                             ;   in Loop: Header=BB328_10 Depth=1
	s_waitcnt lgkmcnt(0)
	v_ashrrev_i32_e32 v19, 31, v16
	v_lshrrev_b32_e32 v18, 29, v19
	v_add_u32_e32 v20, v16, v18
	v_ashrrev_i32_e32 v18, 3, v20
	v_ashrrev_i32_e32 v20, 31, v20
	v_lshrrev_b32_e32 v20, 26, v20
	v_add_u32_e32 v20, v18, v20
	v_and_b32_e32 v20, 0xffffffc0, v20
	v_sub_u32_e32 v20, v18, v20
	v_cmp_eq_u32_e64 s[2:3], v21, v20
	s_and_saveexec_b64 s[4:5], s[2:3]
	s_cbranch_execz .LBB328_8
; %bb.34:                               ;   in Loop: Header=BB328_10 Depth=1
	v_lshrrev_b32_e32 v19, 23, v19
	v_add_u32_e32 v19, v16, v19
	v_lshlrev_b32_e32 v18, 3, v18
	v_ashrrev_i32_e32 v19, 9, v19
	v_sub_u32_e32 v16, v16, v18
	v_lshl_add_u32 v16, v19, 3, v16
	v_cmp_ne_u32_e64 s[2:3], 7, v16
	v_cndmask_b32_e64 v15, v32, v15, s[2:3]
	v_cmp_ne_u32_e64 s[2:3], 6, v16
	v_cndmask_b32_e64 v14, v32, v14, s[2:3]
	;; [unrolled: 2-line block ×8, first 2 shown]
	s_branch .LBB328_8
.LBB328_35:
                                        ; implicit-def: $vgpr8_vgpr9_vgpr10_vgpr11_vgpr12_vgpr13_vgpr14_vgpr15
	s_andn2_b64 vcc, exec, s[8:9]
	s_cbranch_vccz .LBB328_5
	s_branch .LBB328_6
.LBB328_36:
	v_mov_b32_e32 v23, 0
.LBB328_37:
	v_cmp_eq_u32_e64 s[0:1], 0, v21
	s_and_b64 s[0:1], s[0:1], vcc
	s_and_b64 exec, exec, s[0:1]
	s_cbranch_execz .LBB328_46
; %bb.38:
	s_andn2_b64 vcc, exec, s[20:21]
	s_cbranch_vccnz .LBB328_46
; %bb.39:
	v_cmp_lt_f32_e32 vcc, 0, v23
	s_mov_b32 s2, 0
	v_cndmask_b32_e32 v0, 1.0, v23, vcc
	v_mul_lo_u32 v4, v17, s8
	s_cmp_eq_u32 s8, 1
	s_mov_b64 s[0:1], -1
	s_cbranch_scc1 .LBB328_43
; %bb.40:
	s_and_b32 s2, s8, 0x7ffffffe
	v_mov_b32_e32 v1, v0
	v_mov_b32_e32 v5, s17
	s_mov_b32 s3, s2
	v_mov_b32_e32 v2, v4
.LBB328_41:                             ; =>This Inner Loop Header: Depth=1
	v_ashrrev_i32_e32 v3, 31, v2
	v_lshlrev_b64 v[6:7], 2, v[2:3]
	v_add_co_u32_e32 v6, vcc, s16, v6
	v_addc_co_u32_e32 v7, vcc, v5, v7, vcc
	global_load_dwordx2 v[8:9], v[6:7], off
	s_add_i32 s3, s3, -2
	s_cmp_lg_u32 s3, 0
	v_add_u32_e32 v2, 2, v2
	s_waitcnt vmcnt(0)
	v_div_scale_f32 v3, s[0:1], v1, v1, v9
	v_div_scale_f32 v11, s[0:1], v0, v0, v8
	v_rcp_f32_e32 v12, v3
	v_rcp_f32_e32 v13, v11
	v_div_scale_f32 v10, vcc, v9, v1, v9
	v_fma_f32 v15, -v3, v12, 1.0
	v_fma_f32 v16, -v11, v13, 1.0
	v_fmac_f32_e32 v12, v15, v12
	v_div_scale_f32 v14, s[0:1], v8, v0, v8
	v_fmac_f32_e32 v13, v16, v13
	v_mul_f32_e32 v15, v10, v12
	v_mul_f32_e32 v16, v14, v13
	v_fma_f32 v17, -v3, v15, v10
	v_fma_f32 v18, -v11, v16, v14
	v_fmac_f32_e32 v15, v17, v12
	v_fmac_f32_e32 v16, v18, v13
	v_fma_f32 v3, -v3, v15, v10
	v_fma_f32 v10, -v11, v16, v14
	v_div_fmas_f32 v3, v3, v12, v15
	s_mov_b64 vcc, s[0:1]
	v_div_fixup_f32 v9, v3, v1, v9
	v_div_fmas_f32 v3, v10, v13, v16
	v_div_fixup_f32 v8, v3, v0, v8
	global_store_dwordx2 v[6:7], v[8:9], off
	s_cbranch_scc1 .LBB328_41
; %bb.42:
	s_cmp_lg_u32 s2, s8
	s_cselect_b64 s[0:1], -1, 0
.LBB328_43:
	s_and_b64 vcc, exec, s[0:1]
	s_cbranch_vccz .LBB328_46
; %bb.44:
	v_ashrrev_i32_e32 v1, 31, v4
	v_add_co_u32_e32 v2, vcc, s2, v4
	v_addc_co_u32_e32 v3, vcc, 0, v1, vcc
	v_lshlrev_b64 v[2:3], 2, v[2:3]
	v_mov_b32_e32 v1, s17
	v_add_co_u32_e32 v2, vcc, s16, v2
	s_sub_i32 s0, s8, s2
	v_addc_co_u32_e32 v3, vcc, v1, v3, vcc
.LBB328_45:                             ; =>This Inner Loop Header: Depth=1
	global_load_dword v1, v[2:3], off
	s_add_i32 s0, s0, -1
	s_cmp_lg_u32 s0, 0
	s_waitcnt vmcnt(0)
	v_div_scale_f32 v4, s[2:3], v0, v0, v1
	v_rcp_f32_e32 v5, v4
	v_div_scale_f32 v6, vcc, v1, v0, v1
	v_fma_f32 v7, -v4, v5, 1.0
	v_fmac_f32_e32 v5, v7, v5
	v_mul_f32_e32 v7, v6, v5
	v_fma_f32 v8, -v4, v7, v6
	v_fmac_f32_e32 v7, v8, v5
	v_fma_f32 v4, -v4, v7, v6
	v_div_fmas_f32 v4, v4, v5, v7
	v_div_fixup_f32 v1, v4, v0, v1
	global_store_dword v[2:3], v1, off
	v_add_co_u32_e32 v2, vcc, 4, v2
	v_addc_co_u32_e32 v3, vcc, 0, v3, vcc
	s_cbranch_scc1 .LBB328_45
.LBB328_46:
	s_endpgm
	.section	.rodata,"a",@progbits
	.p2align	6, 0x0
	.amdhsa_kernel _ZN4vllm3moe10topkGatingILi8ELi512ELi4ELi16ELi64Ei14__hip_bfloat16LNS0_11ScoringFuncE1EEEvPKT5_PKbPfiPT4_PiiiibPKf
		.amdhsa_group_segment_fixed_size 0
		.amdhsa_private_segment_fixed_size 0
		.amdhsa_kernarg_size 72
		.amdhsa_user_sgpr_count 6
		.amdhsa_user_sgpr_private_segment_buffer 1
		.amdhsa_user_sgpr_dispatch_ptr 0
		.amdhsa_user_sgpr_queue_ptr 0
		.amdhsa_user_sgpr_kernarg_segment_ptr 1
		.amdhsa_user_sgpr_dispatch_id 0
		.amdhsa_user_sgpr_flat_scratch_init 0
		.amdhsa_user_sgpr_kernarg_preload_length 0
		.amdhsa_user_sgpr_kernarg_preload_offset 0
		.amdhsa_user_sgpr_private_segment_size 0
		.amdhsa_uses_dynamic_stack 0
		.amdhsa_system_sgpr_private_segment_wavefront_offset 0
		.amdhsa_system_sgpr_workgroup_id_x 1
		.amdhsa_system_sgpr_workgroup_id_y 0
		.amdhsa_system_sgpr_workgroup_id_z 0
		.amdhsa_system_sgpr_workgroup_info 0
		.amdhsa_system_vgpr_workitem_id 1
		.amdhsa_next_free_vgpr 38
		.amdhsa_next_free_sgpr 26
		.amdhsa_accum_offset 40
		.amdhsa_reserve_vcc 1
		.amdhsa_reserve_flat_scratch 0
		.amdhsa_float_round_mode_32 0
		.amdhsa_float_round_mode_16_64 0
		.amdhsa_float_denorm_mode_32 3
		.amdhsa_float_denorm_mode_16_64 3
		.amdhsa_dx10_clamp 1
		.amdhsa_ieee_mode 1
		.amdhsa_fp16_overflow 0
		.amdhsa_tg_split 0
		.amdhsa_exception_fp_ieee_invalid_op 0
		.amdhsa_exception_fp_denorm_src 0
		.amdhsa_exception_fp_ieee_div_zero 0
		.amdhsa_exception_fp_ieee_overflow 0
		.amdhsa_exception_fp_ieee_underflow 0
		.amdhsa_exception_fp_ieee_inexact 0
		.amdhsa_exception_int_div_zero 0
	.end_amdhsa_kernel
	.section	.text._ZN4vllm3moe10topkGatingILi8ELi512ELi4ELi16ELi64Ei14__hip_bfloat16LNS0_11ScoringFuncE1EEEvPKT5_PKbPfiPT4_PiiiibPKf,"axG",@progbits,_ZN4vllm3moe10topkGatingILi8ELi512ELi4ELi16ELi64Ei14__hip_bfloat16LNS0_11ScoringFuncE1EEEvPKT5_PKbPfiPT4_PiiiibPKf,comdat
.Lfunc_end328:
	.size	_ZN4vllm3moe10topkGatingILi8ELi512ELi4ELi16ELi64Ei14__hip_bfloat16LNS0_11ScoringFuncE1EEEvPKT5_PKbPfiPT4_PiiiibPKf, .Lfunc_end328-_ZN4vllm3moe10topkGatingILi8ELi512ELi4ELi16ELi64Ei14__hip_bfloat16LNS0_11ScoringFuncE1EEEvPKT5_PKbPfiPT4_PiiiibPKf
                                        ; -- End function
	.section	.AMDGPU.csdata,"",@progbits
; Kernel info:
; codeLenInByte = 3332
; NumSgprs: 30
; NumVgprs: 38
; NumAgprs: 0
; TotalNumVgprs: 38
; ScratchSize: 0
; MemoryBound: 0
; FloatMode: 240
; IeeeMode: 1
; LDSByteSize: 0 bytes/workgroup (compile time only)
; SGPRBlocks: 3
; VGPRBlocks: 4
; NumSGPRsForWavesPerEU: 30
; NumVGPRsForWavesPerEU: 38
; AccumOffset: 40
; Occupancy: 8
; WaveLimiterHint : 0
; COMPUTE_PGM_RSRC2:SCRATCH_EN: 0
; COMPUTE_PGM_RSRC2:USER_SGPR: 6
; COMPUTE_PGM_RSRC2:TRAP_HANDLER: 0
; COMPUTE_PGM_RSRC2:TGID_X_EN: 1
; COMPUTE_PGM_RSRC2:TGID_Y_EN: 0
; COMPUTE_PGM_RSRC2:TGID_Z_EN: 0
; COMPUTE_PGM_RSRC2:TIDIG_COMP_CNT: 1
; COMPUTE_PGM_RSRC3_GFX90A:ACCUM_OFFSET: 9
; COMPUTE_PGM_RSRC3_GFX90A:TG_SPLIT: 0
	.section	.text._ZN4vllm3moe10topkGatingILi16ELi512ELi4ELi16ELi32Ei14__hip_bfloat16LNS0_11ScoringFuncE1EEEvPKT5_PKbPfiPT4_PiiiibPKf,"axG",@progbits,_ZN4vllm3moe10topkGatingILi16ELi512ELi4ELi16ELi32Ei14__hip_bfloat16LNS0_11ScoringFuncE1EEEvPKT5_PKbPfiPT4_PiiiibPKf,comdat
	.protected	_ZN4vllm3moe10topkGatingILi16ELi512ELi4ELi16ELi32Ei14__hip_bfloat16LNS0_11ScoringFuncE1EEEvPKT5_PKbPfiPT4_PiiiibPKf ; -- Begin function _ZN4vllm3moe10topkGatingILi16ELi512ELi4ELi16ELi32Ei14__hip_bfloat16LNS0_11ScoringFuncE1EEEvPKT5_PKbPfiPT4_PiiiibPKf
	.globl	_ZN4vllm3moe10topkGatingILi16ELi512ELi4ELi16ELi32Ei14__hip_bfloat16LNS0_11ScoringFuncE1EEEvPKT5_PKbPfiPT4_PiiiibPKf
	.p2align	8
	.type	_ZN4vllm3moe10topkGatingILi16ELi512ELi4ELi16ELi32Ei14__hip_bfloat16LNS0_11ScoringFuncE1EEEvPKT5_PKbPfiPT4_PiiiibPKf,@function
_ZN4vllm3moe10topkGatingILi16ELi512ELi4ELi16ELi32Ei14__hip_bfloat16LNS0_11ScoringFuncE1EEEvPKT5_PKbPfiPT4_PiiiibPKf: ; @_ZN4vllm3moe10topkGatingILi16ELi512ELi4ELi16ELi32Ei14__hip_bfloat16LNS0_11ScoringFuncE1EEEvPKT5_PKbPfiPT4_PiiiibPKf
; %bb.0:
	s_load_dword s24, s[4:5], 0x18
	v_and_b32_e32 v1, 0x3ff, v0
	s_lshl_b32 s0, s6, 2
	v_lshrrev_b32_e32 v2, 5, v1
	v_bfe_u32 v0, v0, 10, 10
	v_add3_u32 v33, s0, v0, v2
	s_waitcnt lgkmcnt(0)
	v_cmp_gt_i32_e32 vcc, s24, v33
	s_and_saveexec_b64 s[0:1], vcc
	s_cbranch_execz .LBB329_42
; %bb.1:
	s_load_dwordx4 s[0:3], s[4:5], 0x0
	s_load_dwordx2 s[16:17], s[4:5], 0x10
	s_mov_b64 s[6:7], -1
	s_mov_b64 s[18:19], -1
	s_waitcnt lgkmcnt(0)
	s_cmp_eq_u64 s[2:3], 0
	s_cbranch_scc1 .LBB329_3
; %bb.2:
	v_ashrrev_i32_e32 v0, 31, v33
	v_mov_b32_e32 v3, s3
	v_add_co_u32_e32 v2, vcc, s2, v33
	v_addc_co_u32_e32 v3, vcc, v3, v0, vcc
	global_load_ubyte v0, v[2:3], off
	s_waitcnt vmcnt(0)
	v_and_b32_e32 v0, 1, v0
	v_cmp_eq_u32_e32 vcc, 1, v0
	s_xor_b64 s[2:3], vcc, -1
	s_orn2_b64 s[18:19], s[2:3], exec
.LBB329_3:
	v_lshlrev_b32_e32 v2, 9, v33
	v_ashrrev_i32_e32 v3, 31, v2
	v_lshlrev_b64 v[2:3], 1, v[2:3]
	v_mov_b32_e32 v0, s1
	v_add_co_u32_e32 v2, vcc, s0, v2
	v_and_b32_e32 v37, 31, v1
	v_addc_co_u32_e32 v0, vcc, v0, v3, vcc
	v_lshlrev_b32_e32 v1, 4, v37
	v_add_co_u32_e32 v8, vcc, v2, v1
	v_addc_co_u32_e32 v9, vcc, 0, v0, vcc
	global_load_dwordx4 v[0:3], v[8:9], off
	global_load_dwordx4 v[4:7], v[8:9], off offset:512
	v_mov_b32_e32 v16, 0x207
	s_load_dwordx2 s[2:3], s[4:5], 0x40
	v_lshlrev_b32_e32 v38, 3, v37
	s_waitcnt lgkmcnt(0)
	s_cmp_eq_u64 s[2:3], 0
	s_waitcnt vmcnt(1)
	v_lshlrev_b32_e32 v8, 16, v0
	v_and_b32_e32 v0, 0xffff0000, v0
	v_lshlrev_b32_e32 v9, 16, v1
	v_and_b32_e32 v1, 0xffff0000, v1
	v_mul_f32_e32 v8, 0xbfb8aa3b, v8
	v_mul_f32_e32 v17, 0xbfb8aa3b, v0
	;; [unrolled: 1-line block ×3, first 2 shown]
	v_exp_f32_e32 v0, v8
	v_exp_f32_e32 v1, v17
	v_lshlrev_b32_e32 v10, 16, v2
	v_and_b32_e32 v2, 0xffff0000, v2
	v_lshlrev_b32_e32 v11, 16, v3
	v_and_b32_e32 v3, 0xffff0000, v3
	v_mul_f32_e32 v9, 0xbfb8aa3b, v9
	v_mul_f32_e32 v19, 0xbfb8aa3b, v2
	;; [unrolled: 1-line block ×3, first 2 shown]
	v_exp_f32_e32 v2, v9
	v_exp_f32_e32 v3, v18
	s_waitcnt vmcnt(0)
	v_lshlrev_b32_e32 v12, 16, v4
	v_and_b32_e32 v4, 0xffff0000, v4
	v_pk_add_f32 v[0:1], v[0:1], 1.0 op_sel_hi:[1,0]
	v_lshlrev_b32_e32 v13, 16, v5
	v_and_b32_e32 v5, 0xffff0000, v5
	v_mul_f32_e32 v21, 0xbfb8aa3b, v4
	v_div_scale_f32 v17, s[0:1], v1, v1, 1.0
	v_lshlrev_b32_e32 v14, 16, v6
	v_lshlrev_b32_e32 v15, 16, v7
	v_and_b32_e32 v7, 0xffff0000, v7
	v_mul_f32_e32 v22, 0xbfb8aa3b, v5
	v_exp_f32_e32 v5, v19
	v_exp_f32_e32 v9, v21
	v_pk_add_f32 v[2:3], v[2:3], 1.0 op_sel_hi:[1,0]
	v_div_scale_f32 v19, s[0:1], v0, v0, 1.0
	v_rcp_f32_e32 v21, v17
	v_mul_f32_e32 v10, 0xbfb8aa3b, v10
	v_mul_f32_e32 v23, 0xbfb8aa3b, v14
	;; [unrolled: 1-line block ×4, first 2 shown]
	v_exp_f32_e32 v7, v20
	v_exp_f32_e32 v15, v22
	v_div_scale_f32 v20, s[0:1], v3, v3, 1.0
	v_rcp_f32_e32 v22, v19
	v_exp_f32_e32 v4, v10
	v_exp_f32_e32 v10, v23
	v_rcp_f32_e32 v23, v20
	v_mul_f32_e32 v12, 0xbfb8aa3b, v12
	v_and_b32_e32 v6, 0xffff0000, v6
	v_mul_f32_e32 v13, 0xbfb8aa3b, v13
	v_exp_f32_e32 v8, v12
	v_exp_f32_e32 v12, v25
	v_fma_f32 v25, -v17, v21, 1.0
	v_mul_f32_e32 v11, 0xbfb8aa3b, v11
	v_mul_f32_e32 v24, 0xbfb8aa3b, v6
	v_exp_f32_e32 v14, v13
	v_exp_f32_e32 v13, v26
	v_div_scale_f32 v18, vcc, 1.0, v1, 1.0
	v_fma_f32 v26, -v19, v22, 1.0
	v_fmac_f32_e32 v21, v25, v21
	v_exp_f32_e32 v6, v11
	v_exp_f32_e32 v11, v24
	v_div_scale_f32 v24, s[0:1], 1.0, v0, 1.0
	v_fma_f32 v27, -v20, v23, 1.0
	v_fmac_f32_e32 v22, v26, v22
	v_mul_f32_e32 v25, v18, v21
	v_fmac_f32_e32 v23, v27, v23
	v_mul_f32_e32 v26, v24, v22
	v_fma_f32 v27, -v17, v25, v18
	v_fma_f32 v28, -v19, v26, v24
	v_fmac_f32_e32 v25, v27, v21
	v_fmac_f32_e32 v26, v28, v22
	v_fma_f32 v17, -v17, v25, v18
	v_fma_f32 v18, -v19, v26, v24
	v_div_fmas_f32 v17, v17, v21, v25
	s_mov_b64 vcc, s[0:1]
	v_div_fixup_f32 v1, v17, v1, 1.0
	v_div_fmas_f32 v17, v18, v22, v26
	v_div_fixup_f32 v0, v17, v0, 1.0
	v_cmp_class_f32_e32 vcc, v1, v16
	v_cndmask_b32_e64 v1, v1, 0, vcc
	v_cmp_class_f32_e32 vcc, v0, v16
	v_cndmask_b32_e64 v0, v0, 0, vcc
	v_div_scale_f32 v17, vcc, 1.0, v3, 1.0
	v_mul_f32_e32 v18, v17, v23
	v_fma_f32 v19, -v20, v18, v17
	v_fmac_f32_e32 v18, v19, v23
	v_div_scale_f32 v19, s[0:1], v2, v2, 1.0
	v_fma_f32 v17, -v20, v18, v17
	v_rcp_f32_e32 v20, v19
	v_div_fmas_f32 v17, v17, v23, v18
	v_div_fixup_f32 v3, v17, v3, 1.0
	v_pk_add_f32 v[4:5], v[4:5], 1.0 op_sel_hi:[1,0]
	v_fma_f32 v17, -v19, v20, 1.0
	v_fmac_f32_e32 v20, v17, v20
	v_div_scale_f32 v17, vcc, 1.0, v2, 1.0
	v_mul_f32_e32 v18, v17, v20
	v_fma_f32 v21, -v19, v18, v17
	v_fmac_f32_e32 v18, v21, v20
	v_fma_f32 v17, -v19, v18, v17
	v_div_fmas_f32 v17, v17, v20, v18
	v_div_fixup_f32 v2, v17, v2, 1.0
	v_div_scale_f32 v17, s[0:1], v5, v5, 1.0
	v_rcp_f32_e32 v18, v17
	v_cmp_class_f32_e32 vcc, v3, v16
	v_cndmask_b32_e64 v3, v3, 0, vcc
	v_cmp_class_f32_e32 vcc, v2, v16
	v_fma_f32 v19, -v17, v18, 1.0
	v_cndmask_b32_e64 v2, v2, 0, vcc
	v_fmac_f32_e32 v18, v19, v18
	v_div_scale_f32 v19, vcc, 1.0, v5, 1.0
	v_mul_f32_e32 v20, v19, v18
	v_fma_f32 v21, -v17, v20, v19
	v_fmac_f32_e32 v20, v21, v18
	v_fma_f32 v17, -v17, v20, v19
	v_div_scale_f32 v19, s[0:1], v4, v4, 1.0
	v_rcp_f32_e32 v21, v19
	v_div_fmas_f32 v17, v17, v18, v20
	v_div_fixup_f32 v5, v17, v5, 1.0
	v_pk_add_f32 v[6:7], v[6:7], 1.0 op_sel_hi:[1,0]
	v_fma_f32 v17, -v19, v21, 1.0
	v_fmac_f32_e32 v21, v17, v21
	v_div_scale_f32 v17, vcc, 1.0, v4, 1.0
	v_mul_f32_e32 v18, v17, v21
	v_fma_f32 v20, -v19, v18, v17
	v_fmac_f32_e32 v18, v20, v21
	v_fma_f32 v17, -v19, v18, v17
	v_div_fmas_f32 v17, v17, v21, v18
	v_div_fixup_f32 v4, v17, v4, 1.0
	v_div_scale_f32 v17, s[0:1], v7, v7, 1.0
	v_rcp_f32_e32 v18, v17
	v_cmp_class_f32_e32 vcc, v5, v16
	v_cndmask_b32_e64 v5, v5, 0, vcc
	v_cmp_class_f32_e32 vcc, v4, v16
	v_fma_f32 v19, -v17, v18, 1.0
	v_cndmask_b32_e64 v4, v4, 0, vcc
	v_fmac_f32_e32 v18, v19, v18
	v_div_scale_f32 v19, vcc, 1.0, v7, 1.0
	v_mul_f32_e32 v20, v19, v18
	v_fma_f32 v21, -v17, v20, v19
	v_fmac_f32_e32 v20, v21, v18
	v_fma_f32 v17, -v17, v20, v19
	v_div_scale_f32 v19, s[0:1], v6, v6, 1.0
	;; [unrolled: 27-line block ×4, first 2 shown]
	v_rcp_f32_e32 v21, v19
	v_div_fmas_f32 v17, v17, v18, v20
	v_div_fixup_f32 v17, v17, v15, 1.0
	v_fma_f32 v15, -v19, v21, 1.0
	v_fmac_f32_e32 v21, v15, v21
	v_div_scale_f32 v15, vcc, 1.0, v14, 1.0
	v_mul_f32_e32 v18, v15, v21
	v_fma_f32 v20, -v19, v18, v15
	v_fmac_f32_e32 v18, v20, v21
	v_fma_f32 v15, -v19, v18, v15
	v_div_fmas_f32 v15, v15, v21, v18
	v_div_fixup_f32 v18, v15, v14, 1.0
	v_pk_add_f32 v[14:15], v[10:11], 1.0 op_sel_hi:[1,0]
	v_div_scale_f32 v19, s[0:1], v15, v15, 1.0
	v_rcp_f32_e32 v20, v19
	v_cmp_class_f32_e32 vcc, v17, v16
	v_cndmask_b32_e64 v11, v17, 0, vcc
	v_cmp_class_f32_e32 vcc, v18, v16
	v_fma_f32 v17, -v19, v20, 1.0
	v_cndmask_b32_e64 v10, v18, 0, vcc
	v_fmac_f32_e32 v20, v17, v20
	v_div_scale_f32 v17, vcc, 1.0, v15, 1.0
	v_mul_f32_e32 v18, v17, v20
	v_fma_f32 v21, -v19, v18, v17
	v_fmac_f32_e32 v18, v21, v20
	v_fma_f32 v17, -v19, v18, v17
	v_div_scale_f32 v19, s[0:1], v14, v14, 1.0
	v_rcp_f32_e32 v21, v19
	v_div_fmas_f32 v17, v17, v20, v18
	v_div_fixup_f32 v17, v17, v15, 1.0
	v_fma_f32 v15, -v19, v21, 1.0
	v_fmac_f32_e32 v21, v15, v21
	v_div_scale_f32 v15, vcc, 1.0, v14, 1.0
	v_mul_f32_e32 v18, v15, v21
	v_fma_f32 v20, -v19, v18, v15
	v_fmac_f32_e32 v18, v20, v21
	v_fma_f32 v15, -v19, v18, v15
	v_div_fmas_f32 v15, v15, v21, v18
	v_div_fixup_f32 v18, v15, v14, 1.0
	v_pk_add_f32 v[14:15], v[12:13], 1.0 op_sel_hi:[1,0]
	v_div_scale_f32 v19, s[0:1], v15, v15, 1.0
	v_rcp_f32_e32 v20, v19
	v_cmp_class_f32_e32 vcc, v17, v16
	v_cndmask_b32_e64 v13, v17, 0, vcc
	v_cmp_class_f32_e32 vcc, v18, v16
	v_fma_f32 v17, -v19, v20, 1.0
	v_cndmask_b32_e64 v12, v18, 0, vcc
	v_fmac_f32_e32 v20, v17, v20
	v_div_scale_f32 v17, vcc, 1.0, v15, 1.0
	v_mul_f32_e32 v18, v17, v20
	v_fma_f32 v21, -v19, v18, v17
	v_fmac_f32_e32 v18, v21, v20
	v_fma_f32 v17, -v19, v18, v17
	v_div_scale_f32 v19, s[0:1], v14, v14, 1.0
	v_rcp_f32_e32 v21, v19
	v_div_fmas_f32 v17, v17, v20, v18
	v_div_fixup_f32 v15, v17, v15, 1.0
	v_fma_f32 v17, -v19, v21, 1.0
	v_fmac_f32_e32 v21, v17, v21
	v_div_scale_f32 v17, vcc, 1.0, v14, 1.0
	v_mul_f32_e32 v18, v17, v21
	v_fma_f32 v20, -v19, v18, v17
	v_fmac_f32_e32 v18, v20, v21
	v_fma_f32 v17, -v19, v18, v17
	v_div_fmas_f32 v17, v17, v21, v18
	v_div_fixup_f32 v14, v17, v14, 1.0
	v_cmp_class_f32_e32 vcc, v15, v16
	v_cndmask_b32_e64 v15, v15, 0, vcc
	v_cmp_class_f32_e32 vcc, v14, v16
	v_cndmask_b32_e64 v14, v14, 0, vcc
	s_cbranch_scc1 .LBB329_31
; %bb.4:
	v_lshlrev_b32_e32 v32, 2, v38
	global_load_dwordx4 v[16:19], v32, s[2:3]
	global_load_dwordx4 v[20:23], v32, s[2:3] offset:16
	global_load_dwordx4 v[24:27], v32, s[2:3] offset:1024
	;; [unrolled: 1-line block ×3, first 2 shown]
	s_waitcnt vmcnt(3)
	v_pk_add_f32 v[16:17], v[16:17], v[0:1]
	v_pk_add_f32 v[18:19], v[18:19], v[2:3]
	s_waitcnt vmcnt(2)
	v_pk_add_f32 v[20:21], v[20:21], v[4:5]
	v_pk_add_f32 v[22:23], v[22:23], v[6:7]
	;; [unrolled: 3-line block ×4, first 2 shown]
	s_cbranch_execnz .LBB329_6
.LBB329_5:
	v_pk_mov_b32 v[30:31], v[14:15], v[14:15] op_sel:[0,1]
	v_pk_mov_b32 v[28:29], v[12:13], v[12:13] op_sel:[0,1]
	;; [unrolled: 1-line block ×8, first 2 shown]
.LBB329_6:
	s_load_dwordx4 s[8:11], s[4:5], 0x30
	s_mov_b32 s25, 0
	v_cmp_eq_u32_e64 s[0:1], 0, v37
	s_waitcnt lgkmcnt(0)
	s_bitcmp1_b32 s11, 0
	s_cselect_b64 vcc, -1, 0
	s_cmp_gt_i32 s8, 0
	s_cselect_b64 s[20:21], -1, 0
	s_cmp_lt_i32 s8, 1
	s_cbranch_scc1 .LBB329_32
; %bb.7:
	v_mbcnt_lo_u32_b32 v32, -1, 0
	v_mbcnt_hi_u32_b32 v32, -1, v32
	v_and_b32_e32 v34, 0x60, v32
	v_add_u32_e32 v34, 32, v34
	v_xor_b32_e32 v35, 16, v32
	v_cmp_lt_i32_e64 s[2:3], v35, v34
	v_cndmask_b32_e64 v35, v32, v35, s[2:3]
	v_lshlrev_b32_e32 v41, 2, v35
	v_xor_b32_e32 v35, 8, v32
	v_cmp_lt_i32_e64 s[2:3], v35, v34
	v_cndmask_b32_e64 v35, v32, v35, s[2:3]
	v_lshlrev_b32_e32 v42, 2, v35
	;; [unrolled: 4-line block ×3, first 2 shown]
	v_xor_b32_e32 v35, 2, v32
	v_cmp_lt_i32_e64 s[2:3], v35, v34
	s_load_dwordx4 s[12:15], s[4:5], 0x20
	v_cndmask_b32_e64 v35, v32, v35, s[2:3]
	v_lshlrev_b32_e32 v44, 2, v35
	v_xor_b32_e32 v35, 1, v32
	v_cmp_lt_i32_e64 s[2:3], v35, v34
	v_cndmask_b32_e64 v32, v32, v35, s[2:3]
	v_mul_lo_u32 v40, v33, s8
	v_lshlrev_b32_e32 v45, 2, v32
	v_mov_b32_e32 v39, 0
	v_mov_b32_e32 v46, 0x100
	;; [unrolled: 1-line block ×3, first 2 shown]
	v_bfrev_b32_e32 v48, 4.0
	v_bfrev_b32_e32 v49, -4.0
	v_mov_b32_e32 v50, 0x104
	v_mov_b32_e32 v51, 0x105
	;; [unrolled: 1-line block ×7, first 2 shown]
	s_branch .LBB329_10
.LBB329_8:                              ;   in Loop: Header=BB329_10 Depth=1
	s_or_b64 exec, exec, s[4:5]
.LBB329_9:                              ;   in Loop: Header=BB329_10 Depth=1
	s_cmp_eq_u32 s8, s25
	v_add_u32_e32 v56, s24, v56
	s_cbranch_scc1 .LBB329_33
.LBB329_10:                             ; =>This Inner Loop Header: Depth=1
	v_cmp_gt_f32_e64 s[2:3], v17, v16
	s_waitcnt lgkmcnt(0)
	v_cndmask_b32_e64 v35, v16, v17, s[2:3]
	v_cndmask_b32_e64 v32, 0, 1, s[2:3]
	v_cndmask_b32_e64 v34, v0, v1, s[2:3]
	v_cmp_gt_f32_e64 s[2:3], v18, v35
	v_cndmask_b32_e64 v35, v35, v18, s[2:3]
	v_cndmask_b32_e64 v32, v32, 2, s[2:3]
	v_cndmask_b32_e64 v34, v34, v2, s[2:3]
	v_cmp_gt_f32_e64 s[2:3], v19, v35
	;; [unrolled: 4-line block ×14, first 2 shown]
	v_cndmask_b32_e64 v32, v32, v53, s[2:3]
	v_cndmask_b32_e64 v57, v35, v31, s[2:3]
	v_or_b32_e32 v58, v38, v32
	v_cndmask_b32_e64 v32, v34, v15, s[2:3]
	ds_bpermute_b32 v60, v41, v57
	ds_bpermute_b32 v36, v41, v32
	;; [unrolled: 1-line block ×3, first 2 shown]
                                        ; implicit-def: $vgpr34_vgpr35
	s_waitcnt lgkmcnt(0)
	v_cmp_lt_f32_e64 s[6:7], v57, v60
	v_cmp_nlt_f32_e64 s[2:3], v57, v60
	s_and_saveexec_b64 s[22:23], s[2:3]
; %bb.11:                               ;   in Loop: Header=BB329_10 Depth=1
	v_cmp_eq_f32_e64 s[2:3], v57, v60
	v_cmp_lt_i32_e64 s[4:5], v59, v58
	s_and_b64 s[2:3], s[2:3], s[4:5]
	s_andn2_b64 s[4:5], s[6:7], exec
	s_and_b64 s[2:3], s[2:3], exec
	s_or_b64 s[6:7], s[4:5], s[2:3]
	v_pk_mov_b32 v[34:35], v[32:33], v[32:33] op_sel:[0,1]
; %bb.12:                               ;   in Loop: Header=BB329_10 Depth=1
	s_or_b64 exec, exec, s[22:23]
	s_and_saveexec_b64 s[2:3], s[6:7]
; %bb.13:                               ;   in Loop: Header=BB329_10 Depth=1
	v_mov_b32_e32 v57, v60
	v_mov_b32_e32 v32, v36
	;; [unrolled: 1-line block ×3, first 2 shown]
	v_pk_mov_b32 v[34:35], v[36:37], v[36:37] op_sel:[0,1]
; %bb.14:                               ;   in Loop: Header=BB329_10 Depth=1
	s_or_b64 exec, exec, s[2:3]
	ds_bpermute_b32 v59, v42, v57
	ds_bpermute_b32 v36, v42, v32
	;; [unrolled: 1-line block ×3, first 2 shown]
	s_waitcnt lgkmcnt(2)
	v_cmp_lt_f32_e64 s[6:7], v57, v59
	v_cmp_nlt_f32_e64 s[2:3], v57, v59
	s_and_saveexec_b64 s[22:23], s[2:3]
	s_cbranch_execz .LBB329_16
; %bb.15:                               ;   in Loop: Header=BB329_10 Depth=1
	v_cmp_eq_f32_e64 s[2:3], v57, v59
	s_waitcnt lgkmcnt(0)
	v_cmp_lt_i32_e64 s[4:5], v35, v58
	s_and_b64 s[2:3], s[2:3], s[4:5]
	s_andn2_b64 s[4:5], s[6:7], exec
	s_and_b64 s[2:3], s[2:3], exec
	s_or_b64 s[6:7], s[4:5], s[2:3]
.LBB329_16:                             ;   in Loop: Header=BB329_10 Depth=1
	s_or_b64 exec, exec, s[22:23]
	s_and_saveexec_b64 s[2:3], s[6:7]
	s_cbranch_execz .LBB329_18
; %bb.17:                               ;   in Loop: Header=BB329_10 Depth=1
	v_mov_b32_e32 v57, v59
	s_waitcnt lgkmcnt(1)
	v_mov_b32_e32 v32, v36
	s_waitcnt lgkmcnt(0)
	v_mov_b32_e32 v58, v35
	v_pk_mov_b32 v[34:35], v[36:37], v[36:37] op_sel:[0,1]
.LBB329_18:                             ;   in Loop: Header=BB329_10 Depth=1
	s_or_b64 exec, exec, s[2:3]
	ds_bpermute_b32 v59, v43, v57
	s_waitcnt lgkmcnt(2)
	ds_bpermute_b32 v36, v43, v32
	s_waitcnt lgkmcnt(2)
	;; [unrolled: 2-line block ×3, first 2 shown]
	v_cmp_lt_f32_e64 s[6:7], v57, v59
	v_cmp_nlt_f32_e64 s[2:3], v57, v59
	s_and_saveexec_b64 s[22:23], s[2:3]
	s_cbranch_execz .LBB329_20
; %bb.19:                               ;   in Loop: Header=BB329_10 Depth=1
	v_cmp_eq_f32_e64 s[2:3], v57, v59
	s_waitcnt lgkmcnt(0)
	v_cmp_lt_i32_e64 s[4:5], v35, v58
	s_and_b64 s[2:3], s[2:3], s[4:5]
	s_andn2_b64 s[4:5], s[6:7], exec
	s_and_b64 s[2:3], s[2:3], exec
	s_or_b64 s[6:7], s[4:5], s[2:3]
.LBB329_20:                             ;   in Loop: Header=BB329_10 Depth=1
	s_or_b64 exec, exec, s[22:23]
	s_and_saveexec_b64 s[2:3], s[6:7]
	s_cbranch_execz .LBB329_22
; %bb.21:                               ;   in Loop: Header=BB329_10 Depth=1
	v_mov_b32_e32 v57, v59
	s_waitcnt lgkmcnt(1)
	v_mov_b32_e32 v32, v36
	s_waitcnt lgkmcnt(0)
	v_mov_b32_e32 v58, v35
	v_pk_mov_b32 v[34:35], v[36:37], v[36:37] op_sel:[0,1]
.LBB329_22:                             ;   in Loop: Header=BB329_10 Depth=1
	s_or_b64 exec, exec, s[2:3]
	ds_bpermute_b32 v59, v44, v57
	s_waitcnt lgkmcnt(2)
	ds_bpermute_b32 v36, v44, v32
	s_waitcnt lgkmcnt(2)
	;; [unrolled: 2-line block ×3, first 2 shown]
	v_cmp_lt_f32_e64 s[6:7], v57, v59
	v_cmp_nlt_f32_e64 s[2:3], v57, v59
	s_and_saveexec_b64 s[22:23], s[2:3]
	s_cbranch_execz .LBB329_24
; %bb.23:                               ;   in Loop: Header=BB329_10 Depth=1
	v_cmp_eq_f32_e64 s[2:3], v57, v59
	s_waitcnt lgkmcnt(0)
	v_cmp_lt_i32_e64 s[4:5], v35, v58
	s_and_b64 s[2:3], s[2:3], s[4:5]
	s_andn2_b64 s[4:5], s[6:7], exec
	s_and_b64 s[2:3], s[2:3], exec
	s_or_b64 s[6:7], s[4:5], s[2:3]
.LBB329_24:                             ;   in Loop: Header=BB329_10 Depth=1
	s_or_b64 exec, exec, s[22:23]
	s_and_saveexec_b64 s[2:3], s[6:7]
	s_cbranch_execz .LBB329_26
; %bb.25:                               ;   in Loop: Header=BB329_10 Depth=1
	v_mov_b32_e32 v57, v59
	s_waitcnt lgkmcnt(1)
	v_mov_b32_e32 v32, v36
	s_waitcnt lgkmcnt(0)
	v_mov_b32_e32 v58, v35
	v_pk_mov_b32 v[34:35], v[36:37], v[36:37] op_sel:[0,1]
.LBB329_26:                             ;   in Loop: Header=BB329_10 Depth=1
	s_or_b64 exec, exec, s[2:3]
	s_waitcnt lgkmcnt(1)
	ds_bpermute_b32 v36, v45, v57
	ds_bpermute_b32 v59, v45, v58
	s_waitcnt lgkmcnt(2)
	ds_bpermute_b32 v35, v45, v32
	s_waitcnt lgkmcnt(2)
	v_cmp_eq_f32_e64 s[4:5], v57, v36
	s_waitcnt lgkmcnt(1)
	v_cmp_lt_i32_e64 s[6:7], v59, v58
	v_cmp_lt_f32_e64 s[2:3], v57, v36
	s_and_b64 s[4:5], s[4:5], s[6:7]
	s_or_b64 s[2:3], s[2:3], s[4:5]
	v_cndmask_b32_e64 v32, v58, v59, s[2:3]
	s_and_saveexec_b64 s[6:7], s[0:1]
	s_cbranch_execnz .LBB329_28
; %bb.27:                               ;   in Loop: Header=BB329_10 Depth=1
	s_or_b64 exec, exec, s[6:7]
	s_add_i32 s25, s25, 1
	s_cmp_ge_i32 s25, s8
	s_cbranch_scc1 .LBB329_9
	s_branch .LBB329_29
.LBB329_28:                             ;   in Loop: Header=BB329_10 Depth=1
	s_waitcnt lgkmcnt(0)
	v_cndmask_b32_e64 v36, v34, v35, s[2:3]
	v_add_u32_e32 v34, s25, v40
	v_ashrrev_i32_e32 v35, 31, v34
	v_cmp_le_i32_e64 s[2:3], s9, v32
	v_cmp_gt_i32_e64 s[4:5], s10, v32
	v_lshlrev_b64 v[34:35], 2, v[34:35]
	s_and_b64 s[4:5], s[2:3], s[4:5]
	v_mov_b32_e32 v57, s17
	v_add_co_u32_e64 v58, s[2:3], s16, v34
	v_addc_co_u32_e64 v59, s[2:3], v57, v35, s[2:3]
	v_subrev_u32_e32 v57, s9, v32
	s_and_b64 s[2:3], s[18:19], s[4:5]
	global_store_dword v[58:59], v36, off
	v_cndmask_b32_e64 v57, v54, v57, s[2:3]
	v_mov_b32_e32 v59, s13
	v_add_co_u32_e64 v58, s[2:3], s12, v34
	v_addc_co_u32_e64 v59, s[2:3], v59, v35, s[2:3]
	global_store_dword v[58:59], v57, off
	v_mov_b32_e32 v57, s15
	v_add_co_u32_e64 v34, s[2:3], s14, v34
	v_addc_co_u32_e64 v35, s[2:3], v57, v35, s[2:3]
	global_store_dword v[34:35], v56, off
	v_add_f32_e32 v34, v39, v36
	v_cndmask_b32_e32 v39, v39, v34, vcc
	s_or_b64 exec, exec, s[6:7]
	s_add_i32 s25, s25, 1
	s_cmp_ge_i32 s25, s8
	s_cbranch_scc1 .LBB329_9
.LBB329_29:                             ;   in Loop: Header=BB329_10 Depth=1
	v_ashrrev_i32_e32 v34, 31, v32
	s_waitcnt lgkmcnt(0)
	v_lshrrev_b32_e32 v35, 29, v34
	v_add_u32_e32 v36, v32, v35
	v_ashrrev_i32_e32 v35, 3, v36
	v_ashrrev_i32_e32 v36, 31, v36
	v_lshrrev_b32_e32 v36, 27, v36
	v_add_u32_e32 v36, v35, v36
	v_and_b32_e32 v36, 0xffffffe0, v36
	v_sub_u32_e32 v36, v35, v36
	v_cmp_eq_u32_e64 s[2:3], v37, v36
	s_and_saveexec_b64 s[4:5], s[2:3]
	s_cbranch_execz .LBB329_8
; %bb.30:                               ;   in Loop: Header=BB329_10 Depth=1
	v_add_u32_sdwa v34, v32, v34 dst_sel:DWORD dst_unused:UNUSED_PAD src0_sel:DWORD src1_sel:BYTE_3
	v_lshlrev_b32_e32 v35, 3, v35
	v_ashrrev_i32_e32 v34, 8, v34
	v_sub_u32_e32 v32, v32, v35
	v_lshl_add_u32 v32, v34, 3, v32
	v_cmp_ne_u32_e64 s[2:3], 15, v32
	v_cndmask_b32_e64 v31, v55, v31, s[2:3]
	v_cmp_ne_u32_e64 s[2:3], 14, v32
	v_cndmask_b32_e64 v30, v55, v30, s[2:3]
	;; [unrolled: 2-line block ×16, first 2 shown]
	s_branch .LBB329_8
.LBB329_31:
                                        ; implicit-def: $vgpr16_vgpr17_vgpr18_vgpr19_vgpr20_vgpr21_vgpr22_vgpr23_vgpr24_vgpr25_vgpr26_vgpr27_vgpr28_vgpr29_vgpr30_vgpr31
	s_andn2_b64 vcc, exec, s[6:7]
	s_cbranch_vccz .LBB329_5
	s_branch .LBB329_6
.LBB329_32:
	v_mov_b32_e32 v39, 0
.LBB329_33:
	v_cmp_eq_u32_e64 s[0:1], 0, v37
	s_and_b64 s[0:1], s[0:1], vcc
	s_and_b64 exec, exec, s[0:1]
	s_cbranch_execz .LBB329_42
; %bb.34:
	s_andn2_b64 vcc, exec, s[20:21]
	s_cbranch_vccnz .LBB329_42
; %bb.35:
	v_cmp_lt_f32_e32 vcc, 0, v39
	s_mov_b32 s2, 0
	v_cndmask_b32_e32 v0, 1.0, v39, vcc
	v_mul_lo_u32 v4, v33, s8
	s_cmp_eq_u32 s8, 1
	s_mov_b64 s[0:1], -1
	s_cbranch_scc1 .LBB329_39
; %bb.36:
	s_and_b32 s2, s8, 0x7ffffffe
	v_mov_b32_e32 v1, v0
	v_mov_b32_e32 v5, s17
	s_mov_b32 s3, s2
	v_mov_b32_e32 v2, v4
.LBB329_37:                             ; =>This Inner Loop Header: Depth=1
	v_ashrrev_i32_e32 v3, 31, v2
	v_lshlrev_b64 v[6:7], 2, v[2:3]
	v_add_co_u32_e32 v6, vcc, s16, v6
	v_addc_co_u32_e32 v7, vcc, v5, v7, vcc
	global_load_dwordx2 v[8:9], v[6:7], off
	s_add_i32 s3, s3, -2
	s_cmp_lg_u32 s3, 0
	v_add_u32_e32 v2, 2, v2
	s_waitcnt vmcnt(0)
	v_div_scale_f32 v3, s[0:1], v1, v1, v9
	v_div_scale_f32 v11, s[0:1], v0, v0, v8
	v_rcp_f32_e32 v12, v3
	v_rcp_f32_e32 v13, v11
	v_div_scale_f32 v10, vcc, v9, v1, v9
	v_fma_f32 v15, -v3, v12, 1.0
	v_fma_f32 v16, -v11, v13, 1.0
	v_fmac_f32_e32 v12, v15, v12
	v_div_scale_f32 v14, s[0:1], v8, v0, v8
	v_fmac_f32_e32 v13, v16, v13
	v_mul_f32_e32 v15, v10, v12
	v_mul_f32_e32 v16, v14, v13
	v_fma_f32 v17, -v3, v15, v10
	v_fma_f32 v18, -v11, v16, v14
	v_fmac_f32_e32 v15, v17, v12
	v_fmac_f32_e32 v16, v18, v13
	v_fma_f32 v3, -v3, v15, v10
	v_fma_f32 v10, -v11, v16, v14
	v_div_fmas_f32 v3, v3, v12, v15
	s_mov_b64 vcc, s[0:1]
	v_div_fixup_f32 v9, v3, v1, v9
	v_div_fmas_f32 v3, v10, v13, v16
	v_div_fixup_f32 v8, v3, v0, v8
	global_store_dwordx2 v[6:7], v[8:9], off
	s_cbranch_scc1 .LBB329_37
; %bb.38:
	s_cmp_lg_u32 s2, s8
	s_cselect_b64 s[0:1], -1, 0
.LBB329_39:
	s_and_b64 vcc, exec, s[0:1]
	s_cbranch_vccz .LBB329_42
; %bb.40:
	v_ashrrev_i32_e32 v1, 31, v4
	v_add_co_u32_e32 v2, vcc, s2, v4
	v_addc_co_u32_e32 v3, vcc, 0, v1, vcc
	v_lshlrev_b64 v[2:3], 2, v[2:3]
	v_mov_b32_e32 v1, s17
	v_add_co_u32_e32 v2, vcc, s16, v2
	s_sub_i32 s0, s8, s2
	v_addc_co_u32_e32 v3, vcc, v1, v3, vcc
.LBB329_41:                             ; =>This Inner Loop Header: Depth=1
	global_load_dword v1, v[2:3], off
	s_add_i32 s0, s0, -1
	s_cmp_lg_u32 s0, 0
	s_waitcnt vmcnt(0)
	v_div_scale_f32 v4, s[2:3], v0, v0, v1
	v_rcp_f32_e32 v5, v4
	v_div_scale_f32 v6, vcc, v1, v0, v1
	v_fma_f32 v7, -v4, v5, 1.0
	v_fmac_f32_e32 v5, v7, v5
	v_mul_f32_e32 v7, v6, v5
	v_fma_f32 v8, -v4, v7, v6
	v_fmac_f32_e32 v7, v8, v5
	v_fma_f32 v4, -v4, v7, v6
	v_div_fmas_f32 v4, v4, v5, v7
	v_div_fixup_f32 v1, v4, v0, v1
	global_store_dword v[2:3], v1, off
	v_add_co_u32_e32 v2, vcc, 4, v2
	v_addc_co_u32_e32 v3, vcc, 0, v3, vcc
	s_cbranch_scc1 .LBB329_41
.LBB329_42:
	s_endpgm
	.section	.rodata,"a",@progbits
	.p2align	6, 0x0
	.amdhsa_kernel _ZN4vllm3moe10topkGatingILi16ELi512ELi4ELi16ELi32Ei14__hip_bfloat16LNS0_11ScoringFuncE1EEEvPKT5_PKbPfiPT4_PiiiibPKf
		.amdhsa_group_segment_fixed_size 0
		.amdhsa_private_segment_fixed_size 0
		.amdhsa_kernarg_size 72
		.amdhsa_user_sgpr_count 6
		.amdhsa_user_sgpr_private_segment_buffer 1
		.amdhsa_user_sgpr_dispatch_ptr 0
		.amdhsa_user_sgpr_queue_ptr 0
		.amdhsa_user_sgpr_kernarg_segment_ptr 1
		.amdhsa_user_sgpr_dispatch_id 0
		.amdhsa_user_sgpr_flat_scratch_init 0
		.amdhsa_user_sgpr_kernarg_preload_length 0
		.amdhsa_user_sgpr_kernarg_preload_offset 0
		.amdhsa_user_sgpr_private_segment_size 0
		.amdhsa_uses_dynamic_stack 0
		.amdhsa_system_sgpr_private_segment_wavefront_offset 0
		.amdhsa_system_sgpr_workgroup_id_x 1
		.amdhsa_system_sgpr_workgroup_id_y 0
		.amdhsa_system_sgpr_workgroup_id_z 0
		.amdhsa_system_sgpr_workgroup_info 0
		.amdhsa_system_vgpr_workitem_id 1
		.amdhsa_next_free_vgpr 61
		.amdhsa_next_free_sgpr 26
		.amdhsa_accum_offset 64
		.amdhsa_reserve_vcc 1
		.amdhsa_reserve_flat_scratch 0
		.amdhsa_float_round_mode_32 0
		.amdhsa_float_round_mode_16_64 0
		.amdhsa_float_denorm_mode_32 3
		.amdhsa_float_denorm_mode_16_64 3
		.amdhsa_dx10_clamp 1
		.amdhsa_ieee_mode 1
		.amdhsa_fp16_overflow 0
		.amdhsa_tg_split 0
		.amdhsa_exception_fp_ieee_invalid_op 0
		.amdhsa_exception_fp_denorm_src 0
		.amdhsa_exception_fp_ieee_div_zero 0
		.amdhsa_exception_fp_ieee_overflow 0
		.amdhsa_exception_fp_ieee_underflow 0
		.amdhsa_exception_fp_ieee_inexact 0
		.amdhsa_exception_int_div_zero 0
	.end_amdhsa_kernel
	.section	.text._ZN4vllm3moe10topkGatingILi16ELi512ELi4ELi16ELi32Ei14__hip_bfloat16LNS0_11ScoringFuncE1EEEvPKT5_PKbPfiPT4_PiiiibPKf,"axG",@progbits,_ZN4vllm3moe10topkGatingILi16ELi512ELi4ELi16ELi32Ei14__hip_bfloat16LNS0_11ScoringFuncE1EEEvPKT5_PKbPfiPT4_PiiiibPKf,comdat
.Lfunc_end329:
	.size	_ZN4vllm3moe10topkGatingILi16ELi512ELi4ELi16ELi32Ei14__hip_bfloat16LNS0_11ScoringFuncE1EEEvPKT5_PKbPfiPT4_PiiiibPKf, .Lfunc_end329-_ZN4vllm3moe10topkGatingILi16ELi512ELi4ELi16ELi32Ei14__hip_bfloat16LNS0_11ScoringFuncE1EEEvPKT5_PKbPfiPT4_PiiiibPKf
                                        ; -- End function
	.section	.AMDGPU.csdata,"",@progbits
; Kernel info:
; codeLenInByte = 4552
; NumSgprs: 30
; NumVgprs: 61
; NumAgprs: 0
; TotalNumVgprs: 61
; ScratchSize: 0
; MemoryBound: 0
; FloatMode: 240
; IeeeMode: 1
; LDSByteSize: 0 bytes/workgroup (compile time only)
; SGPRBlocks: 3
; VGPRBlocks: 7
; NumSGPRsForWavesPerEU: 30
; NumVGPRsForWavesPerEU: 61
; AccumOffset: 64
; Occupancy: 8
; WaveLimiterHint : 1
; COMPUTE_PGM_RSRC2:SCRATCH_EN: 0
; COMPUTE_PGM_RSRC2:USER_SGPR: 6
; COMPUTE_PGM_RSRC2:TRAP_HANDLER: 0
; COMPUTE_PGM_RSRC2:TGID_X_EN: 1
; COMPUTE_PGM_RSRC2:TGID_Y_EN: 0
; COMPUTE_PGM_RSRC2:TGID_Z_EN: 0
; COMPUTE_PGM_RSRC2:TIDIG_COMP_CNT: 1
; COMPUTE_PGM_RSRC3_GFX90A:ACCUM_OFFSET: 15
; COMPUTE_PGM_RSRC3_GFX90A:TG_SPLIT: 0
	.section	.text._ZN4vllm3moe10moeSigmoidILi256E14__hip_bfloat16EEvPKT0_PKbPfi,"axG",@progbits,_ZN4vllm3moe10moeSigmoidILi256E14__hip_bfloat16EEvPKT0_PKbPfi,comdat
	.protected	_ZN4vllm3moe10moeSigmoidILi256E14__hip_bfloat16EEvPKT0_PKbPfi ; -- Begin function _ZN4vllm3moe10moeSigmoidILi256E14__hip_bfloat16EEvPKT0_PKbPfi
	.globl	_ZN4vllm3moe10moeSigmoidILi256E14__hip_bfloat16EEvPKT0_PKbPfi
	.p2align	8
	.type	_ZN4vllm3moe10moeSigmoidILi256E14__hip_bfloat16EEvPKT0_PKbPfi,@function
_ZN4vllm3moe10moeSigmoidILi256E14__hip_bfloat16EEvPKT0_PKbPfi: ; @_ZN4vllm3moe10moeSigmoidILi256E14__hip_bfloat16EEvPKT0_PKbPfi
; %bb.0:
	s_load_dwordx4 s[8:11], s[4:5], 0x0
	s_load_dword s7, s[4:5], 0x18
	s_mov_b64 s[12:13], 0
	s_waitcnt lgkmcnt(0)
	s_cmp_eq_u64 s[10:11], 0
	v_cmp_gt_i32_e64 s[0:1], s7, v0
	s_cbranch_scc1 .LBB330_7
; %bb.1:
	v_mov_b32_e32 v1, s6
	global_load_ubyte v1, v1, s[10:11]
	s_waitcnt vmcnt(0)
	v_and_b32_e32 v1, 1, v1
	v_cmp_eq_u32_e32 vcc, 1, v1
	s_xor_b64 s[2:3], vcc, -1
	s_and_b64 s[2:3], s[0:1], s[2:3]
	s_and_b64 s[2:3], s[2:3], exec
	s_andn2_b64 vcc, exec, s[12:13]
	s_cbranch_vccnz .LBB330_3
.LBB330_2:
	s_andn2_b64 s[2:3], s[2:3], exec
	s_and_b64 s[0:1], s[0:1], exec
	s_or_b64 s[2:3], s[2:3], s[0:1]
.LBB330_3:
	s_and_saveexec_b64 s[0:1], s[2:3]
	s_cbranch_execz .LBB330_6
; %bb.4:
	s_mul_i32 s6, s6, s7
	s_ashr_i32 s2, s6, 31
	s_load_dwordx2 s[0:1], s[4:5], 0x10
	v_mov_b32_e32 v1, s2
	v_add_co_u32_e32 v4, vcc, s6, v0
	v_addc_co_u32_e32 v5, vcc, 0, v1, vcc
	v_lshlrev_b64 v[2:3], 1, v[4:5]
	v_mov_b32_e32 v1, s9
	v_add_co_u32_e32 v2, vcc, s8, v2
	v_addc_co_u32_e32 v3, vcc, v1, v3, vcc
	v_lshlrev_b64 v[4:5], 2, v[4:5]
	s_waitcnt lgkmcnt(0)
	v_mov_b32_e32 v1, s1
	v_add_co_u32_e32 v4, vcc, s0, v4
	v_addc_co_u32_e32 v5, vcc, v1, v5, vcc
	s_mov_b64 s[0:1], 0
	s_movk_i32 s2, 0x1f8
.LBB330_5:                              ; =>This Inner Loop Header: Depth=1
	global_load_ushort v1, v[2:3], off
	v_add_u32_e32 v0, 0x100, v0
	v_cmp_le_i32_e32 vcc, s7, v0
	s_or_b64 s[0:1], vcc, s[0:1]
	s_waitcnt vmcnt(0)
	v_lshlrev_b32_e32 v1, 16, v1
	v_mul_f32_e32 v1, 0xbfb8aa3b, v1
	v_exp_f32_e32 v1, v1
	v_add_f32_e32 v1, 1.0, v1
	v_div_scale_f32 v6, s[4:5], v1, v1, 1.0
	v_rcp_f32_e32 v8, v6
	v_div_scale_f32 v7, vcc, 1.0, v1, 1.0
	v_fma_f32 v9, -v6, v8, 1.0
	v_fmac_f32_e32 v8, v9, v8
	v_mul_f32_e32 v9, v7, v8
	v_fma_f32 v10, -v6, v9, v7
	v_fmac_f32_e32 v9, v10, v8
	v_fma_f32 v6, -v6, v9, v7
	v_div_fmas_f32 v6, v6, v8, v9
	v_add_co_u32_e32 v2, vcc, 0x200, v2
	v_div_fixup_f32 v1, v6, v1, 1.0
	v_addc_co_u32_e32 v3, vcc, 0, v3, vcc
	v_cmp_class_f32_e64 vcc, v1, s2
	v_cndmask_b32_e32 v1, 0, v1, vcc
	global_store_dword v[4:5], v1, off
	v_add_co_u32_e32 v4, vcc, 0x400, v4
	v_addc_co_u32_e32 v5, vcc, 0, v5, vcc
	s_andn2_b64 exec, exec, s[0:1]
	s_cbranch_execnz .LBB330_5
.LBB330_6:
	s_endpgm
.LBB330_7:
	s_mov_b64 s[2:3], 0
	s_branch .LBB330_2
	.section	.rodata,"a",@progbits
	.p2align	6, 0x0
	.amdhsa_kernel _ZN4vllm3moe10moeSigmoidILi256E14__hip_bfloat16EEvPKT0_PKbPfi
		.amdhsa_group_segment_fixed_size 0
		.amdhsa_private_segment_fixed_size 0
		.amdhsa_kernarg_size 28
		.amdhsa_user_sgpr_count 6
		.amdhsa_user_sgpr_private_segment_buffer 1
		.amdhsa_user_sgpr_dispatch_ptr 0
		.amdhsa_user_sgpr_queue_ptr 0
		.amdhsa_user_sgpr_kernarg_segment_ptr 1
		.amdhsa_user_sgpr_dispatch_id 0
		.amdhsa_user_sgpr_flat_scratch_init 0
		.amdhsa_user_sgpr_kernarg_preload_length 0
		.amdhsa_user_sgpr_kernarg_preload_offset 0
		.amdhsa_user_sgpr_private_segment_size 0
		.amdhsa_uses_dynamic_stack 0
		.amdhsa_system_sgpr_private_segment_wavefront_offset 0
		.amdhsa_system_sgpr_workgroup_id_x 1
		.amdhsa_system_sgpr_workgroup_id_y 0
		.amdhsa_system_sgpr_workgroup_id_z 0
		.amdhsa_system_sgpr_workgroup_info 0
		.amdhsa_system_vgpr_workitem_id 0
		.amdhsa_next_free_vgpr 11
		.amdhsa_next_free_sgpr 14
		.amdhsa_accum_offset 12
		.amdhsa_reserve_vcc 1
		.amdhsa_reserve_flat_scratch 0
		.amdhsa_float_round_mode_32 0
		.amdhsa_float_round_mode_16_64 0
		.amdhsa_float_denorm_mode_32 3
		.amdhsa_float_denorm_mode_16_64 3
		.amdhsa_dx10_clamp 1
		.amdhsa_ieee_mode 1
		.amdhsa_fp16_overflow 0
		.amdhsa_tg_split 0
		.amdhsa_exception_fp_ieee_invalid_op 0
		.amdhsa_exception_fp_denorm_src 0
		.amdhsa_exception_fp_ieee_div_zero 0
		.amdhsa_exception_fp_ieee_overflow 0
		.amdhsa_exception_fp_ieee_underflow 0
		.amdhsa_exception_fp_ieee_inexact 0
		.amdhsa_exception_int_div_zero 0
	.end_amdhsa_kernel
	.section	.text._ZN4vllm3moe10moeSigmoidILi256E14__hip_bfloat16EEvPKT0_PKbPfi,"axG",@progbits,_ZN4vllm3moe10moeSigmoidILi256E14__hip_bfloat16EEvPKT0_PKbPfi,comdat
.Lfunc_end330:
	.size	_ZN4vllm3moe10moeSigmoidILi256E14__hip_bfloat16EEvPKT0_PKbPfi, .Lfunc_end330-_ZN4vllm3moe10moeSigmoidILi256E14__hip_bfloat16EEvPKT0_PKbPfi
                                        ; -- End function
	.section	.AMDGPU.csdata,"",@progbits
; Kernel info:
; codeLenInByte = 368
; NumSgprs: 18
; NumVgprs: 11
; NumAgprs: 0
; TotalNumVgprs: 11
; ScratchSize: 0
; MemoryBound: 0
; FloatMode: 240
; IeeeMode: 1
; LDSByteSize: 0 bytes/workgroup (compile time only)
; SGPRBlocks: 2
; VGPRBlocks: 1
; NumSGPRsForWavesPerEU: 18
; NumVGPRsForWavesPerEU: 11
; AccumOffset: 12
; Occupancy: 8
; WaveLimiterHint : 0
; COMPUTE_PGM_RSRC2:SCRATCH_EN: 0
; COMPUTE_PGM_RSRC2:USER_SGPR: 6
; COMPUTE_PGM_RSRC2:TRAP_HANDLER: 0
; COMPUTE_PGM_RSRC2:TGID_X_EN: 1
; COMPUTE_PGM_RSRC2:TGID_Y_EN: 0
; COMPUTE_PGM_RSRC2:TGID_Z_EN: 0
; COMPUTE_PGM_RSRC2:TIDIG_COMP_CNT: 0
; COMPUTE_PGM_RSRC3_GFX90A:ACCUM_OFFSET: 2
; COMPUTE_PGM_RSRC3_GFX90A:TG_SPLIT: 0
	.section	.text._ZN4vllm3moe10topkGatingILi1ELi1ELi4ELi2ELi64Ej14__hip_bfloat16LNS0_11ScoringFuncE1EEEvPKT5_PKbPfiPT4_PiiiibPKf,"axG",@progbits,_ZN4vllm3moe10topkGatingILi1ELi1ELi4ELi2ELi64Ej14__hip_bfloat16LNS0_11ScoringFuncE1EEEvPKT5_PKbPfiPT4_PiiiibPKf,comdat
	.protected	_ZN4vllm3moe10topkGatingILi1ELi1ELi4ELi2ELi64Ej14__hip_bfloat16LNS0_11ScoringFuncE1EEEvPKT5_PKbPfiPT4_PiiiibPKf ; -- Begin function _ZN4vllm3moe10topkGatingILi1ELi1ELi4ELi2ELi64Ej14__hip_bfloat16LNS0_11ScoringFuncE1EEEvPKT5_PKbPfiPT4_PiiiibPKf
	.globl	_ZN4vllm3moe10topkGatingILi1ELi1ELi4ELi2ELi64Ej14__hip_bfloat16LNS0_11ScoringFuncE1EEEvPKT5_PKbPfiPT4_PiiiibPKf
	.p2align	8
	.type	_ZN4vllm3moe10topkGatingILi1ELi1ELi4ELi2ELi64Ej14__hip_bfloat16LNS0_11ScoringFuncE1EEEvPKT5_PKbPfiPT4_PiiiibPKf,@function
_ZN4vllm3moe10topkGatingILi1ELi1ELi4ELi2ELi64Ej14__hip_bfloat16LNS0_11ScoringFuncE1EEEvPKT5_PKbPfiPT4_PiiiibPKf: ; @_ZN4vllm3moe10topkGatingILi1ELi1ELi4ELi2ELi64Ej14__hip_bfloat16LNS0_11ScoringFuncE1EEEvPKT5_PKbPfiPT4_PiiiibPKf
; %bb.0:
	s_load_dword s18, s[4:5], 0x18
	v_bfe_u32 v1, v0, 10, 10
	s_lshl_b32 s0, s6, 8
	v_lshlrev_b32_e32 v1, 6, v1
	v_and_b32_e32 v0, 0x3ff, v0
	v_add3_u32 v0, v1, v0, s0
	s_waitcnt lgkmcnt(0)
	v_cmp_gt_i32_e32 vcc, s18, v0
	s_and_saveexec_b64 s[0:1], vcc
	s_cbranch_execz .LBB331_17
; %bb.1:
	s_load_dwordx4 s[12:15], s[4:5], 0x0
	s_load_dwordx2 s[2:3], s[4:5], 0x10
	v_ashrrev_i32_e32 v1, 31, v0
	s_waitcnt lgkmcnt(0)
	s_cmp_eq_u64 s[14:15], 0
	s_cbranch_scc1 .LBB331_3
; %bb.2:
	v_mov_b32_e32 v3, s15
	v_add_co_u32_e32 v2, vcc, s14, v0
	v_addc_co_u32_e32 v3, vcc, v3, v1, vcc
	global_load_ubyte v2, v[2:3], off
	s_waitcnt vmcnt(0)
	v_and_b32_e32 v2, 1, v2
	v_cmp_eq_u32_e32 vcc, 1, v2
	s_xor_b64 s[0:1], vcc, -1
	s_orn2_b64 s[16:17], s[0:1], exec
	s_branch .LBB331_4
.LBB331_3:
	s_mov_b64 s[16:17], -1
.LBB331_4:
	s_load_dwordx4 s[8:11], s[4:5], 0x30
	s_waitcnt lgkmcnt(0)
	s_bitcmp1_b32 s11, 0
	s_cselect_b64 s[0:1], -1, 0
	s_cmp_gt_i32 s8, 0
	s_cselect_b64 s[14:15], -1, 0
	s_cmp_lt_i32 s8, 1
	s_cbranch_scc1 .LBB331_8
; %bb.5:
	v_lshlrev_b64 v[2:3], 1, v[0:1]
	v_mov_b32_e32 v1, s13
	v_add_co_u32_e32 v2, vcc, s12, v2
	v_addc_co_u32_e32 v3, vcc, v1, v3, vcc
	global_load_ushort v4, v[2:3], off
	v_mul_lo_u32 v2, v0, s8
	s_load_dwordx4 s[4:7], s[4:5], 0x20
	s_cmp_lt_i32 s9, 1
	v_ashrrev_i32_e32 v3, 31, v2
	s_cselect_b64 s[12:13], -1, 0
	s_cmp_gt_i32 s10, 0
	v_lshlrev_b64 v[6:7], 2, v[2:3]
	v_mov_b32_e32 v5, s3
	s_cselect_b64 s[10:11], -1, 0
	v_add_co_u32_e32 v2, vcc, s2, v6
	s_sub_i32 s9, 0, s9
	s_and_b64 s[10:11], s[12:13], s[10:11]
	v_addc_co_u32_e32 v3, vcc, v5, v7, vcc
	v_mov_b32_e32 v9, s9
	s_and_b64 vcc, s[16:17], s[10:11]
	v_cndmask_b32_e32 v9, 1, v9, vcc
	s_waitcnt lgkmcnt(0)
	v_mov_b32_e32 v5, s5
	v_mov_b32_e32 v10, s7
	s_movk_i32 s19, 0x1f8
	v_mov_b32_e32 v1, 0
	v_mov_b32_e32 v8, v0
	s_waitcnt vmcnt(0)
	v_lshlrev_b32_e32 v4, 16, v4
	v_mul_f32_e32 v4, 0xbfb8aa3b, v4
	v_exp_f32_e32 v11, v4
	v_add_co_u32_e32 v4, vcc, s4, v6
	v_addc_co_u32_e32 v5, vcc, v5, v7, vcc
	v_add_f32_e32 v11, 1.0, v11
	v_div_scale_f32 v12, s[4:5], v11, v11, 1.0
	v_rcp_f32_e32 v13, v12
	v_add_co_u32_e32 v6, vcc, s6, v6
	v_addc_co_u32_e32 v7, vcc, v10, v7, vcc
	v_fma_f32 v14, -v12, v13, 1.0
	v_div_scale_f32 v10, vcc, 1.0, v11, 1.0
	v_fmac_f32_e32 v13, v14, v13
	v_mul_f32_e32 v14, v10, v13
	v_fma_f32 v15, -v12, v14, v10
	v_fmac_f32_e32 v14, v15, v13
	v_fma_f32 v10, -v12, v14, v10
	v_div_fmas_f32 v10, v10, v13, v14
	v_div_fixup_f32 v10, v10, v11, 1.0
	v_cmp_class_f32_e64 vcc, v10, s19
	v_cndmask_b32_e32 v10, 0, v10, vcc
	s_mov_b32 s4, s8
.LBB331_6:                              ; =>This Inner Loop Header: Depth=1
	global_store_dword v[2:3], v10, off
	global_store_dword v[4:5], v9, off
	;; [unrolled: 1-line block ×3, first 2 shown]
	v_add_co_u32_e32 v2, vcc, 4, v2
	v_addc_co_u32_e32 v3, vcc, 0, v3, vcc
	v_add_co_u32_e32 v4, vcc, 4, v4
	v_addc_co_u32_e32 v5, vcc, 0, v5, vcc
	v_add_f32_e32 v11, v1, v10
	s_add_i32 s4, s4, -1
	v_add_co_u32_e32 v6, vcc, 4, v6
	v_cndmask_b32_e64 v1, v1, v11, s[0:1]
	v_add_u32_e32 v8, s18, v8
	s_cmp_lg_u32 s4, 0
	v_addc_co_u32_e32 v7, vcc, 0, v7, vcc
	s_cbranch_scc1 .LBB331_6
; %bb.7:
	s_andn2_b64 vcc, exec, s[0:1]
	s_cbranch_vccz .LBB331_9
	s_branch .LBB331_17
.LBB331_8:
	v_mov_b32_e32 v1, 0
	s_andn2_b64 vcc, exec, s[0:1]
	s_cbranch_vccnz .LBB331_17
.LBB331_9:
	s_andn2_b64 vcc, exec, s[14:15]
	s_cbranch_vccnz .LBB331_17
; %bb.10:
	v_cmp_lt_f32_e32 vcc, 0, v1
	s_mov_b32 s4, 0
	v_cndmask_b32_e32 v2, 1.0, v1, vcc
	v_mul_lo_u32 v0, v0, s8
	s_cmp_eq_u32 s8, 1
	s_mov_b64 s[0:1], -1
	s_cbranch_scc1 .LBB331_14
; %bb.11:
	s_and_b32 s4, s8, 0x7ffffffe
	v_mov_b32_e32 v1, v2
	v_mov_b32_e32 v3, s3
	s_mov_b32 s5, s4
	v_mov_b32_e32 v4, v0
.LBB331_12:                             ; =>This Inner Loop Header: Depth=1
	v_ashrrev_i32_e32 v5, 31, v4
	v_lshlrev_b64 v[6:7], 2, v[4:5]
	v_add_co_u32_e32 v6, vcc, s2, v6
	v_addc_co_u32_e32 v7, vcc, v3, v7, vcc
	global_load_dwordx2 v[8:9], v[6:7], off
	s_add_i32 s5, s5, -2
	s_cmp_lg_u32 s5, 0
	v_add_u32_e32 v4, 2, v4
	s_waitcnt vmcnt(0)
	v_div_scale_f32 v5, s[0:1], v1, v1, v9
	v_div_scale_f32 v11, s[0:1], v2, v2, v8
	v_rcp_f32_e32 v12, v5
	v_rcp_f32_e32 v13, v11
	v_div_scale_f32 v10, vcc, v9, v1, v9
	v_fma_f32 v15, -v5, v12, 1.0
	v_fma_f32 v16, -v11, v13, 1.0
	v_fmac_f32_e32 v12, v15, v12
	v_div_scale_f32 v14, s[0:1], v8, v2, v8
	v_fmac_f32_e32 v13, v16, v13
	v_mul_f32_e32 v15, v10, v12
	v_mul_f32_e32 v16, v14, v13
	v_fma_f32 v17, -v5, v15, v10
	v_fma_f32 v18, -v11, v16, v14
	v_fmac_f32_e32 v15, v17, v12
	v_fmac_f32_e32 v16, v18, v13
	v_fma_f32 v5, -v5, v15, v10
	v_fma_f32 v10, -v11, v16, v14
	v_div_fmas_f32 v5, v5, v12, v15
	s_mov_b64 vcc, s[0:1]
	v_div_fixup_f32 v9, v5, v1, v9
	v_div_fmas_f32 v5, v10, v13, v16
	v_div_fixup_f32 v8, v5, v2, v8
	global_store_dwordx2 v[6:7], v[8:9], off
	s_cbranch_scc1 .LBB331_12
; %bb.13:
	s_cmp_lg_u32 s4, s8
	s_cselect_b64 s[0:1], -1, 0
.LBB331_14:
	s_and_b64 vcc, exec, s[0:1]
	s_cbranch_vccz .LBB331_17
; %bb.15:
	v_ashrrev_i32_e32 v1, 31, v0
	v_add_co_u32_e32 v0, vcc, s4, v0
	v_addc_co_u32_e32 v1, vcc, 0, v1, vcc
	v_lshlrev_b64 v[0:1], 2, v[0:1]
	v_mov_b32_e32 v3, s3
	v_add_co_u32_e32 v0, vcc, s2, v0
	s_sub_i32 s0, s8, s4
	v_addc_co_u32_e32 v1, vcc, v3, v1, vcc
.LBB331_16:                             ; =>This Inner Loop Header: Depth=1
	global_load_dword v3, v[0:1], off
	s_add_i32 s0, s0, -1
	s_cmp_lg_u32 s0, 0
	s_waitcnt vmcnt(0)
	v_div_scale_f32 v4, s[2:3], v2, v2, v3
	v_rcp_f32_e32 v5, v4
	v_div_scale_f32 v6, vcc, v3, v2, v3
	v_fma_f32 v7, -v4, v5, 1.0
	v_fmac_f32_e32 v5, v7, v5
	v_mul_f32_e32 v7, v6, v5
	v_fma_f32 v8, -v4, v7, v6
	v_fmac_f32_e32 v7, v8, v5
	v_fma_f32 v4, -v4, v7, v6
	v_div_fmas_f32 v4, v4, v5, v7
	v_div_fixup_f32 v3, v4, v2, v3
	global_store_dword v[0:1], v3, off
	v_add_co_u32_e32 v0, vcc, 4, v0
	v_addc_co_u32_e32 v1, vcc, 0, v1, vcc
	s_cbranch_scc1 .LBB331_16
.LBB331_17:
	s_endpgm
	.section	.rodata,"a",@progbits
	.p2align	6, 0x0
	.amdhsa_kernel _ZN4vllm3moe10topkGatingILi1ELi1ELi4ELi2ELi64Ej14__hip_bfloat16LNS0_11ScoringFuncE1EEEvPKT5_PKbPfiPT4_PiiiibPKf
		.amdhsa_group_segment_fixed_size 0
		.amdhsa_private_segment_fixed_size 0
		.amdhsa_kernarg_size 72
		.amdhsa_user_sgpr_count 6
		.amdhsa_user_sgpr_private_segment_buffer 1
		.amdhsa_user_sgpr_dispatch_ptr 0
		.amdhsa_user_sgpr_queue_ptr 0
		.amdhsa_user_sgpr_kernarg_segment_ptr 1
		.amdhsa_user_sgpr_dispatch_id 0
		.amdhsa_user_sgpr_flat_scratch_init 0
		.amdhsa_user_sgpr_kernarg_preload_length 0
		.amdhsa_user_sgpr_kernarg_preload_offset 0
		.amdhsa_user_sgpr_private_segment_size 0
		.amdhsa_uses_dynamic_stack 0
		.amdhsa_system_sgpr_private_segment_wavefront_offset 0
		.amdhsa_system_sgpr_workgroup_id_x 1
		.amdhsa_system_sgpr_workgroup_id_y 0
		.amdhsa_system_sgpr_workgroup_id_z 0
		.amdhsa_system_sgpr_workgroup_info 0
		.amdhsa_system_vgpr_workitem_id 1
		.amdhsa_next_free_vgpr 19
		.amdhsa_next_free_sgpr 20
		.amdhsa_accum_offset 20
		.amdhsa_reserve_vcc 1
		.amdhsa_reserve_flat_scratch 0
		.amdhsa_float_round_mode_32 0
		.amdhsa_float_round_mode_16_64 0
		.amdhsa_float_denorm_mode_32 3
		.amdhsa_float_denorm_mode_16_64 3
		.amdhsa_dx10_clamp 1
		.amdhsa_ieee_mode 1
		.amdhsa_fp16_overflow 0
		.amdhsa_tg_split 0
		.amdhsa_exception_fp_ieee_invalid_op 0
		.amdhsa_exception_fp_denorm_src 0
		.amdhsa_exception_fp_ieee_div_zero 0
		.amdhsa_exception_fp_ieee_overflow 0
		.amdhsa_exception_fp_ieee_underflow 0
		.amdhsa_exception_fp_ieee_inexact 0
		.amdhsa_exception_int_div_zero 0
	.end_amdhsa_kernel
	.section	.text._ZN4vllm3moe10topkGatingILi1ELi1ELi4ELi2ELi64Ej14__hip_bfloat16LNS0_11ScoringFuncE1EEEvPKT5_PKbPfiPT4_PiiiibPKf,"axG",@progbits,_ZN4vllm3moe10topkGatingILi1ELi1ELi4ELi2ELi64Ej14__hip_bfloat16LNS0_11ScoringFuncE1EEEvPKT5_PKbPfiPT4_PiiiibPKf,comdat
.Lfunc_end331:
	.size	_ZN4vllm3moe10topkGatingILi1ELi1ELi4ELi2ELi64Ej14__hip_bfloat16LNS0_11ScoringFuncE1EEEvPKT5_PKbPfiPT4_PiiiibPKf, .Lfunc_end331-_ZN4vllm3moe10topkGatingILi1ELi1ELi4ELi2ELi64Ej14__hip_bfloat16LNS0_11ScoringFuncE1EEEvPKT5_PKbPfiPT4_PiiiibPKf
                                        ; -- End function
	.section	.AMDGPU.csdata,"",@progbits
; Kernel info:
; codeLenInByte = 964
; NumSgprs: 24
; NumVgprs: 19
; NumAgprs: 0
; TotalNumVgprs: 19
; ScratchSize: 0
; MemoryBound: 0
; FloatMode: 240
; IeeeMode: 1
; LDSByteSize: 0 bytes/workgroup (compile time only)
; SGPRBlocks: 2
; VGPRBlocks: 2
; NumSGPRsForWavesPerEU: 24
; NumVGPRsForWavesPerEU: 19
; AccumOffset: 20
; Occupancy: 8
; WaveLimiterHint : 0
; COMPUTE_PGM_RSRC2:SCRATCH_EN: 0
; COMPUTE_PGM_RSRC2:USER_SGPR: 6
; COMPUTE_PGM_RSRC2:TRAP_HANDLER: 0
; COMPUTE_PGM_RSRC2:TGID_X_EN: 1
; COMPUTE_PGM_RSRC2:TGID_Y_EN: 0
; COMPUTE_PGM_RSRC2:TGID_Z_EN: 0
; COMPUTE_PGM_RSRC2:TIDIG_COMP_CNT: 1
; COMPUTE_PGM_RSRC3_GFX90A:ACCUM_OFFSET: 4
; COMPUTE_PGM_RSRC3_GFX90A:TG_SPLIT: 0
	.section	.text._ZN4vllm3moe10topkGatingILi1ELi1ELi4ELi2ELi32Ej14__hip_bfloat16LNS0_11ScoringFuncE1EEEvPKT5_PKbPfiPT4_PiiiibPKf,"axG",@progbits,_ZN4vllm3moe10topkGatingILi1ELi1ELi4ELi2ELi32Ej14__hip_bfloat16LNS0_11ScoringFuncE1EEEvPKT5_PKbPfiPT4_PiiiibPKf,comdat
	.protected	_ZN4vllm3moe10topkGatingILi1ELi1ELi4ELi2ELi32Ej14__hip_bfloat16LNS0_11ScoringFuncE1EEEvPKT5_PKbPfiPT4_PiiiibPKf ; -- Begin function _ZN4vllm3moe10topkGatingILi1ELi1ELi4ELi2ELi32Ej14__hip_bfloat16LNS0_11ScoringFuncE1EEEvPKT5_PKbPfiPT4_PiiiibPKf
	.globl	_ZN4vllm3moe10topkGatingILi1ELi1ELi4ELi2ELi32Ej14__hip_bfloat16LNS0_11ScoringFuncE1EEEvPKT5_PKbPfiPT4_PiiiibPKf
	.p2align	8
	.type	_ZN4vllm3moe10topkGatingILi1ELi1ELi4ELi2ELi32Ej14__hip_bfloat16LNS0_11ScoringFuncE1EEEvPKT5_PKbPfiPT4_PiiiibPKf,@function
_ZN4vllm3moe10topkGatingILi1ELi1ELi4ELi2ELi32Ej14__hip_bfloat16LNS0_11ScoringFuncE1EEEvPKT5_PKbPfiPT4_PiiiibPKf: ; @_ZN4vllm3moe10topkGatingILi1ELi1ELi4ELi2ELi32Ej14__hip_bfloat16LNS0_11ScoringFuncE1EEEvPKT5_PKbPfiPT4_PiiiibPKf
; %bb.0:
	s_load_dword s18, s[4:5], 0x18
	v_bfe_u32 v1, v0, 10, 10
	s_lshl_b32 s0, s6, 7
	v_lshlrev_b32_e32 v1, 5, v1
	v_and_b32_e32 v0, 0x3ff, v0
	v_add3_u32 v0, v1, v0, s0
	s_waitcnt lgkmcnt(0)
	v_cmp_gt_i32_e32 vcc, s18, v0
	s_and_saveexec_b64 s[0:1], vcc
	s_cbranch_execz .LBB332_17
; %bb.1:
	s_load_dwordx4 s[12:15], s[4:5], 0x0
	s_load_dwordx2 s[2:3], s[4:5], 0x10
	v_ashrrev_i32_e32 v1, 31, v0
	s_waitcnt lgkmcnt(0)
	s_cmp_eq_u64 s[14:15], 0
	s_cbranch_scc1 .LBB332_3
; %bb.2:
	v_mov_b32_e32 v3, s15
	v_add_co_u32_e32 v2, vcc, s14, v0
	v_addc_co_u32_e32 v3, vcc, v3, v1, vcc
	global_load_ubyte v2, v[2:3], off
	s_waitcnt vmcnt(0)
	v_and_b32_e32 v2, 1, v2
	v_cmp_eq_u32_e32 vcc, 1, v2
	s_xor_b64 s[0:1], vcc, -1
	s_orn2_b64 s[16:17], s[0:1], exec
	s_branch .LBB332_4
.LBB332_3:
	s_mov_b64 s[16:17], -1
.LBB332_4:
	s_load_dwordx4 s[8:11], s[4:5], 0x30
	s_waitcnt lgkmcnt(0)
	s_bitcmp1_b32 s11, 0
	s_cselect_b64 s[0:1], -1, 0
	s_cmp_gt_i32 s8, 0
	s_cselect_b64 s[14:15], -1, 0
	s_cmp_lt_i32 s8, 1
	s_cbranch_scc1 .LBB332_8
; %bb.5:
	v_lshlrev_b64 v[2:3], 1, v[0:1]
	v_mov_b32_e32 v1, s13
	v_add_co_u32_e32 v2, vcc, s12, v2
	v_addc_co_u32_e32 v3, vcc, v1, v3, vcc
	global_load_ushort v4, v[2:3], off
	v_mul_lo_u32 v2, v0, s8
	s_load_dwordx4 s[4:7], s[4:5], 0x20
	s_cmp_lt_i32 s9, 1
	v_ashrrev_i32_e32 v3, 31, v2
	s_cselect_b64 s[12:13], -1, 0
	s_cmp_gt_i32 s10, 0
	v_lshlrev_b64 v[6:7], 2, v[2:3]
	v_mov_b32_e32 v5, s3
	s_cselect_b64 s[10:11], -1, 0
	v_add_co_u32_e32 v2, vcc, s2, v6
	s_sub_i32 s9, 0, s9
	s_and_b64 s[10:11], s[12:13], s[10:11]
	v_addc_co_u32_e32 v3, vcc, v5, v7, vcc
	v_mov_b32_e32 v9, s9
	s_and_b64 vcc, s[16:17], s[10:11]
	v_cndmask_b32_e32 v9, 1, v9, vcc
	s_waitcnt lgkmcnt(0)
	v_mov_b32_e32 v5, s5
	v_mov_b32_e32 v10, s7
	s_movk_i32 s19, 0x1f8
	v_mov_b32_e32 v1, 0
	v_mov_b32_e32 v8, v0
	s_waitcnt vmcnt(0)
	v_lshlrev_b32_e32 v4, 16, v4
	v_mul_f32_e32 v4, 0xbfb8aa3b, v4
	v_exp_f32_e32 v11, v4
	v_add_co_u32_e32 v4, vcc, s4, v6
	v_addc_co_u32_e32 v5, vcc, v5, v7, vcc
	v_add_f32_e32 v11, 1.0, v11
	v_div_scale_f32 v12, s[4:5], v11, v11, 1.0
	v_rcp_f32_e32 v13, v12
	v_add_co_u32_e32 v6, vcc, s6, v6
	v_addc_co_u32_e32 v7, vcc, v10, v7, vcc
	v_fma_f32 v14, -v12, v13, 1.0
	v_div_scale_f32 v10, vcc, 1.0, v11, 1.0
	v_fmac_f32_e32 v13, v14, v13
	v_mul_f32_e32 v14, v10, v13
	v_fma_f32 v15, -v12, v14, v10
	v_fmac_f32_e32 v14, v15, v13
	v_fma_f32 v10, -v12, v14, v10
	v_div_fmas_f32 v10, v10, v13, v14
	v_div_fixup_f32 v10, v10, v11, 1.0
	v_cmp_class_f32_e64 vcc, v10, s19
	v_cndmask_b32_e32 v10, 0, v10, vcc
	s_mov_b32 s4, s8
.LBB332_6:                              ; =>This Inner Loop Header: Depth=1
	global_store_dword v[2:3], v10, off
	global_store_dword v[4:5], v9, off
	global_store_dword v[6:7], v8, off
	v_add_co_u32_e32 v2, vcc, 4, v2
	v_addc_co_u32_e32 v3, vcc, 0, v3, vcc
	v_add_co_u32_e32 v4, vcc, 4, v4
	v_addc_co_u32_e32 v5, vcc, 0, v5, vcc
	v_add_f32_e32 v11, v1, v10
	s_add_i32 s4, s4, -1
	v_add_co_u32_e32 v6, vcc, 4, v6
	v_cndmask_b32_e64 v1, v1, v11, s[0:1]
	v_add_u32_e32 v8, s18, v8
	s_cmp_lg_u32 s4, 0
	v_addc_co_u32_e32 v7, vcc, 0, v7, vcc
	s_cbranch_scc1 .LBB332_6
; %bb.7:
	s_andn2_b64 vcc, exec, s[0:1]
	s_cbranch_vccz .LBB332_9
	s_branch .LBB332_17
.LBB332_8:
	v_mov_b32_e32 v1, 0
	s_andn2_b64 vcc, exec, s[0:1]
	s_cbranch_vccnz .LBB332_17
.LBB332_9:
	s_andn2_b64 vcc, exec, s[14:15]
	s_cbranch_vccnz .LBB332_17
; %bb.10:
	v_cmp_lt_f32_e32 vcc, 0, v1
	s_mov_b32 s4, 0
	v_cndmask_b32_e32 v2, 1.0, v1, vcc
	v_mul_lo_u32 v0, v0, s8
	s_cmp_eq_u32 s8, 1
	s_mov_b64 s[0:1], -1
	s_cbranch_scc1 .LBB332_14
; %bb.11:
	s_and_b32 s4, s8, 0x7ffffffe
	v_mov_b32_e32 v1, v2
	v_mov_b32_e32 v3, s3
	s_mov_b32 s5, s4
	v_mov_b32_e32 v4, v0
.LBB332_12:                             ; =>This Inner Loop Header: Depth=1
	v_ashrrev_i32_e32 v5, 31, v4
	v_lshlrev_b64 v[6:7], 2, v[4:5]
	v_add_co_u32_e32 v6, vcc, s2, v6
	v_addc_co_u32_e32 v7, vcc, v3, v7, vcc
	global_load_dwordx2 v[8:9], v[6:7], off
	s_add_i32 s5, s5, -2
	s_cmp_lg_u32 s5, 0
	v_add_u32_e32 v4, 2, v4
	s_waitcnt vmcnt(0)
	v_div_scale_f32 v5, s[0:1], v1, v1, v9
	v_div_scale_f32 v11, s[0:1], v2, v2, v8
	v_rcp_f32_e32 v12, v5
	v_rcp_f32_e32 v13, v11
	v_div_scale_f32 v10, vcc, v9, v1, v9
	v_fma_f32 v15, -v5, v12, 1.0
	v_fma_f32 v16, -v11, v13, 1.0
	v_fmac_f32_e32 v12, v15, v12
	v_div_scale_f32 v14, s[0:1], v8, v2, v8
	v_fmac_f32_e32 v13, v16, v13
	v_mul_f32_e32 v15, v10, v12
	v_mul_f32_e32 v16, v14, v13
	v_fma_f32 v17, -v5, v15, v10
	v_fma_f32 v18, -v11, v16, v14
	v_fmac_f32_e32 v15, v17, v12
	v_fmac_f32_e32 v16, v18, v13
	v_fma_f32 v5, -v5, v15, v10
	v_fma_f32 v10, -v11, v16, v14
	v_div_fmas_f32 v5, v5, v12, v15
	s_mov_b64 vcc, s[0:1]
	v_div_fixup_f32 v9, v5, v1, v9
	v_div_fmas_f32 v5, v10, v13, v16
	v_div_fixup_f32 v8, v5, v2, v8
	global_store_dwordx2 v[6:7], v[8:9], off
	s_cbranch_scc1 .LBB332_12
; %bb.13:
	s_cmp_lg_u32 s4, s8
	s_cselect_b64 s[0:1], -1, 0
.LBB332_14:
	s_and_b64 vcc, exec, s[0:1]
	s_cbranch_vccz .LBB332_17
; %bb.15:
	v_ashrrev_i32_e32 v1, 31, v0
	v_add_co_u32_e32 v0, vcc, s4, v0
	v_addc_co_u32_e32 v1, vcc, 0, v1, vcc
	v_lshlrev_b64 v[0:1], 2, v[0:1]
	v_mov_b32_e32 v3, s3
	v_add_co_u32_e32 v0, vcc, s2, v0
	s_sub_i32 s0, s8, s4
	v_addc_co_u32_e32 v1, vcc, v3, v1, vcc
.LBB332_16:                             ; =>This Inner Loop Header: Depth=1
	global_load_dword v3, v[0:1], off
	s_add_i32 s0, s0, -1
	s_cmp_lg_u32 s0, 0
	s_waitcnt vmcnt(0)
	v_div_scale_f32 v4, s[2:3], v2, v2, v3
	v_rcp_f32_e32 v5, v4
	v_div_scale_f32 v6, vcc, v3, v2, v3
	v_fma_f32 v7, -v4, v5, 1.0
	v_fmac_f32_e32 v5, v7, v5
	v_mul_f32_e32 v7, v6, v5
	v_fma_f32 v8, -v4, v7, v6
	v_fmac_f32_e32 v7, v8, v5
	v_fma_f32 v4, -v4, v7, v6
	v_div_fmas_f32 v4, v4, v5, v7
	v_div_fixup_f32 v3, v4, v2, v3
	global_store_dword v[0:1], v3, off
	v_add_co_u32_e32 v0, vcc, 4, v0
	v_addc_co_u32_e32 v1, vcc, 0, v1, vcc
	s_cbranch_scc1 .LBB332_16
.LBB332_17:
	s_endpgm
	.section	.rodata,"a",@progbits
	.p2align	6, 0x0
	.amdhsa_kernel _ZN4vllm3moe10topkGatingILi1ELi1ELi4ELi2ELi32Ej14__hip_bfloat16LNS0_11ScoringFuncE1EEEvPKT5_PKbPfiPT4_PiiiibPKf
		.amdhsa_group_segment_fixed_size 0
		.amdhsa_private_segment_fixed_size 0
		.amdhsa_kernarg_size 72
		.amdhsa_user_sgpr_count 6
		.amdhsa_user_sgpr_private_segment_buffer 1
		.amdhsa_user_sgpr_dispatch_ptr 0
		.amdhsa_user_sgpr_queue_ptr 0
		.amdhsa_user_sgpr_kernarg_segment_ptr 1
		.amdhsa_user_sgpr_dispatch_id 0
		.amdhsa_user_sgpr_flat_scratch_init 0
		.amdhsa_user_sgpr_kernarg_preload_length 0
		.amdhsa_user_sgpr_kernarg_preload_offset 0
		.amdhsa_user_sgpr_private_segment_size 0
		.amdhsa_uses_dynamic_stack 0
		.amdhsa_system_sgpr_private_segment_wavefront_offset 0
		.amdhsa_system_sgpr_workgroup_id_x 1
		.amdhsa_system_sgpr_workgroup_id_y 0
		.amdhsa_system_sgpr_workgroup_id_z 0
		.amdhsa_system_sgpr_workgroup_info 0
		.amdhsa_system_vgpr_workitem_id 1
		.amdhsa_next_free_vgpr 19
		.amdhsa_next_free_sgpr 20
		.amdhsa_accum_offset 20
		.amdhsa_reserve_vcc 1
		.amdhsa_reserve_flat_scratch 0
		.amdhsa_float_round_mode_32 0
		.amdhsa_float_round_mode_16_64 0
		.amdhsa_float_denorm_mode_32 3
		.amdhsa_float_denorm_mode_16_64 3
		.amdhsa_dx10_clamp 1
		.amdhsa_ieee_mode 1
		.amdhsa_fp16_overflow 0
		.amdhsa_tg_split 0
		.amdhsa_exception_fp_ieee_invalid_op 0
		.amdhsa_exception_fp_denorm_src 0
		.amdhsa_exception_fp_ieee_div_zero 0
		.amdhsa_exception_fp_ieee_overflow 0
		.amdhsa_exception_fp_ieee_underflow 0
		.amdhsa_exception_fp_ieee_inexact 0
		.amdhsa_exception_int_div_zero 0
	.end_amdhsa_kernel
	.section	.text._ZN4vllm3moe10topkGatingILi1ELi1ELi4ELi2ELi32Ej14__hip_bfloat16LNS0_11ScoringFuncE1EEEvPKT5_PKbPfiPT4_PiiiibPKf,"axG",@progbits,_ZN4vllm3moe10topkGatingILi1ELi1ELi4ELi2ELi32Ej14__hip_bfloat16LNS0_11ScoringFuncE1EEEvPKT5_PKbPfiPT4_PiiiibPKf,comdat
.Lfunc_end332:
	.size	_ZN4vllm3moe10topkGatingILi1ELi1ELi4ELi2ELi32Ej14__hip_bfloat16LNS0_11ScoringFuncE1EEEvPKT5_PKbPfiPT4_PiiiibPKf, .Lfunc_end332-_ZN4vllm3moe10topkGatingILi1ELi1ELi4ELi2ELi32Ej14__hip_bfloat16LNS0_11ScoringFuncE1EEEvPKT5_PKbPfiPT4_PiiiibPKf
                                        ; -- End function
	.section	.AMDGPU.csdata,"",@progbits
; Kernel info:
; codeLenInByte = 964
; NumSgprs: 24
; NumVgprs: 19
; NumAgprs: 0
; TotalNumVgprs: 19
; ScratchSize: 0
; MemoryBound: 0
; FloatMode: 240
; IeeeMode: 1
; LDSByteSize: 0 bytes/workgroup (compile time only)
; SGPRBlocks: 2
; VGPRBlocks: 2
; NumSGPRsForWavesPerEU: 24
; NumVGPRsForWavesPerEU: 19
; AccumOffset: 20
; Occupancy: 8
; WaveLimiterHint : 0
; COMPUTE_PGM_RSRC2:SCRATCH_EN: 0
; COMPUTE_PGM_RSRC2:USER_SGPR: 6
; COMPUTE_PGM_RSRC2:TRAP_HANDLER: 0
; COMPUTE_PGM_RSRC2:TGID_X_EN: 1
; COMPUTE_PGM_RSRC2:TGID_Y_EN: 0
; COMPUTE_PGM_RSRC2:TGID_Z_EN: 0
; COMPUTE_PGM_RSRC2:TIDIG_COMP_CNT: 1
; COMPUTE_PGM_RSRC3_GFX90A:ACCUM_OFFSET: 4
; COMPUTE_PGM_RSRC3_GFX90A:TG_SPLIT: 0
	.section	.text._ZN4vllm3moe10topkGatingILi2ELi2ELi4ELi4ELi64Ej14__hip_bfloat16LNS0_11ScoringFuncE1EEEvPKT5_PKbPfiPT4_PiiiibPKf,"axG",@progbits,_ZN4vllm3moe10topkGatingILi2ELi2ELi4ELi4ELi64Ej14__hip_bfloat16LNS0_11ScoringFuncE1EEEvPKT5_PKbPfiPT4_PiiiibPKf,comdat
	.protected	_ZN4vllm3moe10topkGatingILi2ELi2ELi4ELi4ELi64Ej14__hip_bfloat16LNS0_11ScoringFuncE1EEEvPKT5_PKbPfiPT4_PiiiibPKf ; -- Begin function _ZN4vllm3moe10topkGatingILi2ELi2ELi4ELi4ELi64Ej14__hip_bfloat16LNS0_11ScoringFuncE1EEEvPKT5_PKbPfiPT4_PiiiibPKf
	.globl	_ZN4vllm3moe10topkGatingILi2ELi2ELi4ELi4ELi64Ej14__hip_bfloat16LNS0_11ScoringFuncE1EEEvPKT5_PKbPfiPT4_PiiiibPKf
	.p2align	8
	.type	_ZN4vllm3moe10topkGatingILi2ELi2ELi4ELi4ELi64Ej14__hip_bfloat16LNS0_11ScoringFuncE1EEEvPKT5_PKbPfiPT4_PiiiibPKf,@function
_ZN4vllm3moe10topkGatingILi2ELi2ELi4ELi4ELi64Ej14__hip_bfloat16LNS0_11ScoringFuncE1EEEvPKT5_PKbPfiPT4_PiiiibPKf: ; @_ZN4vllm3moe10topkGatingILi2ELi2ELi4ELi4ELi64Ej14__hip_bfloat16LNS0_11ScoringFuncE1EEEvPKT5_PKbPfiPT4_PiiiibPKf
; %bb.0:
	s_load_dword s16, s[4:5], 0x18
	v_bfe_u32 v1, v0, 10, 10
	s_lshl_b32 s0, s6, 8
	v_lshlrev_b32_e32 v1, 6, v1
	v_and_b32_e32 v0, 0x3ff, v0
	v_add3_u32 v10, v1, v0, s0
	s_waitcnt lgkmcnt(0)
	v_cmp_gt_i32_e32 vcc, s16, v10
	s_and_saveexec_b64 s[0:1], vcc
	s_cbranch_execz .LBB333_19
; %bb.1:
	s_load_dwordx4 s[0:3], s[4:5], 0x0
	s_load_dwordx2 s[6:7], s[4:5], 0x10
	s_waitcnt lgkmcnt(0)
	s_cmp_eq_u64 s[2:3], 0
	s_cbranch_scc1 .LBB333_3
; %bb.2:
	v_ashrrev_i32_e32 v1, 31, v10
	v_mov_b32_e32 v2, s3
	v_add_co_u32_e32 v0, vcc, s2, v10
	v_addc_co_u32_e32 v1, vcc, v2, v1, vcc
	global_load_ubyte v0, v[0:1], off
	s_waitcnt vmcnt(0)
	v_and_b32_e32 v0, 1, v0
	v_cmp_eq_u32_e32 vcc, 1, v0
	s_xor_b64 s[2:3], vcc, -1
	s_orn2_b64 s[12:13], s[2:3], exec
	s_branch .LBB333_4
.LBB333_3:
	s_mov_b64 s[12:13], -1
.LBB333_4:
	v_lshlrev_b32_e32 v0, 1, v10
	v_ashrrev_i32_e32 v1, 31, v0
	v_lshlrev_b64 v[0:1], 1, v[0:1]
	v_mov_b32_e32 v2, s1
	v_add_co_u32_e32 v0, vcc, s0, v0
	v_addc_co_u32_e32 v1, vcc, v2, v1, vcc
	global_load_dword v0, v[0:1], off
	s_load_dwordx2 s[2:3], s[4:5], 0x40
	s_movk_i32 s8, 0x1f8
	s_waitcnt lgkmcnt(0)
	s_cmp_eq_u64 s[2:3], 0
	s_waitcnt vmcnt(0)
	v_and_b32_e32 v1, 0xffff0000, v0
	v_lshlrev_b32_e32 v0, 16, v0
	v_mul_f32_e32 v0, 0xbfb8aa3b, v0
	v_mul_f32_e32 v1, 0xbfb8aa3b, v1
	v_exp_f32_e32 v0, v0
	v_exp_f32_e32 v1, v1
	v_pk_add_f32 v[0:1], v[0:1], 1.0 op_sel_hi:[1,0]
	v_div_scale_f32 v2, s[0:1], v1, v1, 1.0
	v_div_scale_f32 v4, s[0:1], v0, v0, 1.0
	v_rcp_f32_e32 v5, v2
	v_rcp_f32_e32 v6, v4
	v_div_scale_f32 v3, vcc, 1.0, v1, 1.0
	v_fma_f32 v8, -v2, v5, 1.0
	v_fma_f32 v9, -v4, v6, 1.0
	v_fmac_f32_e32 v5, v8, v5
	v_div_scale_f32 v7, s[0:1], 1.0, v0, 1.0
	v_fmac_f32_e32 v6, v9, v6
	v_mul_f32_e32 v8, v3, v5
	v_mul_f32_e32 v9, v7, v6
	v_fma_f32 v11, -v2, v8, v3
	v_fma_f32 v12, -v4, v9, v7
	v_fmac_f32_e32 v8, v11, v5
	v_fmac_f32_e32 v9, v12, v6
	v_fma_f32 v2, -v2, v8, v3
	v_fma_f32 v3, -v4, v9, v7
	v_div_fmas_f32 v2, v2, v5, v8
	s_mov_b64 vcc, s[0:1]
	v_div_fixup_f32 v1, v2, v1, 1.0
	v_div_fmas_f32 v2, v3, v6, v9
	v_div_fixup_f32 v0, v2, v0, 1.0
	v_cmp_class_f32_e64 vcc, v1, s8
	v_cndmask_b32_e32 v1, 0, v1, vcc
	v_cmp_class_f32_e64 vcc, v0, s8
	v_cndmask_b32_e32 v0, 0, v0, vcc
	v_pk_mov_b32 v[2:3], v[0:1], v[0:1] op_sel:[0,1]
	s_cbranch_scc1 .LBB333_6
; %bb.5:
	s_load_dwordx2 s[0:1], s[2:3], 0x0
	s_waitcnt lgkmcnt(0)
	v_pk_add_f32 v[2:3], v[0:1], s[0:1]
.LBB333_6:
	s_load_dwordx4 s[8:11], s[4:5], 0x30
	s_waitcnt lgkmcnt(0)
	s_bitcmp1_b32 s11, 0
	s_cselect_b64 vcc, -1, 0
	s_cmp_gt_i32 s8, 0
	s_cselect_b64 s[14:15], -1, 0
	s_cmp_lt_i32 s8, 1
	s_cbranch_scc1 .LBB333_10
; %bb.7:
	s_load_dwordx4 s[20:23], s[4:5], 0x20
	v_mul_lo_u32 v4, v10, s8
	v_ashrrev_i32_e32 v5, 31, v4
	v_lshlrev_b64 v[8:9], 2, v[4:5]
	v_mov_b32_e32 v5, s7
	v_add_co_u32_e64 v4, s[0:1], s6, v8
	v_addc_co_u32_e64 v5, s[0:1], v5, v9, s[0:1]
	s_waitcnt lgkmcnt(0)
	v_mov_b32_e32 v7, s21
	v_add_co_u32_e64 v6, s[0:1], s20, v8
	v_addc_co_u32_e64 v7, s[0:1], v7, v9, s[0:1]
	v_mov_b32_e32 v11, s23
	v_add_co_u32_e64 v8, s[0:1], s22, v8
	v_addc_co_u32_e64 v9, s[0:1], v11, v9, s[0:1]
	s_mov_b32 s11, 0
	v_mov_b32_e32 v11, 0
	v_mov_b32_e32 v12, 0xc61c4000
	;; [unrolled: 1-line block ×3, first 2 shown]
.LBB333_8:                              ; =>This Inner Loop Header: Depth=1
	v_cmp_gt_f32_e64 s[0:1], v3, v2
	v_cndmask_b32_e64 v14, 0, 1, s[0:1]
	v_cmp_le_i32_e64 s[2:3], s9, v14
	v_cmp_gt_i32_e64 s[4:5], s10, v14
	s_and_b64 s[2:3], s[2:3], s[4:5]
	v_subrev_u32_e32 v14, s9, v14
	s_and_b64 s[2:3], s[12:13], s[2:3]
	v_cndmask_b32_e64 v15, v0, v1, s[0:1]
	v_cndmask_b32_e64 v14, 2, v14, s[2:3]
	s_add_i32 s11, s11, 1
	global_store_dword v[4:5], v15, off
	global_store_dword v[6:7], v14, off
	;; [unrolled: 1-line block ×3, first 2 shown]
	v_add_f32_e32 v14, v11, v15
	s_cmp_lt_i32 s11, s8
	v_cndmask_b32_e32 v11, v11, v14, vcc
	v_cndmask_b32_e64 v14, v12, v2, s[0:1]
	v_cndmask_b32_e64 v15, v3, v12, s[0:1]
	s_cselect_b64 s[0:1], -1, 0
	v_cndmask_b32_e64 v3, v3, v15, s[0:1]
	v_cndmask_b32_e64 v2, v2, v14, s[0:1]
	v_add_co_u32_e64 v4, s[0:1], 4, v4
	v_addc_co_u32_e64 v5, s[0:1], 0, v5, s[0:1]
	v_add_co_u32_e64 v6, s[0:1], 4, v6
	v_addc_co_u32_e64 v7, s[0:1], 0, v7, s[0:1]
	v_add_co_u32_e64 v8, s[0:1], 4, v8
	v_add_u32_e32 v13, s16, v13
	s_cmp_eq_u32 s8, s11
	v_addc_co_u32_e64 v9, s[0:1], 0, v9, s[0:1]
	s_cbranch_scc0 .LBB333_8
; %bb.9:
	s_and_b64 vcc, exec, vcc
	s_cbranch_vccnz .LBB333_11
	s_branch .LBB333_19
.LBB333_10:
	v_mov_b32_e32 v11, 0
	s_and_b64 vcc, exec, vcc
	s_cbranch_vccz .LBB333_19
.LBB333_11:
	s_andn2_b64 vcc, exec, s[14:15]
	s_cbranch_vccnz .LBB333_19
; %bb.12:
	v_cmp_lt_f32_e32 vcc, 0, v11
	s_mov_b32 s2, 0
	v_cndmask_b32_e32 v0, 1.0, v11, vcc
	v_mul_lo_u32 v4, v10, s8
	s_cmp_eq_u32 s8, 1
	s_mov_b64 s[0:1], -1
	s_cbranch_scc1 .LBB333_16
; %bb.13:
	s_and_b32 s2, s8, 0x7ffffffe
	v_mov_b32_e32 v1, v0
	v_mov_b32_e32 v5, s7
	s_mov_b32 s3, s2
	v_mov_b32_e32 v2, v4
.LBB333_14:                             ; =>This Inner Loop Header: Depth=1
	v_ashrrev_i32_e32 v3, 31, v2
	v_lshlrev_b64 v[6:7], 2, v[2:3]
	v_add_co_u32_e32 v6, vcc, s6, v6
	v_addc_co_u32_e32 v7, vcc, v5, v7, vcc
	global_load_dwordx2 v[8:9], v[6:7], off
	s_add_i32 s3, s3, -2
	s_cmp_lg_u32 s3, 0
	v_add_u32_e32 v2, 2, v2
	s_waitcnt vmcnt(0)
	v_div_scale_f32 v3, s[0:1], v1, v1, v9
	v_div_scale_f32 v11, s[0:1], v0, v0, v8
	v_rcp_f32_e32 v12, v3
	v_rcp_f32_e32 v13, v11
	v_div_scale_f32 v10, vcc, v9, v1, v9
	v_fma_f32 v15, -v3, v12, 1.0
	v_fma_f32 v16, -v11, v13, 1.0
	v_fmac_f32_e32 v12, v15, v12
	v_div_scale_f32 v14, s[0:1], v8, v0, v8
	v_fmac_f32_e32 v13, v16, v13
	v_mul_f32_e32 v15, v10, v12
	v_mul_f32_e32 v16, v14, v13
	v_fma_f32 v17, -v3, v15, v10
	v_fma_f32 v18, -v11, v16, v14
	v_fmac_f32_e32 v15, v17, v12
	v_fmac_f32_e32 v16, v18, v13
	v_fma_f32 v3, -v3, v15, v10
	v_fma_f32 v10, -v11, v16, v14
	v_div_fmas_f32 v3, v3, v12, v15
	s_mov_b64 vcc, s[0:1]
	v_div_fixup_f32 v9, v3, v1, v9
	v_div_fmas_f32 v3, v10, v13, v16
	v_div_fixup_f32 v8, v3, v0, v8
	global_store_dwordx2 v[6:7], v[8:9], off
	s_cbranch_scc1 .LBB333_14
; %bb.15:
	s_cmp_lg_u32 s2, s8
	s_cselect_b64 s[0:1], -1, 0
.LBB333_16:
	s_and_b64 vcc, exec, s[0:1]
	s_cbranch_vccz .LBB333_19
; %bb.17:
	v_ashrrev_i32_e32 v1, 31, v4
	v_add_co_u32_e32 v2, vcc, s2, v4
	v_addc_co_u32_e32 v3, vcc, 0, v1, vcc
	v_lshlrev_b64 v[2:3], 2, v[2:3]
	v_mov_b32_e32 v1, s7
	v_add_co_u32_e32 v2, vcc, s6, v2
	s_sub_i32 s0, s8, s2
	v_addc_co_u32_e32 v3, vcc, v1, v3, vcc
.LBB333_18:                             ; =>This Inner Loop Header: Depth=1
	global_load_dword v1, v[2:3], off
	s_add_i32 s0, s0, -1
	s_cmp_lg_u32 s0, 0
	s_waitcnt vmcnt(0)
	v_div_scale_f32 v4, s[2:3], v0, v0, v1
	v_rcp_f32_e32 v5, v4
	v_div_scale_f32 v6, vcc, v1, v0, v1
	v_fma_f32 v7, -v4, v5, 1.0
	v_fmac_f32_e32 v5, v7, v5
	v_mul_f32_e32 v7, v6, v5
	v_fma_f32 v8, -v4, v7, v6
	v_fmac_f32_e32 v7, v8, v5
	v_fma_f32 v4, -v4, v7, v6
	v_div_fmas_f32 v4, v4, v5, v7
	v_div_fixup_f32 v1, v4, v0, v1
	global_store_dword v[2:3], v1, off
	v_add_co_u32_e32 v2, vcc, 4, v2
	v_addc_co_u32_e32 v3, vcc, 0, v3, vcc
	s_cbranch_scc1 .LBB333_18
.LBB333_19:
	s_endpgm
	.section	.rodata,"a",@progbits
	.p2align	6, 0x0
	.amdhsa_kernel _ZN4vllm3moe10topkGatingILi2ELi2ELi4ELi4ELi64Ej14__hip_bfloat16LNS0_11ScoringFuncE1EEEvPKT5_PKbPfiPT4_PiiiibPKf
		.amdhsa_group_segment_fixed_size 0
		.amdhsa_private_segment_fixed_size 0
		.amdhsa_kernarg_size 72
		.amdhsa_user_sgpr_count 6
		.amdhsa_user_sgpr_private_segment_buffer 1
		.amdhsa_user_sgpr_dispatch_ptr 0
		.amdhsa_user_sgpr_queue_ptr 0
		.amdhsa_user_sgpr_kernarg_segment_ptr 1
		.amdhsa_user_sgpr_dispatch_id 0
		.amdhsa_user_sgpr_flat_scratch_init 0
		.amdhsa_user_sgpr_kernarg_preload_length 0
		.amdhsa_user_sgpr_kernarg_preload_offset 0
		.amdhsa_user_sgpr_private_segment_size 0
		.amdhsa_uses_dynamic_stack 0
		.amdhsa_system_sgpr_private_segment_wavefront_offset 0
		.amdhsa_system_sgpr_workgroup_id_x 1
		.amdhsa_system_sgpr_workgroup_id_y 0
		.amdhsa_system_sgpr_workgroup_id_z 0
		.amdhsa_system_sgpr_workgroup_info 0
		.amdhsa_system_vgpr_workitem_id 1
		.amdhsa_next_free_vgpr 19
		.amdhsa_next_free_sgpr 24
		.amdhsa_accum_offset 20
		.amdhsa_reserve_vcc 1
		.amdhsa_reserve_flat_scratch 0
		.amdhsa_float_round_mode_32 0
		.amdhsa_float_round_mode_16_64 0
		.amdhsa_float_denorm_mode_32 3
		.amdhsa_float_denorm_mode_16_64 3
		.amdhsa_dx10_clamp 1
		.amdhsa_ieee_mode 1
		.amdhsa_fp16_overflow 0
		.amdhsa_tg_split 0
		.amdhsa_exception_fp_ieee_invalid_op 0
		.amdhsa_exception_fp_denorm_src 0
		.amdhsa_exception_fp_ieee_div_zero 0
		.amdhsa_exception_fp_ieee_overflow 0
		.amdhsa_exception_fp_ieee_underflow 0
		.amdhsa_exception_fp_ieee_inexact 0
		.amdhsa_exception_int_div_zero 0
	.end_amdhsa_kernel
	.section	.text._ZN4vllm3moe10topkGatingILi2ELi2ELi4ELi4ELi64Ej14__hip_bfloat16LNS0_11ScoringFuncE1EEEvPKT5_PKbPfiPT4_PiiiibPKf,"axG",@progbits,_ZN4vllm3moe10topkGatingILi2ELi2ELi4ELi4ELi64Ej14__hip_bfloat16LNS0_11ScoringFuncE1EEEvPKT5_PKbPfiPT4_PiiiibPKf,comdat
.Lfunc_end333:
	.size	_ZN4vllm3moe10topkGatingILi2ELi2ELi4ELi4ELi64Ej14__hip_bfloat16LNS0_11ScoringFuncE1EEEvPKT5_PKbPfiPT4_PiiiibPKf, .Lfunc_end333-_ZN4vllm3moe10topkGatingILi2ELi2ELi4ELi4ELi64Ej14__hip_bfloat16LNS0_11ScoringFuncE1EEEvPKT5_PKbPfiPT4_PiiiibPKf
                                        ; -- End function
	.section	.AMDGPU.csdata,"",@progbits
; Kernel info:
; codeLenInByte = 1248
; NumSgprs: 28
; NumVgprs: 19
; NumAgprs: 0
; TotalNumVgprs: 19
; ScratchSize: 0
; MemoryBound: 1
; FloatMode: 240
; IeeeMode: 1
; LDSByteSize: 0 bytes/workgroup (compile time only)
; SGPRBlocks: 3
; VGPRBlocks: 2
; NumSGPRsForWavesPerEU: 28
; NumVGPRsForWavesPerEU: 19
; AccumOffset: 20
; Occupancy: 8
; WaveLimiterHint : 0
; COMPUTE_PGM_RSRC2:SCRATCH_EN: 0
; COMPUTE_PGM_RSRC2:USER_SGPR: 6
; COMPUTE_PGM_RSRC2:TRAP_HANDLER: 0
; COMPUTE_PGM_RSRC2:TGID_X_EN: 1
; COMPUTE_PGM_RSRC2:TGID_Y_EN: 0
; COMPUTE_PGM_RSRC2:TGID_Z_EN: 0
; COMPUTE_PGM_RSRC2:TIDIG_COMP_CNT: 1
; COMPUTE_PGM_RSRC3_GFX90A:ACCUM_OFFSET: 4
; COMPUTE_PGM_RSRC3_GFX90A:TG_SPLIT: 0
	.section	.text._ZN4vllm3moe10topkGatingILi2ELi2ELi4ELi4ELi32Ej14__hip_bfloat16LNS0_11ScoringFuncE1EEEvPKT5_PKbPfiPT4_PiiiibPKf,"axG",@progbits,_ZN4vllm3moe10topkGatingILi2ELi2ELi4ELi4ELi32Ej14__hip_bfloat16LNS0_11ScoringFuncE1EEEvPKT5_PKbPfiPT4_PiiiibPKf,comdat
	.protected	_ZN4vllm3moe10topkGatingILi2ELi2ELi4ELi4ELi32Ej14__hip_bfloat16LNS0_11ScoringFuncE1EEEvPKT5_PKbPfiPT4_PiiiibPKf ; -- Begin function _ZN4vllm3moe10topkGatingILi2ELi2ELi4ELi4ELi32Ej14__hip_bfloat16LNS0_11ScoringFuncE1EEEvPKT5_PKbPfiPT4_PiiiibPKf
	.globl	_ZN4vllm3moe10topkGatingILi2ELi2ELi4ELi4ELi32Ej14__hip_bfloat16LNS0_11ScoringFuncE1EEEvPKT5_PKbPfiPT4_PiiiibPKf
	.p2align	8
	.type	_ZN4vllm3moe10topkGatingILi2ELi2ELi4ELi4ELi32Ej14__hip_bfloat16LNS0_11ScoringFuncE1EEEvPKT5_PKbPfiPT4_PiiiibPKf,@function
_ZN4vllm3moe10topkGatingILi2ELi2ELi4ELi4ELi32Ej14__hip_bfloat16LNS0_11ScoringFuncE1EEEvPKT5_PKbPfiPT4_PiiiibPKf: ; @_ZN4vllm3moe10topkGatingILi2ELi2ELi4ELi4ELi32Ej14__hip_bfloat16LNS0_11ScoringFuncE1EEEvPKT5_PKbPfiPT4_PiiiibPKf
; %bb.0:
	s_load_dword s16, s[4:5], 0x18
	v_bfe_u32 v1, v0, 10, 10
	s_lshl_b32 s0, s6, 7
	v_lshlrev_b32_e32 v1, 5, v1
	v_and_b32_e32 v0, 0x3ff, v0
	v_add3_u32 v10, v1, v0, s0
	s_waitcnt lgkmcnt(0)
	v_cmp_gt_i32_e32 vcc, s16, v10
	s_and_saveexec_b64 s[0:1], vcc
	s_cbranch_execz .LBB334_19
; %bb.1:
	s_load_dwordx4 s[0:3], s[4:5], 0x0
	s_load_dwordx2 s[6:7], s[4:5], 0x10
	s_waitcnt lgkmcnt(0)
	s_cmp_eq_u64 s[2:3], 0
	s_cbranch_scc1 .LBB334_3
; %bb.2:
	v_ashrrev_i32_e32 v1, 31, v10
	v_mov_b32_e32 v2, s3
	v_add_co_u32_e32 v0, vcc, s2, v10
	v_addc_co_u32_e32 v1, vcc, v2, v1, vcc
	global_load_ubyte v0, v[0:1], off
	s_waitcnt vmcnt(0)
	v_and_b32_e32 v0, 1, v0
	v_cmp_eq_u32_e32 vcc, 1, v0
	s_xor_b64 s[2:3], vcc, -1
	s_orn2_b64 s[12:13], s[2:3], exec
	s_branch .LBB334_4
.LBB334_3:
	s_mov_b64 s[12:13], -1
.LBB334_4:
	v_lshlrev_b32_e32 v0, 1, v10
	v_ashrrev_i32_e32 v1, 31, v0
	v_lshlrev_b64 v[0:1], 1, v[0:1]
	v_mov_b32_e32 v2, s1
	v_add_co_u32_e32 v0, vcc, s0, v0
	v_addc_co_u32_e32 v1, vcc, v2, v1, vcc
	global_load_dword v0, v[0:1], off
	s_load_dwordx2 s[2:3], s[4:5], 0x40
	s_movk_i32 s8, 0x1f8
	s_waitcnt lgkmcnt(0)
	s_cmp_eq_u64 s[2:3], 0
	s_waitcnt vmcnt(0)
	v_and_b32_e32 v1, 0xffff0000, v0
	v_lshlrev_b32_e32 v0, 16, v0
	v_mul_f32_e32 v0, 0xbfb8aa3b, v0
	v_mul_f32_e32 v1, 0xbfb8aa3b, v1
	v_exp_f32_e32 v0, v0
	v_exp_f32_e32 v1, v1
	v_pk_add_f32 v[0:1], v[0:1], 1.0 op_sel_hi:[1,0]
	v_div_scale_f32 v2, s[0:1], v1, v1, 1.0
	v_div_scale_f32 v4, s[0:1], v0, v0, 1.0
	v_rcp_f32_e32 v5, v2
	v_rcp_f32_e32 v6, v4
	v_div_scale_f32 v3, vcc, 1.0, v1, 1.0
	v_fma_f32 v8, -v2, v5, 1.0
	v_fma_f32 v9, -v4, v6, 1.0
	v_fmac_f32_e32 v5, v8, v5
	v_div_scale_f32 v7, s[0:1], 1.0, v0, 1.0
	v_fmac_f32_e32 v6, v9, v6
	v_mul_f32_e32 v8, v3, v5
	v_mul_f32_e32 v9, v7, v6
	v_fma_f32 v11, -v2, v8, v3
	v_fma_f32 v12, -v4, v9, v7
	v_fmac_f32_e32 v8, v11, v5
	v_fmac_f32_e32 v9, v12, v6
	v_fma_f32 v2, -v2, v8, v3
	v_fma_f32 v3, -v4, v9, v7
	v_div_fmas_f32 v2, v2, v5, v8
	s_mov_b64 vcc, s[0:1]
	v_div_fixup_f32 v1, v2, v1, 1.0
	v_div_fmas_f32 v2, v3, v6, v9
	v_div_fixup_f32 v0, v2, v0, 1.0
	v_cmp_class_f32_e64 vcc, v1, s8
	v_cndmask_b32_e32 v1, 0, v1, vcc
	v_cmp_class_f32_e64 vcc, v0, s8
	v_cndmask_b32_e32 v0, 0, v0, vcc
	v_pk_mov_b32 v[2:3], v[0:1], v[0:1] op_sel:[0,1]
	s_cbranch_scc1 .LBB334_6
; %bb.5:
	s_load_dwordx2 s[0:1], s[2:3], 0x0
	s_waitcnt lgkmcnt(0)
	v_pk_add_f32 v[2:3], v[0:1], s[0:1]
.LBB334_6:
	s_load_dwordx4 s[8:11], s[4:5], 0x30
	s_waitcnt lgkmcnt(0)
	s_bitcmp1_b32 s11, 0
	s_cselect_b64 vcc, -1, 0
	s_cmp_gt_i32 s8, 0
	s_cselect_b64 s[14:15], -1, 0
	s_cmp_lt_i32 s8, 1
	s_cbranch_scc1 .LBB334_10
; %bb.7:
	s_load_dwordx4 s[20:23], s[4:5], 0x20
	v_mul_lo_u32 v4, v10, s8
	v_ashrrev_i32_e32 v5, 31, v4
	v_lshlrev_b64 v[8:9], 2, v[4:5]
	v_mov_b32_e32 v5, s7
	v_add_co_u32_e64 v4, s[0:1], s6, v8
	v_addc_co_u32_e64 v5, s[0:1], v5, v9, s[0:1]
	s_waitcnt lgkmcnt(0)
	v_mov_b32_e32 v7, s21
	v_add_co_u32_e64 v6, s[0:1], s20, v8
	v_addc_co_u32_e64 v7, s[0:1], v7, v9, s[0:1]
	v_mov_b32_e32 v11, s23
	v_add_co_u32_e64 v8, s[0:1], s22, v8
	v_addc_co_u32_e64 v9, s[0:1], v11, v9, s[0:1]
	s_mov_b32 s11, 0
	v_mov_b32_e32 v11, 0
	v_mov_b32_e32 v12, 0xc61c4000
	;; [unrolled: 1-line block ×3, first 2 shown]
.LBB334_8:                              ; =>This Inner Loop Header: Depth=1
	v_cmp_gt_f32_e64 s[0:1], v3, v2
	v_cndmask_b32_e64 v14, 0, 1, s[0:1]
	v_cmp_le_i32_e64 s[2:3], s9, v14
	v_cmp_gt_i32_e64 s[4:5], s10, v14
	s_and_b64 s[2:3], s[2:3], s[4:5]
	v_subrev_u32_e32 v14, s9, v14
	s_and_b64 s[2:3], s[12:13], s[2:3]
	v_cndmask_b32_e64 v15, v0, v1, s[0:1]
	v_cndmask_b32_e64 v14, 2, v14, s[2:3]
	s_add_i32 s11, s11, 1
	global_store_dword v[4:5], v15, off
	global_store_dword v[6:7], v14, off
	;; [unrolled: 1-line block ×3, first 2 shown]
	v_add_f32_e32 v14, v11, v15
	s_cmp_lt_i32 s11, s8
	v_cndmask_b32_e32 v11, v11, v14, vcc
	v_cndmask_b32_e64 v14, v12, v2, s[0:1]
	v_cndmask_b32_e64 v15, v3, v12, s[0:1]
	s_cselect_b64 s[0:1], -1, 0
	v_cndmask_b32_e64 v3, v3, v15, s[0:1]
	v_cndmask_b32_e64 v2, v2, v14, s[0:1]
	v_add_co_u32_e64 v4, s[0:1], 4, v4
	v_addc_co_u32_e64 v5, s[0:1], 0, v5, s[0:1]
	v_add_co_u32_e64 v6, s[0:1], 4, v6
	v_addc_co_u32_e64 v7, s[0:1], 0, v7, s[0:1]
	v_add_co_u32_e64 v8, s[0:1], 4, v8
	v_add_u32_e32 v13, s16, v13
	s_cmp_eq_u32 s8, s11
	v_addc_co_u32_e64 v9, s[0:1], 0, v9, s[0:1]
	s_cbranch_scc0 .LBB334_8
; %bb.9:
	s_and_b64 vcc, exec, vcc
	s_cbranch_vccnz .LBB334_11
	s_branch .LBB334_19
.LBB334_10:
	v_mov_b32_e32 v11, 0
	s_and_b64 vcc, exec, vcc
	s_cbranch_vccz .LBB334_19
.LBB334_11:
	s_andn2_b64 vcc, exec, s[14:15]
	s_cbranch_vccnz .LBB334_19
; %bb.12:
	v_cmp_lt_f32_e32 vcc, 0, v11
	s_mov_b32 s2, 0
	v_cndmask_b32_e32 v0, 1.0, v11, vcc
	v_mul_lo_u32 v4, v10, s8
	s_cmp_eq_u32 s8, 1
	s_mov_b64 s[0:1], -1
	s_cbranch_scc1 .LBB334_16
; %bb.13:
	s_and_b32 s2, s8, 0x7ffffffe
	v_mov_b32_e32 v1, v0
	v_mov_b32_e32 v5, s7
	s_mov_b32 s3, s2
	v_mov_b32_e32 v2, v4
.LBB334_14:                             ; =>This Inner Loop Header: Depth=1
	v_ashrrev_i32_e32 v3, 31, v2
	v_lshlrev_b64 v[6:7], 2, v[2:3]
	v_add_co_u32_e32 v6, vcc, s6, v6
	v_addc_co_u32_e32 v7, vcc, v5, v7, vcc
	global_load_dwordx2 v[8:9], v[6:7], off
	s_add_i32 s3, s3, -2
	s_cmp_lg_u32 s3, 0
	v_add_u32_e32 v2, 2, v2
	s_waitcnt vmcnt(0)
	v_div_scale_f32 v3, s[0:1], v1, v1, v9
	v_div_scale_f32 v11, s[0:1], v0, v0, v8
	v_rcp_f32_e32 v12, v3
	v_rcp_f32_e32 v13, v11
	v_div_scale_f32 v10, vcc, v9, v1, v9
	v_fma_f32 v15, -v3, v12, 1.0
	v_fma_f32 v16, -v11, v13, 1.0
	v_fmac_f32_e32 v12, v15, v12
	v_div_scale_f32 v14, s[0:1], v8, v0, v8
	v_fmac_f32_e32 v13, v16, v13
	v_mul_f32_e32 v15, v10, v12
	v_mul_f32_e32 v16, v14, v13
	v_fma_f32 v17, -v3, v15, v10
	v_fma_f32 v18, -v11, v16, v14
	v_fmac_f32_e32 v15, v17, v12
	v_fmac_f32_e32 v16, v18, v13
	v_fma_f32 v3, -v3, v15, v10
	v_fma_f32 v10, -v11, v16, v14
	v_div_fmas_f32 v3, v3, v12, v15
	s_mov_b64 vcc, s[0:1]
	v_div_fixup_f32 v9, v3, v1, v9
	v_div_fmas_f32 v3, v10, v13, v16
	v_div_fixup_f32 v8, v3, v0, v8
	global_store_dwordx2 v[6:7], v[8:9], off
	s_cbranch_scc1 .LBB334_14
; %bb.15:
	s_cmp_lg_u32 s2, s8
	s_cselect_b64 s[0:1], -1, 0
.LBB334_16:
	s_and_b64 vcc, exec, s[0:1]
	s_cbranch_vccz .LBB334_19
; %bb.17:
	v_ashrrev_i32_e32 v1, 31, v4
	v_add_co_u32_e32 v2, vcc, s2, v4
	v_addc_co_u32_e32 v3, vcc, 0, v1, vcc
	v_lshlrev_b64 v[2:3], 2, v[2:3]
	v_mov_b32_e32 v1, s7
	v_add_co_u32_e32 v2, vcc, s6, v2
	s_sub_i32 s0, s8, s2
	v_addc_co_u32_e32 v3, vcc, v1, v3, vcc
.LBB334_18:                             ; =>This Inner Loop Header: Depth=1
	global_load_dword v1, v[2:3], off
	s_add_i32 s0, s0, -1
	s_cmp_lg_u32 s0, 0
	s_waitcnt vmcnt(0)
	v_div_scale_f32 v4, s[2:3], v0, v0, v1
	v_rcp_f32_e32 v5, v4
	v_div_scale_f32 v6, vcc, v1, v0, v1
	v_fma_f32 v7, -v4, v5, 1.0
	v_fmac_f32_e32 v5, v7, v5
	v_mul_f32_e32 v7, v6, v5
	v_fma_f32 v8, -v4, v7, v6
	v_fmac_f32_e32 v7, v8, v5
	v_fma_f32 v4, -v4, v7, v6
	v_div_fmas_f32 v4, v4, v5, v7
	v_div_fixup_f32 v1, v4, v0, v1
	global_store_dword v[2:3], v1, off
	v_add_co_u32_e32 v2, vcc, 4, v2
	v_addc_co_u32_e32 v3, vcc, 0, v3, vcc
	s_cbranch_scc1 .LBB334_18
.LBB334_19:
	s_endpgm
	.section	.rodata,"a",@progbits
	.p2align	6, 0x0
	.amdhsa_kernel _ZN4vllm3moe10topkGatingILi2ELi2ELi4ELi4ELi32Ej14__hip_bfloat16LNS0_11ScoringFuncE1EEEvPKT5_PKbPfiPT4_PiiiibPKf
		.amdhsa_group_segment_fixed_size 0
		.amdhsa_private_segment_fixed_size 0
		.amdhsa_kernarg_size 72
		.amdhsa_user_sgpr_count 6
		.amdhsa_user_sgpr_private_segment_buffer 1
		.amdhsa_user_sgpr_dispatch_ptr 0
		.amdhsa_user_sgpr_queue_ptr 0
		.amdhsa_user_sgpr_kernarg_segment_ptr 1
		.amdhsa_user_sgpr_dispatch_id 0
		.amdhsa_user_sgpr_flat_scratch_init 0
		.amdhsa_user_sgpr_kernarg_preload_length 0
		.amdhsa_user_sgpr_kernarg_preload_offset 0
		.amdhsa_user_sgpr_private_segment_size 0
		.amdhsa_uses_dynamic_stack 0
		.amdhsa_system_sgpr_private_segment_wavefront_offset 0
		.amdhsa_system_sgpr_workgroup_id_x 1
		.amdhsa_system_sgpr_workgroup_id_y 0
		.amdhsa_system_sgpr_workgroup_id_z 0
		.amdhsa_system_sgpr_workgroup_info 0
		.amdhsa_system_vgpr_workitem_id 1
		.amdhsa_next_free_vgpr 19
		.amdhsa_next_free_sgpr 24
		.amdhsa_accum_offset 20
		.amdhsa_reserve_vcc 1
		.amdhsa_reserve_flat_scratch 0
		.amdhsa_float_round_mode_32 0
		.amdhsa_float_round_mode_16_64 0
		.amdhsa_float_denorm_mode_32 3
		.amdhsa_float_denorm_mode_16_64 3
		.amdhsa_dx10_clamp 1
		.amdhsa_ieee_mode 1
		.amdhsa_fp16_overflow 0
		.amdhsa_tg_split 0
		.amdhsa_exception_fp_ieee_invalid_op 0
		.amdhsa_exception_fp_denorm_src 0
		.amdhsa_exception_fp_ieee_div_zero 0
		.amdhsa_exception_fp_ieee_overflow 0
		.amdhsa_exception_fp_ieee_underflow 0
		.amdhsa_exception_fp_ieee_inexact 0
		.amdhsa_exception_int_div_zero 0
	.end_amdhsa_kernel
	.section	.text._ZN4vllm3moe10topkGatingILi2ELi2ELi4ELi4ELi32Ej14__hip_bfloat16LNS0_11ScoringFuncE1EEEvPKT5_PKbPfiPT4_PiiiibPKf,"axG",@progbits,_ZN4vllm3moe10topkGatingILi2ELi2ELi4ELi4ELi32Ej14__hip_bfloat16LNS0_11ScoringFuncE1EEEvPKT5_PKbPfiPT4_PiiiibPKf,comdat
.Lfunc_end334:
	.size	_ZN4vllm3moe10topkGatingILi2ELi2ELi4ELi4ELi32Ej14__hip_bfloat16LNS0_11ScoringFuncE1EEEvPKT5_PKbPfiPT4_PiiiibPKf, .Lfunc_end334-_ZN4vllm3moe10topkGatingILi2ELi2ELi4ELi4ELi32Ej14__hip_bfloat16LNS0_11ScoringFuncE1EEEvPKT5_PKbPfiPT4_PiiiibPKf
                                        ; -- End function
	.section	.AMDGPU.csdata,"",@progbits
; Kernel info:
; codeLenInByte = 1248
; NumSgprs: 28
; NumVgprs: 19
; NumAgprs: 0
; TotalNumVgprs: 19
; ScratchSize: 0
; MemoryBound: 1
; FloatMode: 240
; IeeeMode: 1
; LDSByteSize: 0 bytes/workgroup (compile time only)
; SGPRBlocks: 3
; VGPRBlocks: 2
; NumSGPRsForWavesPerEU: 28
; NumVGPRsForWavesPerEU: 19
; AccumOffset: 20
; Occupancy: 8
; WaveLimiterHint : 0
; COMPUTE_PGM_RSRC2:SCRATCH_EN: 0
; COMPUTE_PGM_RSRC2:USER_SGPR: 6
; COMPUTE_PGM_RSRC2:TRAP_HANDLER: 0
; COMPUTE_PGM_RSRC2:TGID_X_EN: 1
; COMPUTE_PGM_RSRC2:TGID_Y_EN: 0
; COMPUTE_PGM_RSRC2:TGID_Z_EN: 0
; COMPUTE_PGM_RSRC2:TIDIG_COMP_CNT: 1
; COMPUTE_PGM_RSRC3_GFX90A:ACCUM_OFFSET: 4
; COMPUTE_PGM_RSRC3_GFX90A:TG_SPLIT: 0
	.section	.text._ZN4vllm3moe10topkGatingILi4ELi4ELi4ELi8ELi64Ej14__hip_bfloat16LNS0_11ScoringFuncE1EEEvPKT5_PKbPfiPT4_PiiiibPKf,"axG",@progbits,_ZN4vllm3moe10topkGatingILi4ELi4ELi4ELi8ELi64Ej14__hip_bfloat16LNS0_11ScoringFuncE1EEEvPKT5_PKbPfiPT4_PiiiibPKf,comdat
	.protected	_ZN4vllm3moe10topkGatingILi4ELi4ELi4ELi8ELi64Ej14__hip_bfloat16LNS0_11ScoringFuncE1EEEvPKT5_PKbPfiPT4_PiiiibPKf ; -- Begin function _ZN4vllm3moe10topkGatingILi4ELi4ELi4ELi8ELi64Ej14__hip_bfloat16LNS0_11ScoringFuncE1EEEvPKT5_PKbPfiPT4_PiiiibPKf
	.globl	_ZN4vllm3moe10topkGatingILi4ELi4ELi4ELi8ELi64Ej14__hip_bfloat16LNS0_11ScoringFuncE1EEEvPKT5_PKbPfiPT4_PiiiibPKf
	.p2align	8
	.type	_ZN4vllm3moe10topkGatingILi4ELi4ELi4ELi8ELi64Ej14__hip_bfloat16LNS0_11ScoringFuncE1EEEvPKT5_PKbPfiPT4_PiiiibPKf,@function
_ZN4vllm3moe10topkGatingILi4ELi4ELi4ELi8ELi64Ej14__hip_bfloat16LNS0_11ScoringFuncE1EEEvPKT5_PKbPfiPT4_PiiiibPKf: ; @_ZN4vllm3moe10topkGatingILi4ELi4ELi4ELi8ELi64Ej14__hip_bfloat16LNS0_11ScoringFuncE1EEEvPKT5_PKbPfiPT4_PiiiibPKf
; %bb.0:
	s_load_dword s16, s[4:5], 0x18
	v_bfe_u32 v1, v0, 10, 10
	s_lshl_b32 s0, s6, 8
	v_lshlrev_b32_e32 v1, 6, v1
	v_and_b32_e32 v0, 0x3ff, v0
	v_add3_u32 v14, v1, v0, s0
	s_waitcnt lgkmcnt(0)
	v_cmp_gt_i32_e32 vcc, s16, v14
	s_and_saveexec_b64 s[0:1], vcc
	s_cbranch_execz .LBB335_20
; %bb.1:
	s_load_dwordx4 s[0:3], s[4:5], 0x0
	s_load_dwordx2 s[12:13], s[4:5], 0x10
	s_mov_b64 s[8:9], -1
	s_mov_b64 s[14:15], -1
	s_waitcnt lgkmcnt(0)
	s_cmp_eq_u64 s[2:3], 0
	s_cbranch_scc1 .LBB335_3
; %bb.2:
	v_ashrrev_i32_e32 v1, 31, v14
	v_mov_b32_e32 v2, s3
	v_add_co_u32_e32 v0, vcc, s2, v14
	v_addc_co_u32_e32 v1, vcc, v2, v1, vcc
	global_load_ubyte v0, v[0:1], off
	s_waitcnt vmcnt(0)
	v_and_b32_e32 v0, 1, v0
	v_cmp_eq_u32_e32 vcc, 1, v0
	s_xor_b64 s[2:3], vcc, -1
	s_orn2_b64 s[14:15], s[2:3], exec
.LBB335_3:
	v_lshlrev_b32_e32 v0, 2, v14
	v_ashrrev_i32_e32 v1, 31, v0
	v_lshlrev_b64 v[0:1], 1, v[0:1]
	v_mov_b32_e32 v2, s1
	v_add_co_u32_e32 v0, vcc, s0, v0
	v_addc_co_u32_e32 v1, vcc, v2, v1, vcc
	global_load_dwordx2 v[0:1], v[0:1], off
	v_mov_b32_e32 v4, 0x207
	s_load_dwordx2 s[10:11], s[4:5], 0x40
	s_waitcnt lgkmcnt(0)
	s_cmp_eq_u64 s[10:11], 0
	s_waitcnt vmcnt(0)
	v_and_b32_e32 v2, 0xffff0000, v0
	v_lshlrev_b32_e32 v3, 16, v0
	v_alignbit_b32 v0, v1, v0, 16
	v_and_b32_e32 v1, 0xffff0000, v1
	v_and_b32_e32 v5, 0xffff0000, v0
	v_mul_f32_e32 v0, 0xbfb8aa3b, v3
	v_mul_f32_e32 v2, 0xbfb8aa3b, v2
	;; [unrolled: 1-line block ×3, first 2 shown]
	v_exp_f32_e32 v0, v0
	v_exp_f32_e32 v1, v2
	v_mul_f32_e32 v2, 0xbfb8aa3b, v5
	v_exp_f32_e32 v3, v3
	v_exp_f32_e32 v2, v2
	v_pk_add_f32 v[0:1], v[0:1], 1.0 op_sel_hi:[1,0]
	v_div_scale_f32 v5, s[0:1], v1, v1, 1.0
	v_pk_add_f32 v[2:3], v[2:3], 1.0 op_sel_hi:[1,0]
	v_rcp_f32_e32 v9, v5
	v_div_scale_f32 v7, s[0:1], v0, v0, 1.0
	v_div_scale_f32 v11, s[2:3], v3, v3, 1.0
	v_rcp_f32_e32 v10, v7
	v_rcp_f32_e32 v16, v11
	v_div_scale_f32 v13, s[6:7], v2, v2, 1.0
	v_rcp_f32_e32 v17, v13
	v_fma_f32 v18, -v5, v9, 1.0
	v_div_scale_f32 v6, vcc, 1.0, v1, 1.0
	v_fmac_f32_e32 v9, v18, v9
	v_fma_f32 v19, -v7, v10, 1.0
	v_fma_f32 v18, -v11, v16, 1.0
	v_mul_f32_e32 v20, v6, v9
	v_div_scale_f32 v8, s[0:1], 1.0, v0, 1.0
	v_fmac_f32_e32 v10, v19, v10
	v_fmac_f32_e32 v16, v18, v16
	v_fma_f32 v18, -v5, v20, v6
	v_fma_f32 v19, -v13, v17, 1.0
	v_mul_f32_e32 v21, v8, v10
	v_fmac_f32_e32 v20, v18, v9
	v_div_scale_f32 v12, s[2:3], 1.0, v3, 1.0
	v_fmac_f32_e32 v17, v19, v17
	v_fma_f32 v19, -v7, v21, v8
	v_fma_f32 v5, -v5, v20, v6
	v_mul_f32_e32 v22, v12, v16
	v_fmac_f32_e32 v21, v19, v10
	v_div_fmas_f32 v5, v5, v9, v20
	v_div_scale_f32 v15, s[6:7], 1.0, v2, 1.0
	v_fma_f32 v18, -v11, v22, v12
	v_fma_f32 v6, -v7, v21, v8
	v_div_fixup_f32 v1, v5, v1, 1.0
	s_mov_b64 vcc, s[0:1]
	v_mul_f32_e32 v23, v15, v17
	v_fmac_f32_e32 v22, v18, v16
	v_div_fmas_f32 v5, v6, v10, v21
	v_cmp_class_f32_e32 vcc, v1, v4
	v_fma_f32 v19, -v13, v23, v15
	v_fma_f32 v7, -v11, v22, v12
	v_div_fixup_f32 v0, v5, v0, 1.0
	v_cndmask_b32_e64 v1, v1, 0, vcc
	s_mov_b64 vcc, s[2:3]
	v_fmac_f32_e32 v23, v19, v17
	v_div_fmas_f32 v5, v7, v16, v22
	v_cmp_class_f32_e32 vcc, v0, v4
	v_fma_f32 v8, -v13, v23, v15
	v_cndmask_b32_e64 v0, v0, 0, vcc
	s_mov_b64 vcc, s[6:7]
	v_div_fixup_f32 v3, v5, v3, 1.0
	v_div_fmas_f32 v5, v8, v17, v23
	v_div_fixup_f32 v2, v5, v2, 1.0
	v_cmp_class_f32_e32 vcc, v3, v4
	v_cndmask_b32_e64 v3, v3, 0, vcc
	v_cmp_class_f32_e32 vcc, v2, v4
	v_cndmask_b32_e64 v2, v2, 0, vcc
	s_cbranch_scc1 .LBB335_10
; %bb.4:
	s_load_dwordx4 s[0:3], s[10:11], 0x0
	s_waitcnt lgkmcnt(0)
	v_pk_add_f32 v[4:5], s[0:1], v[0:1]
	v_pk_add_f32 v[6:7], s[2:3], v[2:3]
	s_cbranch_execnz .LBB335_6
.LBB335_5:
	v_pk_mov_b32 v[6:7], v[2:3], v[2:3] op_sel:[0,1]
	v_pk_mov_b32 v[4:5], v[0:1], v[0:1] op_sel:[0,1]
.LBB335_6:
	s_load_dwordx4 s[8:11], s[4:5], 0x30
	s_waitcnt lgkmcnt(0)
	s_bitcmp1_b32 s11, 0
	s_cselect_b64 vcc, -1, 0
	s_cmp_gt_i32 s8, 0
	s_cselect_b64 s[6:7], -1, 0
	s_cmp_lt_i32 s8, 1
	s_mov_b32 s11, 0
	s_cbranch_scc1 .LBB335_11
; %bb.7:
	s_load_dwordx4 s[20:23], s[4:5], 0x20
	v_mul_lo_u32 v8, v14, s8
	v_ashrrev_i32_e32 v9, 31, v8
	v_lshlrev_b64 v[12:13], 2, v[8:9]
	v_mov_b32_e32 v9, s13
	v_add_co_u32_e64 v8, s[0:1], s12, v12
	v_addc_co_u32_e64 v9, s[0:1], v9, v13, s[0:1]
	s_waitcnt lgkmcnt(0)
	v_mov_b32_e32 v11, s21
	v_add_co_u32_e64 v10, s[0:1], s20, v12
	v_addc_co_u32_e64 v11, s[0:1], v11, v13, s[0:1]
	v_mov_b32_e32 v15, s23
	v_add_co_u32_e64 v12, s[0:1], s22, v12
	v_addc_co_u32_e64 v13, s[0:1], v15, v13, s[0:1]
	v_mov_b32_e32 v15, 0
	v_mov_b32_e32 v16, 0xc61c4000
	;; [unrolled: 1-line block ×3, first 2 shown]
.LBB335_8:                              ; =>This Inner Loop Header: Depth=1
	v_cmp_gt_f32_e64 s[0:1], v5, v4
	v_cndmask_b32_e64 v20, v4, v5, s[0:1]
	v_cndmask_b32_e64 v18, 0, 1, s[0:1]
	;; [unrolled: 1-line block ×3, first 2 shown]
	v_cmp_gt_f32_e64 s[0:1], v6, v20
	v_cndmask_b32_e64 v20, v20, v6, s[0:1]
	v_cndmask_b32_e64 v18, v18, 2, s[0:1]
	;; [unrolled: 1-line block ×3, first 2 shown]
	v_cmp_gt_f32_e64 s[0:1], v7, v20
	v_cndmask_b32_e64 v18, v18, 3, s[0:1]
	v_cndmask_b32_e64 v19, v19, v3, s[0:1]
	v_cmp_le_i32_e64 s[0:1], s9, v18
	v_cmp_gt_i32_e64 s[2:3], s10, v18
	s_and_b64 s[0:1], s[0:1], s[2:3]
	v_subrev_u32_e32 v20, s9, v18
	s_and_b64 s[0:1], s[14:15], s[0:1]
	global_store_dword v[8:9], v19, off
	v_cndmask_b32_e64 v20, 4, v20, s[0:1]
	v_add_f32_e32 v19, v15, v19
	v_cmp_ne_u32_e64 s[0:1], 0, v18
	v_cndmask_b32_e32 v15, v15, v19, vcc
	v_cndmask_b32_e64 v19, v16, v4, s[0:1]
	v_cmp_ne_u32_e64 s[0:1], 1, v18
	global_store_dword v[10:11], v20, off
	global_store_dword v[12:13], v17, off
	s_add_i32 s11, s11, 1
	v_cndmask_b32_e64 v20, v16, v5, s[0:1]
	v_cmp_ne_u32_e64 s[0:1], 2, v18
	s_cmp_lt_i32 s11, s8
	v_cndmask_b32_e64 v21, v16, v6, s[0:1]
	v_cmp_ne_u32_e64 s[0:1], 3, v18
	v_cndmask_b32_e64 v18, v16, v7, s[0:1]
	s_cselect_b64 s[0:1], -1, 0
	v_cndmask_b32_e64 v7, v7, v18, s[0:1]
	v_cndmask_b32_e64 v6, v6, v21, s[0:1]
	;; [unrolled: 1-line block ×4, first 2 shown]
	v_add_co_u32_e64 v8, s[0:1], 4, v8
	v_addc_co_u32_e64 v9, s[0:1], 0, v9, s[0:1]
	v_add_co_u32_e64 v10, s[0:1], 4, v10
	v_addc_co_u32_e64 v11, s[0:1], 0, v11, s[0:1]
	v_add_co_u32_e64 v12, s[0:1], 4, v12
	v_add_u32_e32 v17, s16, v17
	s_cmp_eq_u32 s8, s11
	v_addc_co_u32_e64 v13, s[0:1], 0, v13, s[0:1]
	s_cbranch_scc0 .LBB335_8
; %bb.9:
	s_and_b64 vcc, exec, vcc
	s_cbranch_vccnz .LBB335_12
	s_branch .LBB335_20
.LBB335_10:
                                        ; implicit-def: $vgpr4_vgpr5_vgpr6_vgpr7
	s_andn2_b64 vcc, exec, s[8:9]
	s_cbranch_vccz .LBB335_5
	s_branch .LBB335_6
.LBB335_11:
	v_mov_b32_e32 v15, 0
	s_and_b64 vcc, exec, vcc
	s_cbranch_vccz .LBB335_20
.LBB335_12:
	s_andn2_b64 vcc, exec, s[6:7]
	s_cbranch_vccnz .LBB335_20
; %bb.13:
	v_cmp_lt_f32_e32 vcc, 0, v15
	s_mov_b32 s2, 0
	v_cndmask_b32_e32 v0, 1.0, v15, vcc
	v_mul_lo_u32 v4, v14, s8
	s_cmp_eq_u32 s8, 1
	s_mov_b64 s[0:1], -1
	s_cbranch_scc1 .LBB335_17
; %bb.14:
	s_and_b32 s2, s8, 0x7ffffffe
	v_mov_b32_e32 v1, v0
	v_mov_b32_e32 v5, s13
	s_mov_b32 s3, s2
	v_mov_b32_e32 v2, v4
.LBB335_15:                             ; =>This Inner Loop Header: Depth=1
	v_ashrrev_i32_e32 v3, 31, v2
	v_lshlrev_b64 v[6:7], 2, v[2:3]
	v_add_co_u32_e32 v6, vcc, s12, v6
	v_addc_co_u32_e32 v7, vcc, v5, v7, vcc
	global_load_dwordx2 v[8:9], v[6:7], off
	s_add_i32 s3, s3, -2
	s_cmp_lg_u32 s3, 0
	v_add_u32_e32 v2, 2, v2
	s_waitcnt vmcnt(0)
	v_div_scale_f32 v3, s[0:1], v1, v1, v9
	v_div_scale_f32 v11, s[0:1], v0, v0, v8
	v_rcp_f32_e32 v12, v3
	v_rcp_f32_e32 v13, v11
	v_div_scale_f32 v10, vcc, v9, v1, v9
	v_fma_f32 v15, -v3, v12, 1.0
	v_fma_f32 v16, -v11, v13, 1.0
	v_fmac_f32_e32 v12, v15, v12
	v_div_scale_f32 v14, s[0:1], v8, v0, v8
	v_fmac_f32_e32 v13, v16, v13
	v_mul_f32_e32 v15, v10, v12
	v_mul_f32_e32 v16, v14, v13
	v_fma_f32 v17, -v3, v15, v10
	v_fma_f32 v18, -v11, v16, v14
	v_fmac_f32_e32 v15, v17, v12
	v_fmac_f32_e32 v16, v18, v13
	v_fma_f32 v3, -v3, v15, v10
	v_fma_f32 v10, -v11, v16, v14
	v_div_fmas_f32 v3, v3, v12, v15
	s_mov_b64 vcc, s[0:1]
	v_div_fixup_f32 v9, v3, v1, v9
	v_div_fmas_f32 v3, v10, v13, v16
	v_div_fixup_f32 v8, v3, v0, v8
	global_store_dwordx2 v[6:7], v[8:9], off
	s_cbranch_scc1 .LBB335_15
; %bb.16:
	s_cmp_lg_u32 s2, s8
	s_cselect_b64 s[0:1], -1, 0
.LBB335_17:
	s_and_b64 vcc, exec, s[0:1]
	s_cbranch_vccz .LBB335_20
; %bb.18:
	v_ashrrev_i32_e32 v1, 31, v4
	v_add_co_u32_e32 v2, vcc, s2, v4
	v_addc_co_u32_e32 v3, vcc, 0, v1, vcc
	v_lshlrev_b64 v[2:3], 2, v[2:3]
	v_mov_b32_e32 v1, s13
	v_add_co_u32_e32 v2, vcc, s12, v2
	s_sub_i32 s0, s8, s2
	v_addc_co_u32_e32 v3, vcc, v1, v3, vcc
.LBB335_19:                             ; =>This Inner Loop Header: Depth=1
	global_load_dword v1, v[2:3], off
	s_add_i32 s0, s0, -1
	s_cmp_lg_u32 s0, 0
	s_waitcnt vmcnt(0)
	v_div_scale_f32 v4, s[2:3], v0, v0, v1
	v_rcp_f32_e32 v5, v4
	v_div_scale_f32 v6, vcc, v1, v0, v1
	v_fma_f32 v7, -v4, v5, 1.0
	v_fmac_f32_e32 v5, v7, v5
	v_mul_f32_e32 v7, v6, v5
	v_fma_f32 v8, -v4, v7, v6
	v_fmac_f32_e32 v7, v8, v5
	v_fma_f32 v4, -v4, v7, v6
	v_div_fmas_f32 v4, v4, v5, v7
	v_div_fixup_f32 v1, v4, v0, v1
	global_store_dword v[2:3], v1, off
	v_add_co_u32_e32 v2, vcc, 4, v2
	v_addc_co_u32_e32 v3, vcc, 0, v3, vcc
	s_cbranch_scc1 .LBB335_19
.LBB335_20:
	s_endpgm
	.section	.rodata,"a",@progbits
	.p2align	6, 0x0
	.amdhsa_kernel _ZN4vllm3moe10topkGatingILi4ELi4ELi4ELi8ELi64Ej14__hip_bfloat16LNS0_11ScoringFuncE1EEEvPKT5_PKbPfiPT4_PiiiibPKf
		.amdhsa_group_segment_fixed_size 0
		.amdhsa_private_segment_fixed_size 0
		.amdhsa_kernarg_size 72
		.amdhsa_user_sgpr_count 6
		.amdhsa_user_sgpr_private_segment_buffer 1
		.amdhsa_user_sgpr_dispatch_ptr 0
		.amdhsa_user_sgpr_queue_ptr 0
		.amdhsa_user_sgpr_kernarg_segment_ptr 1
		.amdhsa_user_sgpr_dispatch_id 0
		.amdhsa_user_sgpr_flat_scratch_init 0
		.amdhsa_user_sgpr_kernarg_preload_length 0
		.amdhsa_user_sgpr_kernarg_preload_offset 0
		.amdhsa_user_sgpr_private_segment_size 0
		.amdhsa_uses_dynamic_stack 0
		.amdhsa_system_sgpr_private_segment_wavefront_offset 0
		.amdhsa_system_sgpr_workgroup_id_x 1
		.amdhsa_system_sgpr_workgroup_id_y 0
		.amdhsa_system_sgpr_workgroup_id_z 0
		.amdhsa_system_sgpr_workgroup_info 0
		.amdhsa_system_vgpr_workitem_id 1
		.amdhsa_next_free_vgpr 24
		.amdhsa_next_free_sgpr 24
		.amdhsa_accum_offset 24
		.amdhsa_reserve_vcc 1
		.amdhsa_reserve_flat_scratch 0
		.amdhsa_float_round_mode_32 0
		.amdhsa_float_round_mode_16_64 0
		.amdhsa_float_denorm_mode_32 3
		.amdhsa_float_denorm_mode_16_64 3
		.amdhsa_dx10_clamp 1
		.amdhsa_ieee_mode 1
		.amdhsa_fp16_overflow 0
		.amdhsa_tg_split 0
		.amdhsa_exception_fp_ieee_invalid_op 0
		.amdhsa_exception_fp_denorm_src 0
		.amdhsa_exception_fp_ieee_div_zero 0
		.amdhsa_exception_fp_ieee_overflow 0
		.amdhsa_exception_fp_ieee_underflow 0
		.amdhsa_exception_fp_ieee_inexact 0
		.amdhsa_exception_int_div_zero 0
	.end_amdhsa_kernel
	.section	.text._ZN4vllm3moe10topkGatingILi4ELi4ELi4ELi8ELi64Ej14__hip_bfloat16LNS0_11ScoringFuncE1EEEvPKT5_PKbPfiPT4_PiiiibPKf,"axG",@progbits,_ZN4vllm3moe10topkGatingILi4ELi4ELi4ELi8ELi64Ej14__hip_bfloat16LNS0_11ScoringFuncE1EEEvPKT5_PKbPfiPT4_PiiiibPKf,comdat
.Lfunc_end335:
	.size	_ZN4vllm3moe10topkGatingILi4ELi4ELi4ELi8ELi64Ej14__hip_bfloat16LNS0_11ScoringFuncE1EEEvPKT5_PKbPfiPT4_PiiiibPKf, .Lfunc_end335-_ZN4vllm3moe10topkGatingILi4ELi4ELi4ELi8ELi64Ej14__hip_bfloat16LNS0_11ScoringFuncE1EEEvPKT5_PKbPfiPT4_PiiiibPKf
                                        ; -- End function
	.section	.AMDGPU.csdata,"",@progbits
; Kernel info:
; codeLenInByte = 1644
; NumSgprs: 28
; NumVgprs: 24
; NumAgprs: 0
; TotalNumVgprs: 24
; ScratchSize: 0
; MemoryBound: 1
; FloatMode: 240
; IeeeMode: 1
; LDSByteSize: 0 bytes/workgroup (compile time only)
; SGPRBlocks: 3
; VGPRBlocks: 2
; NumSGPRsForWavesPerEU: 28
; NumVGPRsForWavesPerEU: 24
; AccumOffset: 24
; Occupancy: 8
; WaveLimiterHint : 0
; COMPUTE_PGM_RSRC2:SCRATCH_EN: 0
; COMPUTE_PGM_RSRC2:USER_SGPR: 6
; COMPUTE_PGM_RSRC2:TRAP_HANDLER: 0
; COMPUTE_PGM_RSRC2:TGID_X_EN: 1
; COMPUTE_PGM_RSRC2:TGID_Y_EN: 0
; COMPUTE_PGM_RSRC2:TGID_Z_EN: 0
; COMPUTE_PGM_RSRC2:TIDIG_COMP_CNT: 1
; COMPUTE_PGM_RSRC3_GFX90A:ACCUM_OFFSET: 5
; COMPUTE_PGM_RSRC3_GFX90A:TG_SPLIT: 0
	.section	.text._ZN4vllm3moe10topkGatingILi4ELi4ELi4ELi8ELi32Ej14__hip_bfloat16LNS0_11ScoringFuncE1EEEvPKT5_PKbPfiPT4_PiiiibPKf,"axG",@progbits,_ZN4vllm3moe10topkGatingILi4ELi4ELi4ELi8ELi32Ej14__hip_bfloat16LNS0_11ScoringFuncE1EEEvPKT5_PKbPfiPT4_PiiiibPKf,comdat
	.protected	_ZN4vllm3moe10topkGatingILi4ELi4ELi4ELi8ELi32Ej14__hip_bfloat16LNS0_11ScoringFuncE1EEEvPKT5_PKbPfiPT4_PiiiibPKf ; -- Begin function _ZN4vllm3moe10topkGatingILi4ELi4ELi4ELi8ELi32Ej14__hip_bfloat16LNS0_11ScoringFuncE1EEEvPKT5_PKbPfiPT4_PiiiibPKf
	.globl	_ZN4vllm3moe10topkGatingILi4ELi4ELi4ELi8ELi32Ej14__hip_bfloat16LNS0_11ScoringFuncE1EEEvPKT5_PKbPfiPT4_PiiiibPKf
	.p2align	8
	.type	_ZN4vllm3moe10topkGatingILi4ELi4ELi4ELi8ELi32Ej14__hip_bfloat16LNS0_11ScoringFuncE1EEEvPKT5_PKbPfiPT4_PiiiibPKf,@function
_ZN4vllm3moe10topkGatingILi4ELi4ELi4ELi8ELi32Ej14__hip_bfloat16LNS0_11ScoringFuncE1EEEvPKT5_PKbPfiPT4_PiiiibPKf: ; @_ZN4vllm3moe10topkGatingILi4ELi4ELi4ELi8ELi32Ej14__hip_bfloat16LNS0_11ScoringFuncE1EEEvPKT5_PKbPfiPT4_PiiiibPKf
; %bb.0:
	s_load_dword s16, s[4:5], 0x18
	v_bfe_u32 v1, v0, 10, 10
	s_lshl_b32 s0, s6, 7
	v_lshlrev_b32_e32 v1, 5, v1
	v_and_b32_e32 v0, 0x3ff, v0
	v_add3_u32 v14, v1, v0, s0
	s_waitcnt lgkmcnt(0)
	v_cmp_gt_i32_e32 vcc, s16, v14
	s_and_saveexec_b64 s[0:1], vcc
	s_cbranch_execz .LBB336_20
; %bb.1:
	s_load_dwordx4 s[0:3], s[4:5], 0x0
	s_load_dwordx2 s[12:13], s[4:5], 0x10
	s_mov_b64 s[8:9], -1
	s_mov_b64 s[14:15], -1
	s_waitcnt lgkmcnt(0)
	s_cmp_eq_u64 s[2:3], 0
	s_cbranch_scc1 .LBB336_3
; %bb.2:
	v_ashrrev_i32_e32 v1, 31, v14
	v_mov_b32_e32 v2, s3
	v_add_co_u32_e32 v0, vcc, s2, v14
	v_addc_co_u32_e32 v1, vcc, v2, v1, vcc
	global_load_ubyte v0, v[0:1], off
	s_waitcnt vmcnt(0)
	v_and_b32_e32 v0, 1, v0
	v_cmp_eq_u32_e32 vcc, 1, v0
	s_xor_b64 s[2:3], vcc, -1
	s_orn2_b64 s[14:15], s[2:3], exec
.LBB336_3:
	v_lshlrev_b32_e32 v0, 2, v14
	v_ashrrev_i32_e32 v1, 31, v0
	v_lshlrev_b64 v[0:1], 1, v[0:1]
	v_mov_b32_e32 v2, s1
	v_add_co_u32_e32 v0, vcc, s0, v0
	v_addc_co_u32_e32 v1, vcc, v2, v1, vcc
	global_load_dwordx2 v[0:1], v[0:1], off
	v_mov_b32_e32 v4, 0x207
	s_load_dwordx2 s[10:11], s[4:5], 0x40
	s_waitcnt lgkmcnt(0)
	s_cmp_eq_u64 s[10:11], 0
	s_waitcnt vmcnt(0)
	v_and_b32_e32 v2, 0xffff0000, v0
	v_lshlrev_b32_e32 v3, 16, v0
	v_alignbit_b32 v0, v1, v0, 16
	v_and_b32_e32 v1, 0xffff0000, v1
	v_and_b32_e32 v5, 0xffff0000, v0
	v_mul_f32_e32 v0, 0xbfb8aa3b, v3
	v_mul_f32_e32 v2, 0xbfb8aa3b, v2
	v_mul_f32_e32 v3, 0xbfb8aa3b, v1
	v_exp_f32_e32 v0, v0
	v_exp_f32_e32 v1, v2
	v_mul_f32_e32 v2, 0xbfb8aa3b, v5
	v_exp_f32_e32 v3, v3
	v_exp_f32_e32 v2, v2
	v_pk_add_f32 v[0:1], v[0:1], 1.0 op_sel_hi:[1,0]
	v_div_scale_f32 v5, s[0:1], v1, v1, 1.0
	v_pk_add_f32 v[2:3], v[2:3], 1.0 op_sel_hi:[1,0]
	v_rcp_f32_e32 v9, v5
	v_div_scale_f32 v7, s[0:1], v0, v0, 1.0
	v_div_scale_f32 v11, s[2:3], v3, v3, 1.0
	v_rcp_f32_e32 v10, v7
	v_rcp_f32_e32 v16, v11
	v_div_scale_f32 v13, s[6:7], v2, v2, 1.0
	v_rcp_f32_e32 v17, v13
	v_fma_f32 v18, -v5, v9, 1.0
	v_div_scale_f32 v6, vcc, 1.0, v1, 1.0
	v_fmac_f32_e32 v9, v18, v9
	v_fma_f32 v19, -v7, v10, 1.0
	v_fma_f32 v18, -v11, v16, 1.0
	v_mul_f32_e32 v20, v6, v9
	v_div_scale_f32 v8, s[0:1], 1.0, v0, 1.0
	v_fmac_f32_e32 v10, v19, v10
	v_fmac_f32_e32 v16, v18, v16
	v_fma_f32 v18, -v5, v20, v6
	v_fma_f32 v19, -v13, v17, 1.0
	v_mul_f32_e32 v21, v8, v10
	v_fmac_f32_e32 v20, v18, v9
	v_div_scale_f32 v12, s[2:3], 1.0, v3, 1.0
	v_fmac_f32_e32 v17, v19, v17
	v_fma_f32 v19, -v7, v21, v8
	v_fma_f32 v5, -v5, v20, v6
	v_mul_f32_e32 v22, v12, v16
	v_fmac_f32_e32 v21, v19, v10
	v_div_fmas_f32 v5, v5, v9, v20
	v_div_scale_f32 v15, s[6:7], 1.0, v2, 1.0
	v_fma_f32 v18, -v11, v22, v12
	v_fma_f32 v6, -v7, v21, v8
	v_div_fixup_f32 v1, v5, v1, 1.0
	s_mov_b64 vcc, s[0:1]
	v_mul_f32_e32 v23, v15, v17
	v_fmac_f32_e32 v22, v18, v16
	v_div_fmas_f32 v5, v6, v10, v21
	v_cmp_class_f32_e32 vcc, v1, v4
	v_fma_f32 v19, -v13, v23, v15
	v_fma_f32 v7, -v11, v22, v12
	v_div_fixup_f32 v0, v5, v0, 1.0
	v_cndmask_b32_e64 v1, v1, 0, vcc
	s_mov_b64 vcc, s[2:3]
	v_fmac_f32_e32 v23, v19, v17
	v_div_fmas_f32 v5, v7, v16, v22
	v_cmp_class_f32_e32 vcc, v0, v4
	v_fma_f32 v8, -v13, v23, v15
	v_cndmask_b32_e64 v0, v0, 0, vcc
	s_mov_b64 vcc, s[6:7]
	v_div_fixup_f32 v3, v5, v3, 1.0
	v_div_fmas_f32 v5, v8, v17, v23
	v_div_fixup_f32 v2, v5, v2, 1.0
	v_cmp_class_f32_e32 vcc, v3, v4
	v_cndmask_b32_e64 v3, v3, 0, vcc
	v_cmp_class_f32_e32 vcc, v2, v4
	v_cndmask_b32_e64 v2, v2, 0, vcc
	s_cbranch_scc1 .LBB336_10
; %bb.4:
	s_load_dwordx4 s[0:3], s[10:11], 0x0
	s_waitcnt lgkmcnt(0)
	v_pk_add_f32 v[4:5], s[0:1], v[0:1]
	v_pk_add_f32 v[6:7], s[2:3], v[2:3]
	s_cbranch_execnz .LBB336_6
.LBB336_5:
	v_pk_mov_b32 v[6:7], v[2:3], v[2:3] op_sel:[0,1]
	v_pk_mov_b32 v[4:5], v[0:1], v[0:1] op_sel:[0,1]
.LBB336_6:
	s_load_dwordx4 s[8:11], s[4:5], 0x30
	s_waitcnt lgkmcnt(0)
	s_bitcmp1_b32 s11, 0
	s_cselect_b64 vcc, -1, 0
	s_cmp_gt_i32 s8, 0
	s_cselect_b64 s[6:7], -1, 0
	s_cmp_lt_i32 s8, 1
	s_mov_b32 s11, 0
	s_cbranch_scc1 .LBB336_11
; %bb.7:
	s_load_dwordx4 s[20:23], s[4:5], 0x20
	v_mul_lo_u32 v8, v14, s8
	v_ashrrev_i32_e32 v9, 31, v8
	v_lshlrev_b64 v[12:13], 2, v[8:9]
	v_mov_b32_e32 v9, s13
	v_add_co_u32_e64 v8, s[0:1], s12, v12
	v_addc_co_u32_e64 v9, s[0:1], v9, v13, s[0:1]
	s_waitcnt lgkmcnt(0)
	v_mov_b32_e32 v11, s21
	v_add_co_u32_e64 v10, s[0:1], s20, v12
	v_addc_co_u32_e64 v11, s[0:1], v11, v13, s[0:1]
	v_mov_b32_e32 v15, s23
	v_add_co_u32_e64 v12, s[0:1], s22, v12
	v_addc_co_u32_e64 v13, s[0:1], v15, v13, s[0:1]
	v_mov_b32_e32 v15, 0
	v_mov_b32_e32 v16, 0xc61c4000
	;; [unrolled: 1-line block ×3, first 2 shown]
.LBB336_8:                              ; =>This Inner Loop Header: Depth=1
	v_cmp_gt_f32_e64 s[0:1], v5, v4
	v_cndmask_b32_e64 v20, v4, v5, s[0:1]
	v_cndmask_b32_e64 v18, 0, 1, s[0:1]
	;; [unrolled: 1-line block ×3, first 2 shown]
	v_cmp_gt_f32_e64 s[0:1], v6, v20
	v_cndmask_b32_e64 v20, v20, v6, s[0:1]
	v_cndmask_b32_e64 v18, v18, 2, s[0:1]
	;; [unrolled: 1-line block ×3, first 2 shown]
	v_cmp_gt_f32_e64 s[0:1], v7, v20
	v_cndmask_b32_e64 v18, v18, 3, s[0:1]
	v_cndmask_b32_e64 v19, v19, v3, s[0:1]
	v_cmp_le_i32_e64 s[0:1], s9, v18
	v_cmp_gt_i32_e64 s[2:3], s10, v18
	s_and_b64 s[0:1], s[0:1], s[2:3]
	v_subrev_u32_e32 v20, s9, v18
	s_and_b64 s[0:1], s[14:15], s[0:1]
	global_store_dword v[8:9], v19, off
	v_cndmask_b32_e64 v20, 4, v20, s[0:1]
	v_add_f32_e32 v19, v15, v19
	v_cmp_ne_u32_e64 s[0:1], 0, v18
	v_cndmask_b32_e32 v15, v15, v19, vcc
	v_cndmask_b32_e64 v19, v16, v4, s[0:1]
	v_cmp_ne_u32_e64 s[0:1], 1, v18
	global_store_dword v[10:11], v20, off
	global_store_dword v[12:13], v17, off
	s_add_i32 s11, s11, 1
	v_cndmask_b32_e64 v20, v16, v5, s[0:1]
	v_cmp_ne_u32_e64 s[0:1], 2, v18
	s_cmp_lt_i32 s11, s8
	v_cndmask_b32_e64 v21, v16, v6, s[0:1]
	v_cmp_ne_u32_e64 s[0:1], 3, v18
	v_cndmask_b32_e64 v18, v16, v7, s[0:1]
	s_cselect_b64 s[0:1], -1, 0
	v_cndmask_b32_e64 v7, v7, v18, s[0:1]
	v_cndmask_b32_e64 v6, v6, v21, s[0:1]
	;; [unrolled: 1-line block ×4, first 2 shown]
	v_add_co_u32_e64 v8, s[0:1], 4, v8
	v_addc_co_u32_e64 v9, s[0:1], 0, v9, s[0:1]
	v_add_co_u32_e64 v10, s[0:1], 4, v10
	v_addc_co_u32_e64 v11, s[0:1], 0, v11, s[0:1]
	v_add_co_u32_e64 v12, s[0:1], 4, v12
	v_add_u32_e32 v17, s16, v17
	s_cmp_eq_u32 s8, s11
	v_addc_co_u32_e64 v13, s[0:1], 0, v13, s[0:1]
	s_cbranch_scc0 .LBB336_8
; %bb.9:
	s_and_b64 vcc, exec, vcc
	s_cbranch_vccnz .LBB336_12
	s_branch .LBB336_20
.LBB336_10:
                                        ; implicit-def: $vgpr4_vgpr5_vgpr6_vgpr7
	s_andn2_b64 vcc, exec, s[8:9]
	s_cbranch_vccz .LBB336_5
	s_branch .LBB336_6
.LBB336_11:
	v_mov_b32_e32 v15, 0
	s_and_b64 vcc, exec, vcc
	s_cbranch_vccz .LBB336_20
.LBB336_12:
	s_andn2_b64 vcc, exec, s[6:7]
	s_cbranch_vccnz .LBB336_20
; %bb.13:
	v_cmp_lt_f32_e32 vcc, 0, v15
	s_mov_b32 s2, 0
	v_cndmask_b32_e32 v0, 1.0, v15, vcc
	v_mul_lo_u32 v4, v14, s8
	s_cmp_eq_u32 s8, 1
	s_mov_b64 s[0:1], -1
	s_cbranch_scc1 .LBB336_17
; %bb.14:
	s_and_b32 s2, s8, 0x7ffffffe
	v_mov_b32_e32 v1, v0
	v_mov_b32_e32 v5, s13
	s_mov_b32 s3, s2
	v_mov_b32_e32 v2, v4
.LBB336_15:                             ; =>This Inner Loop Header: Depth=1
	v_ashrrev_i32_e32 v3, 31, v2
	v_lshlrev_b64 v[6:7], 2, v[2:3]
	v_add_co_u32_e32 v6, vcc, s12, v6
	v_addc_co_u32_e32 v7, vcc, v5, v7, vcc
	global_load_dwordx2 v[8:9], v[6:7], off
	s_add_i32 s3, s3, -2
	s_cmp_lg_u32 s3, 0
	v_add_u32_e32 v2, 2, v2
	s_waitcnt vmcnt(0)
	v_div_scale_f32 v3, s[0:1], v1, v1, v9
	v_div_scale_f32 v11, s[0:1], v0, v0, v8
	v_rcp_f32_e32 v12, v3
	v_rcp_f32_e32 v13, v11
	v_div_scale_f32 v10, vcc, v9, v1, v9
	v_fma_f32 v15, -v3, v12, 1.0
	v_fma_f32 v16, -v11, v13, 1.0
	v_fmac_f32_e32 v12, v15, v12
	v_div_scale_f32 v14, s[0:1], v8, v0, v8
	v_fmac_f32_e32 v13, v16, v13
	v_mul_f32_e32 v15, v10, v12
	v_mul_f32_e32 v16, v14, v13
	v_fma_f32 v17, -v3, v15, v10
	v_fma_f32 v18, -v11, v16, v14
	v_fmac_f32_e32 v15, v17, v12
	v_fmac_f32_e32 v16, v18, v13
	v_fma_f32 v3, -v3, v15, v10
	v_fma_f32 v10, -v11, v16, v14
	v_div_fmas_f32 v3, v3, v12, v15
	s_mov_b64 vcc, s[0:1]
	v_div_fixup_f32 v9, v3, v1, v9
	v_div_fmas_f32 v3, v10, v13, v16
	v_div_fixup_f32 v8, v3, v0, v8
	global_store_dwordx2 v[6:7], v[8:9], off
	s_cbranch_scc1 .LBB336_15
; %bb.16:
	s_cmp_lg_u32 s2, s8
	s_cselect_b64 s[0:1], -1, 0
.LBB336_17:
	s_and_b64 vcc, exec, s[0:1]
	s_cbranch_vccz .LBB336_20
; %bb.18:
	v_ashrrev_i32_e32 v1, 31, v4
	v_add_co_u32_e32 v2, vcc, s2, v4
	v_addc_co_u32_e32 v3, vcc, 0, v1, vcc
	v_lshlrev_b64 v[2:3], 2, v[2:3]
	v_mov_b32_e32 v1, s13
	v_add_co_u32_e32 v2, vcc, s12, v2
	s_sub_i32 s0, s8, s2
	v_addc_co_u32_e32 v3, vcc, v1, v3, vcc
.LBB336_19:                             ; =>This Inner Loop Header: Depth=1
	global_load_dword v1, v[2:3], off
	s_add_i32 s0, s0, -1
	s_cmp_lg_u32 s0, 0
	s_waitcnt vmcnt(0)
	v_div_scale_f32 v4, s[2:3], v0, v0, v1
	v_rcp_f32_e32 v5, v4
	v_div_scale_f32 v6, vcc, v1, v0, v1
	v_fma_f32 v7, -v4, v5, 1.0
	v_fmac_f32_e32 v5, v7, v5
	v_mul_f32_e32 v7, v6, v5
	v_fma_f32 v8, -v4, v7, v6
	v_fmac_f32_e32 v7, v8, v5
	v_fma_f32 v4, -v4, v7, v6
	v_div_fmas_f32 v4, v4, v5, v7
	v_div_fixup_f32 v1, v4, v0, v1
	global_store_dword v[2:3], v1, off
	v_add_co_u32_e32 v2, vcc, 4, v2
	v_addc_co_u32_e32 v3, vcc, 0, v3, vcc
	s_cbranch_scc1 .LBB336_19
.LBB336_20:
	s_endpgm
	.section	.rodata,"a",@progbits
	.p2align	6, 0x0
	.amdhsa_kernel _ZN4vllm3moe10topkGatingILi4ELi4ELi4ELi8ELi32Ej14__hip_bfloat16LNS0_11ScoringFuncE1EEEvPKT5_PKbPfiPT4_PiiiibPKf
		.amdhsa_group_segment_fixed_size 0
		.amdhsa_private_segment_fixed_size 0
		.amdhsa_kernarg_size 72
		.amdhsa_user_sgpr_count 6
		.amdhsa_user_sgpr_private_segment_buffer 1
		.amdhsa_user_sgpr_dispatch_ptr 0
		.amdhsa_user_sgpr_queue_ptr 0
		.amdhsa_user_sgpr_kernarg_segment_ptr 1
		.amdhsa_user_sgpr_dispatch_id 0
		.amdhsa_user_sgpr_flat_scratch_init 0
		.amdhsa_user_sgpr_kernarg_preload_length 0
		.amdhsa_user_sgpr_kernarg_preload_offset 0
		.amdhsa_user_sgpr_private_segment_size 0
		.amdhsa_uses_dynamic_stack 0
		.amdhsa_system_sgpr_private_segment_wavefront_offset 0
		.amdhsa_system_sgpr_workgroup_id_x 1
		.amdhsa_system_sgpr_workgroup_id_y 0
		.amdhsa_system_sgpr_workgroup_id_z 0
		.amdhsa_system_sgpr_workgroup_info 0
		.amdhsa_system_vgpr_workitem_id 1
		.amdhsa_next_free_vgpr 24
		.amdhsa_next_free_sgpr 24
		.amdhsa_accum_offset 24
		.amdhsa_reserve_vcc 1
		.amdhsa_reserve_flat_scratch 0
		.amdhsa_float_round_mode_32 0
		.amdhsa_float_round_mode_16_64 0
		.amdhsa_float_denorm_mode_32 3
		.amdhsa_float_denorm_mode_16_64 3
		.amdhsa_dx10_clamp 1
		.amdhsa_ieee_mode 1
		.amdhsa_fp16_overflow 0
		.amdhsa_tg_split 0
		.amdhsa_exception_fp_ieee_invalid_op 0
		.amdhsa_exception_fp_denorm_src 0
		.amdhsa_exception_fp_ieee_div_zero 0
		.amdhsa_exception_fp_ieee_overflow 0
		.amdhsa_exception_fp_ieee_underflow 0
		.amdhsa_exception_fp_ieee_inexact 0
		.amdhsa_exception_int_div_zero 0
	.end_amdhsa_kernel
	.section	.text._ZN4vllm3moe10topkGatingILi4ELi4ELi4ELi8ELi32Ej14__hip_bfloat16LNS0_11ScoringFuncE1EEEvPKT5_PKbPfiPT4_PiiiibPKf,"axG",@progbits,_ZN4vllm3moe10topkGatingILi4ELi4ELi4ELi8ELi32Ej14__hip_bfloat16LNS0_11ScoringFuncE1EEEvPKT5_PKbPfiPT4_PiiiibPKf,comdat
.Lfunc_end336:
	.size	_ZN4vllm3moe10topkGatingILi4ELi4ELi4ELi8ELi32Ej14__hip_bfloat16LNS0_11ScoringFuncE1EEEvPKT5_PKbPfiPT4_PiiiibPKf, .Lfunc_end336-_ZN4vllm3moe10topkGatingILi4ELi4ELi4ELi8ELi32Ej14__hip_bfloat16LNS0_11ScoringFuncE1EEEvPKT5_PKbPfiPT4_PiiiibPKf
                                        ; -- End function
	.section	.AMDGPU.csdata,"",@progbits
; Kernel info:
; codeLenInByte = 1644
; NumSgprs: 28
; NumVgprs: 24
; NumAgprs: 0
; TotalNumVgprs: 24
; ScratchSize: 0
; MemoryBound: 1
; FloatMode: 240
; IeeeMode: 1
; LDSByteSize: 0 bytes/workgroup (compile time only)
; SGPRBlocks: 3
; VGPRBlocks: 2
; NumSGPRsForWavesPerEU: 28
; NumVGPRsForWavesPerEU: 24
; AccumOffset: 24
; Occupancy: 8
; WaveLimiterHint : 0
; COMPUTE_PGM_RSRC2:SCRATCH_EN: 0
; COMPUTE_PGM_RSRC2:USER_SGPR: 6
; COMPUTE_PGM_RSRC2:TRAP_HANDLER: 0
; COMPUTE_PGM_RSRC2:TGID_X_EN: 1
; COMPUTE_PGM_RSRC2:TGID_Y_EN: 0
; COMPUTE_PGM_RSRC2:TGID_Z_EN: 0
; COMPUTE_PGM_RSRC2:TIDIG_COMP_CNT: 1
; COMPUTE_PGM_RSRC3_GFX90A:ACCUM_OFFSET: 5
; COMPUTE_PGM_RSRC3_GFX90A:TG_SPLIT: 0
	.section	.text._ZN4vllm3moe10topkGatingILi8ELi8ELi4ELi16ELi64Ej14__hip_bfloat16LNS0_11ScoringFuncE1EEEvPKT5_PKbPfiPT4_PiiiibPKf,"axG",@progbits,_ZN4vllm3moe10topkGatingILi8ELi8ELi4ELi16ELi64Ej14__hip_bfloat16LNS0_11ScoringFuncE1EEEvPKT5_PKbPfiPT4_PiiiibPKf,comdat
	.protected	_ZN4vllm3moe10topkGatingILi8ELi8ELi4ELi16ELi64Ej14__hip_bfloat16LNS0_11ScoringFuncE1EEEvPKT5_PKbPfiPT4_PiiiibPKf ; -- Begin function _ZN4vllm3moe10topkGatingILi8ELi8ELi4ELi16ELi64Ej14__hip_bfloat16LNS0_11ScoringFuncE1EEEvPKT5_PKbPfiPT4_PiiiibPKf
	.globl	_ZN4vllm3moe10topkGatingILi8ELi8ELi4ELi16ELi64Ej14__hip_bfloat16LNS0_11ScoringFuncE1EEEvPKT5_PKbPfiPT4_PiiiibPKf
	.p2align	8
	.type	_ZN4vllm3moe10topkGatingILi8ELi8ELi4ELi16ELi64Ej14__hip_bfloat16LNS0_11ScoringFuncE1EEEvPKT5_PKbPfiPT4_PiiiibPKf,@function
_ZN4vllm3moe10topkGatingILi8ELi8ELi4ELi16ELi64Ej14__hip_bfloat16LNS0_11ScoringFuncE1EEEvPKT5_PKbPfiPT4_PiiiibPKf: ; @_ZN4vllm3moe10topkGatingILi8ELi8ELi4ELi16ELi64Ej14__hip_bfloat16LNS0_11ScoringFuncE1EEEvPKT5_PKbPfiPT4_PiiiibPKf
; %bb.0:
	s_load_dword s18, s[4:5], 0x18
	v_bfe_u32 v1, v0, 10, 10
	s_lshl_b32 s0, s6, 8
	v_lshlrev_b32_e32 v1, 6, v1
	v_and_b32_e32 v0, 0x3ff, v0
	v_add3_u32 v16, v1, v0, s0
	s_waitcnt lgkmcnt(0)
	v_cmp_gt_i32_e32 vcc, s18, v16
	s_and_saveexec_b64 s[0:1], vcc
	s_cbranch_execz .LBB337_20
; %bb.1:
	s_load_dwordx4 s[0:3], s[4:5], 0x0
	s_load_dwordx2 s[12:13], s[4:5], 0x10
	s_mov_b64 s[8:9], -1
	s_mov_b64 s[14:15], -1
	s_waitcnt lgkmcnt(0)
	s_cmp_eq_u64 s[2:3], 0
	s_cbranch_scc1 .LBB337_3
; %bb.2:
	v_ashrrev_i32_e32 v1, 31, v16
	v_mov_b32_e32 v2, s3
	v_add_co_u32_e32 v0, vcc, s2, v16
	v_addc_co_u32_e32 v1, vcc, v2, v1, vcc
	global_load_ubyte v0, v[0:1], off
	s_waitcnt vmcnt(0)
	v_and_b32_e32 v0, 1, v0
	v_cmp_eq_u32_e32 vcc, 1, v0
	s_xor_b64 s[2:3], vcc, -1
	s_orn2_b64 s[14:15], s[2:3], exec
.LBB337_3:
	v_lshlrev_b32_e32 v0, 3, v16
	v_ashrrev_i32_e32 v1, 31, v0
	v_lshlrev_b64 v[0:1], 1, v[0:1]
	v_mov_b32_e32 v2, s1
	v_add_co_u32_e32 v0, vcc, s0, v0
	v_addc_co_u32_e32 v1, vcc, v2, v1, vcc
	global_load_dwordx4 v[0:3], v[0:1], off
	v_mov_b32_e32 v8, 0x207
	s_load_dwordx2 s[10:11], s[4:5], 0x40
	s_waitcnt lgkmcnt(0)
	s_cmp_eq_u64 s[10:11], 0
	s_waitcnt vmcnt(0)
	v_lshlrev_b32_e32 v4, 16, v0
	v_and_b32_e32 v0, 0xffff0000, v0
	v_lshlrev_b32_e32 v5, 16, v1
	v_and_b32_e32 v1, 0xffff0000, v1
	v_mul_f32_e32 v4, 0xbfb8aa3b, v4
	v_mul_f32_e32 v9, 0xbfb8aa3b, v0
	v_lshlrev_b32_e32 v6, 16, v2
	v_and_b32_e32 v2, 0xffff0000, v2
	v_mul_f32_e32 v10, 0xbfb8aa3b, v1
	v_exp_f32_e32 v0, v4
	v_exp_f32_e32 v1, v9
	v_mul_f32_e32 v5, 0xbfb8aa3b, v5
	v_mul_f32_e32 v6, 0xbfb8aa3b, v6
	;; [unrolled: 1-line block ×3, first 2 shown]
	v_exp_f32_e32 v2, v5
	v_exp_f32_e32 v4, v6
	;; [unrolled: 1-line block ×3, first 2 shown]
	v_lshlrev_b32_e32 v7, 16, v3
	v_and_b32_e32 v3, 0xffff0000, v3
	v_mul_f32_e32 v12, 0xbfb8aa3b, v3
	v_exp_f32_e32 v3, v10
	v_pk_add_f32 v[0:1], v[0:1], 1.0 op_sel_hi:[1,0]
	v_div_scale_f32 v9, s[0:1], v1, v1, 1.0
	v_pk_add_f32 v[4:5], v[4:5], 1.0 op_sel_hi:[1,0]
	v_rcp_f32_e32 v19, v9
	v_div_scale_f32 v11, s[0:1], v0, v0, 1.0
	v_div_scale_f32 v18, s[16:17], v5, v5, 1.0
	v_pk_add_f32 v[2:3], v[2:3], 1.0 op_sel_hi:[1,0]
	v_rcp_f32_e32 v20, v11
	v_rcp_f32_e32 v23, v18
	v_div_scale_f32 v13, s[2:3], v3, v3, 1.0
	v_rcp_f32_e32 v21, v13
	v_fma_f32 v24, -v9, v19, 1.0
	v_div_scale_f32 v10, vcc, 1.0, v1, 1.0
	v_div_scale_f32 v15, s[6:7], v2, v2, 1.0
	v_fmac_f32_e32 v19, v24, v19
	v_mul_f32_e32 v7, 0xbfb8aa3b, v7
	v_rcp_f32_e32 v22, v15
	v_fma_f32 v25, -v11, v20, 1.0
	v_fma_f32 v28, -v18, v23, 1.0
	v_mul_f32_e32 v24, v10, v19
	v_exp_f32_e32 v6, v7
	v_exp_f32_e32 v7, v12
	v_div_scale_f32 v12, s[0:1], 1.0, v0, 1.0
	v_fmac_f32_e32 v20, v25, v20
	v_fmac_f32_e32 v23, v28, v23
	v_fma_f32 v28, -v9, v24, v10
	v_fma_f32 v26, -v13, v21, 1.0
	v_mul_f32_e32 v25, v12, v20
	v_fmac_f32_e32 v24, v28, v19
	v_div_scale_f32 v14, s[2:3], 1.0, v3, 1.0
	v_fmac_f32_e32 v21, v26, v21
	v_fma_f32 v29, -v11, v25, v12
	v_fma_f32 v9, -v9, v24, v10
	v_fma_f32 v27, -v15, v22, 1.0
	v_mul_f32_e32 v26, v14, v21
	v_fmac_f32_e32 v25, v29, v20
	v_div_fmas_f32 v9, v9, v19, v24
	v_div_scale_f32 v17, s[6:7], 1.0, v2, 1.0
	v_fmac_f32_e32 v22, v27, v22
	v_fma_f32 v30, -v13, v26, v14
	v_fma_f32 v10, -v11, v25, v12
	v_div_fixup_f32 v1, v9, v1, 1.0
	s_mov_b64 vcc, s[0:1]
	v_mul_f32_e32 v27, v17, v22
	v_fmac_f32_e32 v26, v30, v21
	v_div_fmas_f32 v9, v10, v20, v25
	v_cmp_class_f32_e32 vcc, v1, v8
	v_fma_f32 v31, -v15, v27, v17
	v_fma_f32 v11, -v13, v26, v14
	v_div_fixup_f32 v0, v9, v0, 1.0
	v_cndmask_b32_e64 v1, v1, 0, vcc
	s_mov_b64 vcc, s[2:3]
	v_fmac_f32_e32 v27, v31, v22
	v_div_fmas_f32 v9, v11, v21, v26
	v_cmp_class_f32_e32 vcc, v0, v8
	v_fma_f32 v12, -v15, v27, v17
	v_cndmask_b32_e64 v0, v0, 0, vcc
	s_mov_b64 vcc, s[6:7]
	v_div_fixup_f32 v3, v9, v3, 1.0
	v_div_fmas_f32 v9, v12, v22, v27
	v_div_fixup_f32 v2, v9, v2, 1.0
	v_cmp_class_f32_e32 vcc, v3, v8
	v_cndmask_b32_e64 v3, v3, 0, vcc
	v_cmp_class_f32_e32 vcc, v2, v8
	v_cndmask_b32_e64 v2, v2, 0, vcc
	v_div_scale_f32 v9, vcc, 1.0, v5, 1.0
	v_mul_f32_e32 v10, v9, v23
	v_fma_f32 v11, -v18, v10, v9
	v_fmac_f32_e32 v10, v11, v23
	v_div_scale_f32 v11, s[0:1], v4, v4, 1.0
	v_rcp_f32_e32 v12, v11
	v_fma_f32 v9, -v18, v10, v9
	v_div_fmas_f32 v9, v9, v23, v10
	v_div_fixup_f32 v5, v9, v5, 1.0
	v_fma_f32 v9, -v11, v12, 1.0
	v_fmac_f32_e32 v12, v9, v12
	v_div_scale_f32 v9, vcc, 1.0, v4, 1.0
	v_mul_f32_e32 v10, v9, v12
	v_fma_f32 v13, -v11, v10, v9
	v_fmac_f32_e32 v10, v13, v12
	v_fma_f32 v9, -v11, v10, v9
	v_div_fmas_f32 v9, v9, v12, v10
	v_pk_add_f32 v[6:7], v[6:7], 1.0 op_sel_hi:[1,0]
	v_div_fixup_f32 v4, v9, v4, 1.0
	v_div_scale_f32 v9, s[0:1], v7, v7, 1.0
	v_rcp_f32_e32 v10, v9
	v_cmp_class_f32_e32 vcc, v5, v8
	v_cndmask_b32_e64 v5, v5, 0, vcc
	v_cmp_class_f32_e32 vcc, v4, v8
	v_fma_f32 v11, -v9, v10, 1.0
	v_cndmask_b32_e64 v4, v4, 0, vcc
	v_fmac_f32_e32 v10, v11, v10
	v_div_scale_f32 v11, vcc, 1.0, v7, 1.0
	v_mul_f32_e32 v12, v11, v10
	v_fma_f32 v13, -v9, v12, v11
	v_fmac_f32_e32 v12, v13, v10
	v_fma_f32 v9, -v9, v12, v11
	v_div_scale_f32 v11, s[0:1], v6, v6, 1.0
	v_rcp_f32_e32 v13, v11
	v_div_fmas_f32 v9, v9, v10, v12
	v_div_fixup_f32 v7, v9, v7, 1.0
	v_fma_f32 v9, -v11, v13, 1.0
	v_fmac_f32_e32 v13, v9, v13
	v_div_scale_f32 v9, vcc, 1.0, v6, 1.0
	v_mul_f32_e32 v10, v9, v13
	v_fma_f32 v12, -v11, v10, v9
	v_fmac_f32_e32 v10, v12, v13
	v_fma_f32 v9, -v11, v10, v9
	v_div_fmas_f32 v9, v9, v13, v10
	v_div_fixup_f32 v6, v9, v6, 1.0
	v_cmp_class_f32_e32 vcc, v7, v8
	v_cndmask_b32_e64 v7, v7, 0, vcc
	v_cmp_class_f32_e32 vcc, v6, v8
	v_cndmask_b32_e64 v6, v6, 0, vcc
	s_cbranch_scc1 .LBB337_10
; %bb.4:
	s_load_dwordx8 s[20:27], s[10:11], 0x0
	s_waitcnt lgkmcnt(0)
	v_pk_add_f32 v[8:9], s[20:21], v[0:1]
	v_pk_add_f32 v[10:11], s[22:23], v[2:3]
	;; [unrolled: 1-line block ×4, first 2 shown]
	s_cbranch_execnz .LBB337_6
.LBB337_5:
	v_pk_mov_b32 v[14:15], v[6:7], v[6:7] op_sel:[0,1]
	v_pk_mov_b32 v[12:13], v[4:5], v[4:5] op_sel:[0,1]
	;; [unrolled: 1-line block ×4, first 2 shown]
.LBB337_6:
	s_load_dwordx4 s[8:11], s[4:5], 0x30
	s_waitcnt lgkmcnt(0)
	s_bitcmp1_b32 s11, 0
	s_cselect_b64 vcc, -1, 0
	s_cmp_gt_i32 s8, 0
	s_cselect_b64 s[16:17], -1, 0
	s_cmp_lt_i32 s8, 1
	s_mov_b32 s11, 0
	s_cbranch_scc1 .LBB337_11
; %bb.7:
	s_load_dwordx4 s[4:7], s[4:5], 0x20
	v_mul_lo_u32 v18, v16, s8
	v_mov_b32_e32 v17, 0
	v_mov_b32_e32 v19, s13
	;; [unrolled: 1-line block ×3, first 2 shown]
	s_waitcnt lgkmcnt(0)
	v_mov_b32_e32 v20, s5
	v_mov_b32_e32 v21, s7
	v_mov_b32_e32 v23, v16
.LBB337_8:                              ; =>This Inner Loop Header: Depth=1
	v_cmp_gt_f32_e64 s[0:1], v9, v8
	v_cndmask_b32_e64 v26, v8, v9, s[0:1]
	v_cndmask_b32_e64 v24, 0, 1, s[0:1]
	v_cndmask_b32_e64 v25, v0, v1, s[0:1]
	v_cmp_gt_f32_e64 s[0:1], v10, v26
	v_cndmask_b32_e64 v26, v26, v10, s[0:1]
	v_cndmask_b32_e64 v24, v24, 2, s[0:1]
	v_cndmask_b32_e64 v25, v25, v2, s[0:1]
	;; [unrolled: 4-line block ×6, first 2 shown]
	v_cmp_gt_f32_e64 s[0:1], v15, v26
	v_cndmask_b32_e64 v28, v24, 7, s[0:1]
	v_add_u32_e32 v24, s11, v18
	v_cndmask_b32_e64 v29, v25, v7, s[0:1]
	v_ashrrev_i32_e32 v25, 31, v24
	v_cmp_le_i32_e64 s[0:1], s9, v28
	v_cmp_gt_i32_e64 s[2:3], s10, v28
	v_lshlrev_b64 v[24:25], 2, v[24:25]
	s_and_b64 s[2:3], s[0:1], s[2:3]
	v_add_co_u32_e64 v26, s[0:1], s12, v24
	v_addc_co_u32_e64 v27, s[0:1], v19, v25, s[0:1]
	global_store_dword v[26:27], v29, off
	v_subrev_u32_e32 v26, s9, v28
	s_and_b64 s[0:1], s[14:15], s[2:3]
	v_cndmask_b32_e64 v30, 8, v26, s[0:1]
	v_add_co_u32_e64 v26, s[0:1], s4, v24
	v_addc_co_u32_e64 v27, s[0:1], v20, v25, s[0:1]
	v_add_co_u32_e64 v24, s[0:1], s6, v24
	v_addc_co_u32_e64 v25, s[0:1], v21, v25, s[0:1]
	global_store_dword v[26:27], v30, off
	global_store_dword v[24:25], v23, off
	v_add_f32_e32 v24, v17, v29
	v_cmp_ne_u32_e64 s[0:1], 0, v28
	v_cndmask_b32_e32 v17, v17, v24, vcc
	v_cndmask_b32_e64 v24, v22, v8, s[0:1]
	v_cmp_ne_u32_e64 s[0:1], 1, v28
	v_cndmask_b32_e64 v25, v22, v9, s[0:1]
	v_cmp_ne_u32_e64 s[0:1], 2, v28
	;; [unrolled: 2-line block ×5, first 2 shown]
	s_add_i32 s11, s11, 1
	v_cndmask_b32_e64 v30, v22, v13, s[0:1]
	v_cmp_ne_u32_e64 s[0:1], 6, v28
	s_cmp_lt_i32 s11, s8
	v_cndmask_b32_e64 v31, v22, v14, s[0:1]
	v_cmp_ne_u32_e64 s[0:1], 7, v28
	v_cndmask_b32_e64 v28, v22, v15, s[0:1]
	s_cselect_b64 s[0:1], -1, 0
	v_cndmask_b32_e64 v15, v15, v28, s[0:1]
	v_cndmask_b32_e64 v14, v14, v31, s[0:1]
	;; [unrolled: 1-line block ×8, first 2 shown]
	s_cmp_eq_u32 s8, s11
	v_add_u32_e32 v23, s18, v23
	s_cbranch_scc0 .LBB337_8
; %bb.9:
	s_and_b64 vcc, exec, vcc
	s_cbranch_vccnz .LBB337_12
	s_branch .LBB337_20
.LBB337_10:
                                        ; implicit-def: $vgpr8_vgpr9_vgpr10_vgpr11_vgpr12_vgpr13_vgpr14_vgpr15
	s_andn2_b64 vcc, exec, s[8:9]
	s_cbranch_vccz .LBB337_5
	s_branch .LBB337_6
.LBB337_11:
	v_mov_b32_e32 v17, 0
	s_and_b64 vcc, exec, vcc
	s_cbranch_vccz .LBB337_20
.LBB337_12:
	s_andn2_b64 vcc, exec, s[16:17]
	s_cbranch_vccnz .LBB337_20
; %bb.13:
	v_cmp_lt_f32_e32 vcc, 0, v17
	s_mov_b32 s2, 0
	v_cndmask_b32_e32 v0, 1.0, v17, vcc
	v_mul_lo_u32 v4, v16, s8
	s_cmp_eq_u32 s8, 1
	s_mov_b64 s[0:1], -1
	s_cbranch_scc1 .LBB337_17
; %bb.14:
	s_and_b32 s2, s8, 0x7ffffffe
	v_mov_b32_e32 v1, v0
	v_mov_b32_e32 v5, s13
	s_mov_b32 s3, s2
	v_mov_b32_e32 v2, v4
.LBB337_15:                             ; =>This Inner Loop Header: Depth=1
	v_ashrrev_i32_e32 v3, 31, v2
	v_lshlrev_b64 v[6:7], 2, v[2:3]
	v_add_co_u32_e32 v6, vcc, s12, v6
	v_addc_co_u32_e32 v7, vcc, v5, v7, vcc
	global_load_dwordx2 v[8:9], v[6:7], off
	s_add_i32 s3, s3, -2
	s_cmp_lg_u32 s3, 0
	v_add_u32_e32 v2, 2, v2
	s_waitcnt vmcnt(0)
	v_div_scale_f32 v3, s[0:1], v1, v1, v9
	v_div_scale_f32 v11, s[0:1], v0, v0, v8
	v_rcp_f32_e32 v12, v3
	v_rcp_f32_e32 v13, v11
	v_div_scale_f32 v10, vcc, v9, v1, v9
	v_fma_f32 v15, -v3, v12, 1.0
	v_fma_f32 v16, -v11, v13, 1.0
	v_fmac_f32_e32 v12, v15, v12
	v_div_scale_f32 v14, s[0:1], v8, v0, v8
	v_fmac_f32_e32 v13, v16, v13
	v_mul_f32_e32 v15, v10, v12
	v_mul_f32_e32 v16, v14, v13
	v_fma_f32 v17, -v3, v15, v10
	v_fma_f32 v18, -v11, v16, v14
	v_fmac_f32_e32 v15, v17, v12
	v_fmac_f32_e32 v16, v18, v13
	v_fma_f32 v3, -v3, v15, v10
	v_fma_f32 v10, -v11, v16, v14
	v_div_fmas_f32 v3, v3, v12, v15
	s_mov_b64 vcc, s[0:1]
	v_div_fixup_f32 v9, v3, v1, v9
	v_div_fmas_f32 v3, v10, v13, v16
	v_div_fixup_f32 v8, v3, v0, v8
	global_store_dwordx2 v[6:7], v[8:9], off
	s_cbranch_scc1 .LBB337_15
; %bb.16:
	s_cmp_lg_u32 s2, s8
	s_cselect_b64 s[0:1], -1, 0
.LBB337_17:
	s_and_b64 vcc, exec, s[0:1]
	s_cbranch_vccz .LBB337_20
; %bb.18:
	v_ashrrev_i32_e32 v1, 31, v4
	v_add_co_u32_e32 v2, vcc, s2, v4
	v_addc_co_u32_e32 v3, vcc, 0, v1, vcc
	v_lshlrev_b64 v[2:3], 2, v[2:3]
	v_mov_b32_e32 v1, s13
	v_add_co_u32_e32 v2, vcc, s12, v2
	s_sub_i32 s0, s8, s2
	v_addc_co_u32_e32 v3, vcc, v1, v3, vcc
.LBB337_19:                             ; =>This Inner Loop Header: Depth=1
	global_load_dword v1, v[2:3], off
	s_add_i32 s0, s0, -1
	s_cmp_lg_u32 s0, 0
	s_waitcnt vmcnt(0)
	v_div_scale_f32 v4, s[2:3], v0, v0, v1
	v_rcp_f32_e32 v5, v4
	v_div_scale_f32 v6, vcc, v1, v0, v1
	v_fma_f32 v7, -v4, v5, 1.0
	v_fmac_f32_e32 v5, v7, v5
	v_mul_f32_e32 v7, v6, v5
	v_fma_f32 v8, -v4, v7, v6
	v_fmac_f32_e32 v7, v8, v5
	v_fma_f32 v4, -v4, v7, v6
	v_div_fmas_f32 v4, v4, v5, v7
	v_div_fixup_f32 v1, v4, v0, v1
	global_store_dword v[2:3], v1, off
	v_add_co_u32_e32 v2, vcc, 4, v2
	v_addc_co_u32_e32 v3, vcc, 0, v3, vcc
	s_cbranch_scc1 .LBB337_19
.LBB337_20:
	s_endpgm
	.section	.rodata,"a",@progbits
	.p2align	6, 0x0
	.amdhsa_kernel _ZN4vllm3moe10topkGatingILi8ELi8ELi4ELi16ELi64Ej14__hip_bfloat16LNS0_11ScoringFuncE1EEEvPKT5_PKbPfiPT4_PiiiibPKf
		.amdhsa_group_segment_fixed_size 0
		.amdhsa_private_segment_fixed_size 0
		.amdhsa_kernarg_size 72
		.amdhsa_user_sgpr_count 6
		.amdhsa_user_sgpr_private_segment_buffer 1
		.amdhsa_user_sgpr_dispatch_ptr 0
		.amdhsa_user_sgpr_queue_ptr 0
		.amdhsa_user_sgpr_kernarg_segment_ptr 1
		.amdhsa_user_sgpr_dispatch_id 0
		.amdhsa_user_sgpr_flat_scratch_init 0
		.amdhsa_user_sgpr_kernarg_preload_length 0
		.amdhsa_user_sgpr_kernarg_preload_offset 0
		.amdhsa_user_sgpr_private_segment_size 0
		.amdhsa_uses_dynamic_stack 0
		.amdhsa_system_sgpr_private_segment_wavefront_offset 0
		.amdhsa_system_sgpr_workgroup_id_x 1
		.amdhsa_system_sgpr_workgroup_id_y 0
		.amdhsa_system_sgpr_workgroup_id_z 0
		.amdhsa_system_sgpr_workgroup_info 0
		.amdhsa_system_vgpr_workitem_id 1
		.amdhsa_next_free_vgpr 32
		.amdhsa_next_free_sgpr 28
		.amdhsa_accum_offset 32
		.amdhsa_reserve_vcc 1
		.amdhsa_reserve_flat_scratch 0
		.amdhsa_float_round_mode_32 0
		.amdhsa_float_round_mode_16_64 0
		.amdhsa_float_denorm_mode_32 3
		.amdhsa_float_denorm_mode_16_64 3
		.amdhsa_dx10_clamp 1
		.amdhsa_ieee_mode 1
		.amdhsa_fp16_overflow 0
		.amdhsa_tg_split 0
		.amdhsa_exception_fp_ieee_invalid_op 0
		.amdhsa_exception_fp_denorm_src 0
		.amdhsa_exception_fp_ieee_div_zero 0
		.amdhsa_exception_fp_ieee_overflow 0
		.amdhsa_exception_fp_ieee_underflow 0
		.amdhsa_exception_fp_ieee_inexact 0
		.amdhsa_exception_int_div_zero 0
	.end_amdhsa_kernel
	.section	.text._ZN4vllm3moe10topkGatingILi8ELi8ELi4ELi16ELi64Ej14__hip_bfloat16LNS0_11ScoringFuncE1EEEvPKT5_PKbPfiPT4_PiiiibPKf,"axG",@progbits,_ZN4vllm3moe10topkGatingILi8ELi8ELi4ELi16ELi64Ej14__hip_bfloat16LNS0_11ScoringFuncE1EEEvPKT5_PKbPfiPT4_PiiiibPKf,comdat
.Lfunc_end337:
	.size	_ZN4vllm3moe10topkGatingILi8ELi8ELi4ELi16ELi64Ej14__hip_bfloat16LNS0_11ScoringFuncE1EEEvPKT5_PKbPfiPT4_PiiiibPKf, .Lfunc_end337-_ZN4vllm3moe10topkGatingILi8ELi8ELi4ELi16ELi64Ej14__hip_bfloat16LNS0_11ScoringFuncE1EEEvPKT5_PKbPfiPT4_PiiiibPKf
                                        ; -- End function
	.section	.AMDGPU.csdata,"",@progbits
; Kernel info:
; codeLenInByte = 2268
; NumSgprs: 32
; NumVgprs: 32
; NumAgprs: 0
; TotalNumVgprs: 32
; ScratchSize: 0
; MemoryBound: 1
; FloatMode: 240
; IeeeMode: 1
; LDSByteSize: 0 bytes/workgroup (compile time only)
; SGPRBlocks: 3
; VGPRBlocks: 3
; NumSGPRsForWavesPerEU: 32
; NumVGPRsForWavesPerEU: 32
; AccumOffset: 32
; Occupancy: 8
; WaveLimiterHint : 0
; COMPUTE_PGM_RSRC2:SCRATCH_EN: 0
; COMPUTE_PGM_RSRC2:USER_SGPR: 6
; COMPUTE_PGM_RSRC2:TRAP_HANDLER: 0
; COMPUTE_PGM_RSRC2:TGID_X_EN: 1
; COMPUTE_PGM_RSRC2:TGID_Y_EN: 0
; COMPUTE_PGM_RSRC2:TGID_Z_EN: 0
; COMPUTE_PGM_RSRC2:TIDIG_COMP_CNT: 1
; COMPUTE_PGM_RSRC3_GFX90A:ACCUM_OFFSET: 7
; COMPUTE_PGM_RSRC3_GFX90A:TG_SPLIT: 0
	.section	.text._ZN4vllm3moe10topkGatingILi8ELi8ELi4ELi16ELi32Ej14__hip_bfloat16LNS0_11ScoringFuncE1EEEvPKT5_PKbPfiPT4_PiiiibPKf,"axG",@progbits,_ZN4vllm3moe10topkGatingILi8ELi8ELi4ELi16ELi32Ej14__hip_bfloat16LNS0_11ScoringFuncE1EEEvPKT5_PKbPfiPT4_PiiiibPKf,comdat
	.protected	_ZN4vllm3moe10topkGatingILi8ELi8ELi4ELi16ELi32Ej14__hip_bfloat16LNS0_11ScoringFuncE1EEEvPKT5_PKbPfiPT4_PiiiibPKf ; -- Begin function _ZN4vllm3moe10topkGatingILi8ELi8ELi4ELi16ELi32Ej14__hip_bfloat16LNS0_11ScoringFuncE1EEEvPKT5_PKbPfiPT4_PiiiibPKf
	.globl	_ZN4vllm3moe10topkGatingILi8ELi8ELi4ELi16ELi32Ej14__hip_bfloat16LNS0_11ScoringFuncE1EEEvPKT5_PKbPfiPT4_PiiiibPKf
	.p2align	8
	.type	_ZN4vllm3moe10topkGatingILi8ELi8ELi4ELi16ELi32Ej14__hip_bfloat16LNS0_11ScoringFuncE1EEEvPKT5_PKbPfiPT4_PiiiibPKf,@function
_ZN4vllm3moe10topkGatingILi8ELi8ELi4ELi16ELi32Ej14__hip_bfloat16LNS0_11ScoringFuncE1EEEvPKT5_PKbPfiPT4_PiiiibPKf: ; @_ZN4vllm3moe10topkGatingILi8ELi8ELi4ELi16ELi32Ej14__hip_bfloat16LNS0_11ScoringFuncE1EEEvPKT5_PKbPfiPT4_PiiiibPKf
; %bb.0:
	s_load_dword s18, s[4:5], 0x18
	v_bfe_u32 v1, v0, 10, 10
	s_lshl_b32 s0, s6, 7
	v_lshlrev_b32_e32 v1, 5, v1
	v_and_b32_e32 v0, 0x3ff, v0
	v_add3_u32 v16, v1, v0, s0
	s_waitcnt lgkmcnt(0)
	v_cmp_gt_i32_e32 vcc, s18, v16
	s_and_saveexec_b64 s[0:1], vcc
	s_cbranch_execz .LBB338_20
; %bb.1:
	s_load_dwordx4 s[0:3], s[4:5], 0x0
	s_load_dwordx2 s[12:13], s[4:5], 0x10
	s_mov_b64 s[8:9], -1
	s_mov_b64 s[14:15], -1
	s_waitcnt lgkmcnt(0)
	s_cmp_eq_u64 s[2:3], 0
	s_cbranch_scc1 .LBB338_3
; %bb.2:
	v_ashrrev_i32_e32 v1, 31, v16
	v_mov_b32_e32 v2, s3
	v_add_co_u32_e32 v0, vcc, s2, v16
	v_addc_co_u32_e32 v1, vcc, v2, v1, vcc
	global_load_ubyte v0, v[0:1], off
	s_waitcnt vmcnt(0)
	v_and_b32_e32 v0, 1, v0
	v_cmp_eq_u32_e32 vcc, 1, v0
	s_xor_b64 s[2:3], vcc, -1
	s_orn2_b64 s[14:15], s[2:3], exec
.LBB338_3:
	v_lshlrev_b32_e32 v0, 3, v16
	v_ashrrev_i32_e32 v1, 31, v0
	v_lshlrev_b64 v[0:1], 1, v[0:1]
	v_mov_b32_e32 v2, s1
	v_add_co_u32_e32 v0, vcc, s0, v0
	v_addc_co_u32_e32 v1, vcc, v2, v1, vcc
	global_load_dwordx4 v[0:3], v[0:1], off
	v_mov_b32_e32 v8, 0x207
	s_load_dwordx2 s[10:11], s[4:5], 0x40
	s_waitcnt lgkmcnt(0)
	s_cmp_eq_u64 s[10:11], 0
	s_waitcnt vmcnt(0)
	v_lshlrev_b32_e32 v4, 16, v0
	v_and_b32_e32 v0, 0xffff0000, v0
	v_lshlrev_b32_e32 v5, 16, v1
	v_and_b32_e32 v1, 0xffff0000, v1
	v_mul_f32_e32 v4, 0xbfb8aa3b, v4
	v_mul_f32_e32 v9, 0xbfb8aa3b, v0
	v_lshlrev_b32_e32 v6, 16, v2
	v_and_b32_e32 v2, 0xffff0000, v2
	v_mul_f32_e32 v10, 0xbfb8aa3b, v1
	v_exp_f32_e32 v0, v4
	v_exp_f32_e32 v1, v9
	v_mul_f32_e32 v5, 0xbfb8aa3b, v5
	v_mul_f32_e32 v6, 0xbfb8aa3b, v6
	;; [unrolled: 1-line block ×3, first 2 shown]
	v_exp_f32_e32 v2, v5
	v_exp_f32_e32 v4, v6
	;; [unrolled: 1-line block ×3, first 2 shown]
	v_lshlrev_b32_e32 v7, 16, v3
	v_and_b32_e32 v3, 0xffff0000, v3
	v_mul_f32_e32 v12, 0xbfb8aa3b, v3
	v_exp_f32_e32 v3, v10
	v_pk_add_f32 v[0:1], v[0:1], 1.0 op_sel_hi:[1,0]
	v_div_scale_f32 v9, s[0:1], v1, v1, 1.0
	v_pk_add_f32 v[4:5], v[4:5], 1.0 op_sel_hi:[1,0]
	v_rcp_f32_e32 v19, v9
	v_div_scale_f32 v11, s[0:1], v0, v0, 1.0
	v_div_scale_f32 v18, s[16:17], v5, v5, 1.0
	v_pk_add_f32 v[2:3], v[2:3], 1.0 op_sel_hi:[1,0]
	v_rcp_f32_e32 v20, v11
	v_rcp_f32_e32 v23, v18
	v_div_scale_f32 v13, s[2:3], v3, v3, 1.0
	v_rcp_f32_e32 v21, v13
	v_fma_f32 v24, -v9, v19, 1.0
	v_div_scale_f32 v10, vcc, 1.0, v1, 1.0
	v_div_scale_f32 v15, s[6:7], v2, v2, 1.0
	v_fmac_f32_e32 v19, v24, v19
	v_mul_f32_e32 v7, 0xbfb8aa3b, v7
	v_rcp_f32_e32 v22, v15
	v_fma_f32 v25, -v11, v20, 1.0
	v_fma_f32 v28, -v18, v23, 1.0
	v_mul_f32_e32 v24, v10, v19
	v_exp_f32_e32 v6, v7
	v_exp_f32_e32 v7, v12
	v_div_scale_f32 v12, s[0:1], 1.0, v0, 1.0
	v_fmac_f32_e32 v20, v25, v20
	v_fmac_f32_e32 v23, v28, v23
	v_fma_f32 v28, -v9, v24, v10
	v_fma_f32 v26, -v13, v21, 1.0
	v_mul_f32_e32 v25, v12, v20
	v_fmac_f32_e32 v24, v28, v19
	v_div_scale_f32 v14, s[2:3], 1.0, v3, 1.0
	v_fmac_f32_e32 v21, v26, v21
	v_fma_f32 v29, -v11, v25, v12
	v_fma_f32 v9, -v9, v24, v10
	v_fma_f32 v27, -v15, v22, 1.0
	v_mul_f32_e32 v26, v14, v21
	v_fmac_f32_e32 v25, v29, v20
	v_div_fmas_f32 v9, v9, v19, v24
	v_div_scale_f32 v17, s[6:7], 1.0, v2, 1.0
	v_fmac_f32_e32 v22, v27, v22
	v_fma_f32 v30, -v13, v26, v14
	v_fma_f32 v10, -v11, v25, v12
	v_div_fixup_f32 v1, v9, v1, 1.0
	s_mov_b64 vcc, s[0:1]
	v_mul_f32_e32 v27, v17, v22
	v_fmac_f32_e32 v26, v30, v21
	v_div_fmas_f32 v9, v10, v20, v25
	v_cmp_class_f32_e32 vcc, v1, v8
	v_fma_f32 v31, -v15, v27, v17
	v_fma_f32 v11, -v13, v26, v14
	v_div_fixup_f32 v0, v9, v0, 1.0
	v_cndmask_b32_e64 v1, v1, 0, vcc
	s_mov_b64 vcc, s[2:3]
	v_fmac_f32_e32 v27, v31, v22
	v_div_fmas_f32 v9, v11, v21, v26
	v_cmp_class_f32_e32 vcc, v0, v8
	v_fma_f32 v12, -v15, v27, v17
	v_cndmask_b32_e64 v0, v0, 0, vcc
	s_mov_b64 vcc, s[6:7]
	v_div_fixup_f32 v3, v9, v3, 1.0
	v_div_fmas_f32 v9, v12, v22, v27
	v_div_fixup_f32 v2, v9, v2, 1.0
	v_cmp_class_f32_e32 vcc, v3, v8
	v_cndmask_b32_e64 v3, v3, 0, vcc
	v_cmp_class_f32_e32 vcc, v2, v8
	v_cndmask_b32_e64 v2, v2, 0, vcc
	v_div_scale_f32 v9, vcc, 1.0, v5, 1.0
	v_mul_f32_e32 v10, v9, v23
	v_fma_f32 v11, -v18, v10, v9
	v_fmac_f32_e32 v10, v11, v23
	v_div_scale_f32 v11, s[0:1], v4, v4, 1.0
	v_rcp_f32_e32 v12, v11
	v_fma_f32 v9, -v18, v10, v9
	v_div_fmas_f32 v9, v9, v23, v10
	v_div_fixup_f32 v5, v9, v5, 1.0
	v_fma_f32 v9, -v11, v12, 1.0
	v_fmac_f32_e32 v12, v9, v12
	v_div_scale_f32 v9, vcc, 1.0, v4, 1.0
	v_mul_f32_e32 v10, v9, v12
	v_fma_f32 v13, -v11, v10, v9
	v_fmac_f32_e32 v10, v13, v12
	v_fma_f32 v9, -v11, v10, v9
	v_div_fmas_f32 v9, v9, v12, v10
	v_pk_add_f32 v[6:7], v[6:7], 1.0 op_sel_hi:[1,0]
	v_div_fixup_f32 v4, v9, v4, 1.0
	v_div_scale_f32 v9, s[0:1], v7, v7, 1.0
	v_rcp_f32_e32 v10, v9
	v_cmp_class_f32_e32 vcc, v5, v8
	v_cndmask_b32_e64 v5, v5, 0, vcc
	v_cmp_class_f32_e32 vcc, v4, v8
	v_fma_f32 v11, -v9, v10, 1.0
	v_cndmask_b32_e64 v4, v4, 0, vcc
	v_fmac_f32_e32 v10, v11, v10
	v_div_scale_f32 v11, vcc, 1.0, v7, 1.0
	v_mul_f32_e32 v12, v11, v10
	v_fma_f32 v13, -v9, v12, v11
	v_fmac_f32_e32 v12, v13, v10
	v_fma_f32 v9, -v9, v12, v11
	v_div_scale_f32 v11, s[0:1], v6, v6, 1.0
	v_rcp_f32_e32 v13, v11
	v_div_fmas_f32 v9, v9, v10, v12
	v_div_fixup_f32 v7, v9, v7, 1.0
	v_fma_f32 v9, -v11, v13, 1.0
	v_fmac_f32_e32 v13, v9, v13
	v_div_scale_f32 v9, vcc, 1.0, v6, 1.0
	v_mul_f32_e32 v10, v9, v13
	v_fma_f32 v12, -v11, v10, v9
	v_fmac_f32_e32 v10, v12, v13
	v_fma_f32 v9, -v11, v10, v9
	v_div_fmas_f32 v9, v9, v13, v10
	v_div_fixup_f32 v6, v9, v6, 1.0
	v_cmp_class_f32_e32 vcc, v7, v8
	v_cndmask_b32_e64 v7, v7, 0, vcc
	v_cmp_class_f32_e32 vcc, v6, v8
	v_cndmask_b32_e64 v6, v6, 0, vcc
	s_cbranch_scc1 .LBB338_10
; %bb.4:
	s_load_dwordx8 s[20:27], s[10:11], 0x0
	s_waitcnt lgkmcnt(0)
	v_pk_add_f32 v[8:9], s[20:21], v[0:1]
	v_pk_add_f32 v[10:11], s[22:23], v[2:3]
	;; [unrolled: 1-line block ×4, first 2 shown]
	s_cbranch_execnz .LBB338_6
.LBB338_5:
	v_pk_mov_b32 v[14:15], v[6:7], v[6:7] op_sel:[0,1]
	v_pk_mov_b32 v[12:13], v[4:5], v[4:5] op_sel:[0,1]
	;; [unrolled: 1-line block ×4, first 2 shown]
.LBB338_6:
	s_load_dwordx4 s[8:11], s[4:5], 0x30
	s_waitcnt lgkmcnt(0)
	s_bitcmp1_b32 s11, 0
	s_cselect_b64 vcc, -1, 0
	s_cmp_gt_i32 s8, 0
	s_cselect_b64 s[16:17], -1, 0
	s_cmp_lt_i32 s8, 1
	s_mov_b32 s11, 0
	s_cbranch_scc1 .LBB338_11
; %bb.7:
	s_load_dwordx4 s[4:7], s[4:5], 0x20
	v_mul_lo_u32 v18, v16, s8
	v_mov_b32_e32 v17, 0
	v_mov_b32_e32 v19, s13
	;; [unrolled: 1-line block ×3, first 2 shown]
	s_waitcnt lgkmcnt(0)
	v_mov_b32_e32 v20, s5
	v_mov_b32_e32 v21, s7
	;; [unrolled: 1-line block ×3, first 2 shown]
.LBB338_8:                              ; =>This Inner Loop Header: Depth=1
	v_cmp_gt_f32_e64 s[0:1], v9, v8
	v_cndmask_b32_e64 v26, v8, v9, s[0:1]
	v_cndmask_b32_e64 v24, 0, 1, s[0:1]
	v_cndmask_b32_e64 v25, v0, v1, s[0:1]
	v_cmp_gt_f32_e64 s[0:1], v10, v26
	v_cndmask_b32_e64 v26, v26, v10, s[0:1]
	v_cndmask_b32_e64 v24, v24, 2, s[0:1]
	v_cndmask_b32_e64 v25, v25, v2, s[0:1]
	;; [unrolled: 4-line block ×6, first 2 shown]
	v_cmp_gt_f32_e64 s[0:1], v15, v26
	v_cndmask_b32_e64 v28, v24, 7, s[0:1]
	v_add_u32_e32 v24, s11, v18
	v_cndmask_b32_e64 v29, v25, v7, s[0:1]
	v_ashrrev_i32_e32 v25, 31, v24
	v_cmp_le_i32_e64 s[0:1], s9, v28
	v_cmp_gt_i32_e64 s[2:3], s10, v28
	v_lshlrev_b64 v[24:25], 2, v[24:25]
	s_and_b64 s[2:3], s[0:1], s[2:3]
	v_add_co_u32_e64 v26, s[0:1], s12, v24
	v_addc_co_u32_e64 v27, s[0:1], v19, v25, s[0:1]
	global_store_dword v[26:27], v29, off
	v_subrev_u32_e32 v26, s9, v28
	s_and_b64 s[0:1], s[14:15], s[2:3]
	v_cndmask_b32_e64 v30, 8, v26, s[0:1]
	v_add_co_u32_e64 v26, s[0:1], s4, v24
	v_addc_co_u32_e64 v27, s[0:1], v20, v25, s[0:1]
	v_add_co_u32_e64 v24, s[0:1], s6, v24
	v_addc_co_u32_e64 v25, s[0:1], v21, v25, s[0:1]
	global_store_dword v[26:27], v30, off
	global_store_dword v[24:25], v23, off
	v_add_f32_e32 v24, v17, v29
	v_cmp_ne_u32_e64 s[0:1], 0, v28
	v_cndmask_b32_e32 v17, v17, v24, vcc
	v_cndmask_b32_e64 v24, v22, v8, s[0:1]
	v_cmp_ne_u32_e64 s[0:1], 1, v28
	v_cndmask_b32_e64 v25, v22, v9, s[0:1]
	v_cmp_ne_u32_e64 s[0:1], 2, v28
	v_cndmask_b32_e64 v26, v22, v10, s[0:1]
	v_cmp_ne_u32_e64 s[0:1], 3, v28
	v_cndmask_b32_e64 v27, v22, v11, s[0:1]
	v_cmp_ne_u32_e64 s[0:1], 4, v28
	v_cndmask_b32_e64 v29, v22, v12, s[0:1]
	v_cmp_ne_u32_e64 s[0:1], 5, v28
	s_add_i32 s11, s11, 1
	v_cndmask_b32_e64 v30, v22, v13, s[0:1]
	v_cmp_ne_u32_e64 s[0:1], 6, v28
	s_cmp_lt_i32 s11, s8
	v_cndmask_b32_e64 v31, v22, v14, s[0:1]
	v_cmp_ne_u32_e64 s[0:1], 7, v28
	v_cndmask_b32_e64 v28, v22, v15, s[0:1]
	s_cselect_b64 s[0:1], -1, 0
	v_cndmask_b32_e64 v15, v15, v28, s[0:1]
	v_cndmask_b32_e64 v14, v14, v31, s[0:1]
	;; [unrolled: 1-line block ×8, first 2 shown]
	s_cmp_eq_u32 s8, s11
	v_add_u32_e32 v23, s18, v23
	s_cbranch_scc0 .LBB338_8
; %bb.9:
	s_and_b64 vcc, exec, vcc
	s_cbranch_vccnz .LBB338_12
	s_branch .LBB338_20
.LBB338_10:
                                        ; implicit-def: $vgpr8_vgpr9_vgpr10_vgpr11_vgpr12_vgpr13_vgpr14_vgpr15
	s_andn2_b64 vcc, exec, s[8:9]
	s_cbranch_vccz .LBB338_5
	s_branch .LBB338_6
.LBB338_11:
	v_mov_b32_e32 v17, 0
	s_and_b64 vcc, exec, vcc
	s_cbranch_vccz .LBB338_20
.LBB338_12:
	s_andn2_b64 vcc, exec, s[16:17]
	s_cbranch_vccnz .LBB338_20
; %bb.13:
	v_cmp_lt_f32_e32 vcc, 0, v17
	s_mov_b32 s2, 0
	v_cndmask_b32_e32 v0, 1.0, v17, vcc
	v_mul_lo_u32 v4, v16, s8
	s_cmp_eq_u32 s8, 1
	s_mov_b64 s[0:1], -1
	s_cbranch_scc1 .LBB338_17
; %bb.14:
	s_and_b32 s2, s8, 0x7ffffffe
	v_mov_b32_e32 v1, v0
	v_mov_b32_e32 v5, s13
	s_mov_b32 s3, s2
	v_mov_b32_e32 v2, v4
.LBB338_15:                             ; =>This Inner Loop Header: Depth=1
	v_ashrrev_i32_e32 v3, 31, v2
	v_lshlrev_b64 v[6:7], 2, v[2:3]
	v_add_co_u32_e32 v6, vcc, s12, v6
	v_addc_co_u32_e32 v7, vcc, v5, v7, vcc
	global_load_dwordx2 v[8:9], v[6:7], off
	s_add_i32 s3, s3, -2
	s_cmp_lg_u32 s3, 0
	v_add_u32_e32 v2, 2, v2
	s_waitcnt vmcnt(0)
	v_div_scale_f32 v3, s[0:1], v1, v1, v9
	v_div_scale_f32 v11, s[0:1], v0, v0, v8
	v_rcp_f32_e32 v12, v3
	v_rcp_f32_e32 v13, v11
	v_div_scale_f32 v10, vcc, v9, v1, v9
	v_fma_f32 v15, -v3, v12, 1.0
	v_fma_f32 v16, -v11, v13, 1.0
	v_fmac_f32_e32 v12, v15, v12
	v_div_scale_f32 v14, s[0:1], v8, v0, v8
	v_fmac_f32_e32 v13, v16, v13
	v_mul_f32_e32 v15, v10, v12
	v_mul_f32_e32 v16, v14, v13
	v_fma_f32 v17, -v3, v15, v10
	v_fma_f32 v18, -v11, v16, v14
	v_fmac_f32_e32 v15, v17, v12
	v_fmac_f32_e32 v16, v18, v13
	v_fma_f32 v3, -v3, v15, v10
	v_fma_f32 v10, -v11, v16, v14
	v_div_fmas_f32 v3, v3, v12, v15
	s_mov_b64 vcc, s[0:1]
	v_div_fixup_f32 v9, v3, v1, v9
	v_div_fmas_f32 v3, v10, v13, v16
	v_div_fixup_f32 v8, v3, v0, v8
	global_store_dwordx2 v[6:7], v[8:9], off
	s_cbranch_scc1 .LBB338_15
; %bb.16:
	s_cmp_lg_u32 s2, s8
	s_cselect_b64 s[0:1], -1, 0
.LBB338_17:
	s_and_b64 vcc, exec, s[0:1]
	s_cbranch_vccz .LBB338_20
; %bb.18:
	v_ashrrev_i32_e32 v1, 31, v4
	v_add_co_u32_e32 v2, vcc, s2, v4
	v_addc_co_u32_e32 v3, vcc, 0, v1, vcc
	v_lshlrev_b64 v[2:3], 2, v[2:3]
	v_mov_b32_e32 v1, s13
	v_add_co_u32_e32 v2, vcc, s12, v2
	s_sub_i32 s0, s8, s2
	v_addc_co_u32_e32 v3, vcc, v1, v3, vcc
.LBB338_19:                             ; =>This Inner Loop Header: Depth=1
	global_load_dword v1, v[2:3], off
	s_add_i32 s0, s0, -1
	s_cmp_lg_u32 s0, 0
	s_waitcnt vmcnt(0)
	v_div_scale_f32 v4, s[2:3], v0, v0, v1
	v_rcp_f32_e32 v5, v4
	v_div_scale_f32 v6, vcc, v1, v0, v1
	v_fma_f32 v7, -v4, v5, 1.0
	v_fmac_f32_e32 v5, v7, v5
	v_mul_f32_e32 v7, v6, v5
	v_fma_f32 v8, -v4, v7, v6
	v_fmac_f32_e32 v7, v8, v5
	v_fma_f32 v4, -v4, v7, v6
	v_div_fmas_f32 v4, v4, v5, v7
	v_div_fixup_f32 v1, v4, v0, v1
	global_store_dword v[2:3], v1, off
	v_add_co_u32_e32 v2, vcc, 4, v2
	v_addc_co_u32_e32 v3, vcc, 0, v3, vcc
	s_cbranch_scc1 .LBB338_19
.LBB338_20:
	s_endpgm
	.section	.rodata,"a",@progbits
	.p2align	6, 0x0
	.amdhsa_kernel _ZN4vllm3moe10topkGatingILi8ELi8ELi4ELi16ELi32Ej14__hip_bfloat16LNS0_11ScoringFuncE1EEEvPKT5_PKbPfiPT4_PiiiibPKf
		.amdhsa_group_segment_fixed_size 0
		.amdhsa_private_segment_fixed_size 0
		.amdhsa_kernarg_size 72
		.amdhsa_user_sgpr_count 6
		.amdhsa_user_sgpr_private_segment_buffer 1
		.amdhsa_user_sgpr_dispatch_ptr 0
		.amdhsa_user_sgpr_queue_ptr 0
		.amdhsa_user_sgpr_kernarg_segment_ptr 1
		.amdhsa_user_sgpr_dispatch_id 0
		.amdhsa_user_sgpr_flat_scratch_init 0
		.amdhsa_user_sgpr_kernarg_preload_length 0
		.amdhsa_user_sgpr_kernarg_preload_offset 0
		.amdhsa_user_sgpr_private_segment_size 0
		.amdhsa_uses_dynamic_stack 0
		.amdhsa_system_sgpr_private_segment_wavefront_offset 0
		.amdhsa_system_sgpr_workgroup_id_x 1
		.amdhsa_system_sgpr_workgroup_id_y 0
		.amdhsa_system_sgpr_workgroup_id_z 0
		.amdhsa_system_sgpr_workgroup_info 0
		.amdhsa_system_vgpr_workitem_id 1
		.amdhsa_next_free_vgpr 32
		.amdhsa_next_free_sgpr 28
		.amdhsa_accum_offset 32
		.amdhsa_reserve_vcc 1
		.amdhsa_reserve_flat_scratch 0
		.amdhsa_float_round_mode_32 0
		.amdhsa_float_round_mode_16_64 0
		.amdhsa_float_denorm_mode_32 3
		.amdhsa_float_denorm_mode_16_64 3
		.amdhsa_dx10_clamp 1
		.amdhsa_ieee_mode 1
		.amdhsa_fp16_overflow 0
		.amdhsa_tg_split 0
		.amdhsa_exception_fp_ieee_invalid_op 0
		.amdhsa_exception_fp_denorm_src 0
		.amdhsa_exception_fp_ieee_div_zero 0
		.amdhsa_exception_fp_ieee_overflow 0
		.amdhsa_exception_fp_ieee_underflow 0
		.amdhsa_exception_fp_ieee_inexact 0
		.amdhsa_exception_int_div_zero 0
	.end_amdhsa_kernel
	.section	.text._ZN4vllm3moe10topkGatingILi8ELi8ELi4ELi16ELi32Ej14__hip_bfloat16LNS0_11ScoringFuncE1EEEvPKT5_PKbPfiPT4_PiiiibPKf,"axG",@progbits,_ZN4vllm3moe10topkGatingILi8ELi8ELi4ELi16ELi32Ej14__hip_bfloat16LNS0_11ScoringFuncE1EEEvPKT5_PKbPfiPT4_PiiiibPKf,comdat
.Lfunc_end338:
	.size	_ZN4vllm3moe10topkGatingILi8ELi8ELi4ELi16ELi32Ej14__hip_bfloat16LNS0_11ScoringFuncE1EEEvPKT5_PKbPfiPT4_PiiiibPKf, .Lfunc_end338-_ZN4vllm3moe10topkGatingILi8ELi8ELi4ELi16ELi32Ej14__hip_bfloat16LNS0_11ScoringFuncE1EEEvPKT5_PKbPfiPT4_PiiiibPKf
                                        ; -- End function
	.section	.AMDGPU.csdata,"",@progbits
; Kernel info:
; codeLenInByte = 2268
; NumSgprs: 32
; NumVgprs: 32
; NumAgprs: 0
; TotalNumVgprs: 32
; ScratchSize: 0
; MemoryBound: 1
; FloatMode: 240
; IeeeMode: 1
; LDSByteSize: 0 bytes/workgroup (compile time only)
; SGPRBlocks: 3
; VGPRBlocks: 3
; NumSGPRsForWavesPerEU: 32
; NumVGPRsForWavesPerEU: 32
; AccumOffset: 32
; Occupancy: 8
; WaveLimiterHint : 0
; COMPUTE_PGM_RSRC2:SCRATCH_EN: 0
; COMPUTE_PGM_RSRC2:USER_SGPR: 6
; COMPUTE_PGM_RSRC2:TRAP_HANDLER: 0
; COMPUTE_PGM_RSRC2:TGID_X_EN: 1
; COMPUTE_PGM_RSRC2:TGID_Y_EN: 0
; COMPUTE_PGM_RSRC2:TGID_Z_EN: 0
; COMPUTE_PGM_RSRC2:TIDIG_COMP_CNT: 1
; COMPUTE_PGM_RSRC3_GFX90A:ACCUM_OFFSET: 7
; COMPUTE_PGM_RSRC3_GFX90A:TG_SPLIT: 0
	.section	.text._ZN4vllm3moe10topkGatingILi8ELi16ELi4ELi16ELi64Ej14__hip_bfloat16LNS0_11ScoringFuncE1EEEvPKT5_PKbPfiPT4_PiiiibPKf,"axG",@progbits,_ZN4vllm3moe10topkGatingILi8ELi16ELi4ELi16ELi64Ej14__hip_bfloat16LNS0_11ScoringFuncE1EEEvPKT5_PKbPfiPT4_PiiiibPKf,comdat
	.protected	_ZN4vllm3moe10topkGatingILi8ELi16ELi4ELi16ELi64Ej14__hip_bfloat16LNS0_11ScoringFuncE1EEEvPKT5_PKbPfiPT4_PiiiibPKf ; -- Begin function _ZN4vllm3moe10topkGatingILi8ELi16ELi4ELi16ELi64Ej14__hip_bfloat16LNS0_11ScoringFuncE1EEEvPKT5_PKbPfiPT4_PiiiibPKf
	.globl	_ZN4vllm3moe10topkGatingILi8ELi16ELi4ELi16ELi64Ej14__hip_bfloat16LNS0_11ScoringFuncE1EEEvPKT5_PKbPfiPT4_PiiiibPKf
	.p2align	8
	.type	_ZN4vllm3moe10topkGatingILi8ELi16ELi4ELi16ELi64Ej14__hip_bfloat16LNS0_11ScoringFuncE1EEEvPKT5_PKbPfiPT4_PiiiibPKf,@function
_ZN4vllm3moe10topkGatingILi8ELi16ELi4ELi16ELi64Ej14__hip_bfloat16LNS0_11ScoringFuncE1EEEvPKT5_PKbPfiPT4_PiiiibPKf: ; @_ZN4vllm3moe10topkGatingILi8ELi16ELi4ELi16ELi64Ej14__hip_bfloat16LNS0_11ScoringFuncE1EEEvPKT5_PKbPfiPT4_PiiiibPKf
; %bb.0:
	s_load_dword s24, s[4:5], 0x18
	v_bfe_u32 v1, v0, 10, 10
	v_and_b32_e32 v0, 0x3ff, v0
	s_lshl_b32 s0, s6, 7
	v_lshlrev_b32_e32 v1, 5, v1
	v_lshrrev_b32_e32 v2, 1, v0
	v_add3_u32 v16, s0, v1, v2
	s_waitcnt lgkmcnt(0)
	v_cmp_gt_i32_e32 vcc, s24, v16
	s_and_saveexec_b64 s[0:1], vcc
	s_cbranch_execz .LBB339_30
; %bb.1:
	s_load_dwordx4 s[0:3], s[4:5], 0x0
	s_load_dwordx2 s[16:17], s[4:5], 0x10
	s_mov_b64 s[8:9], -1
	s_mov_b64 s[18:19], -1
	s_waitcnt lgkmcnt(0)
	s_cmp_eq_u64 s[2:3], 0
	s_cbranch_scc1 .LBB339_3
; %bb.2:
	v_ashrrev_i32_e32 v1, 31, v16
	v_mov_b32_e32 v3, s3
	v_add_co_u32_e32 v2, vcc, s2, v16
	v_addc_co_u32_e32 v3, vcc, v3, v1, vcc
	global_load_ubyte v1, v[2:3], off
	s_waitcnt vmcnt(0)
	v_and_b32_e32 v1, 1, v1
	v_cmp_eq_u32_e32 vcc, 1, v1
	s_xor_b64 s[2:3], vcc, -1
	s_orn2_b64 s[18:19], s[2:3], exec
.LBB339_3:
	v_lshlrev_b32_e32 v2, 4, v16
	v_ashrrev_i32_e32 v3, 31, v2
	v_lshlrev_b64 v[2:3], 1, v[2:3]
	v_mov_b32_e32 v1, s1
	v_add_co_u32_e32 v2, vcc, s0, v2
	v_and_b32_e32 v17, 1, v0
	v_addc_co_u32_e32 v1, vcc, v1, v3, vcc
	v_lshlrev_b32_e32 v0, 4, v17
	v_add_co_u32_e32 v0, vcc, v2, v0
	v_addc_co_u32_e32 v1, vcc, 0, v1, vcc
	global_load_dwordx4 v[0:3], v[0:1], off
	v_mov_b32_e32 v8, 0x207
	s_load_dwordx2 s[10:11], s[4:5], 0x40
	v_lshlrev_b32_e32 v18, 3, v17
	s_waitcnt lgkmcnt(0)
	s_cmp_eq_u64 s[10:11], 0
	s_waitcnt vmcnt(0)
	v_lshlrev_b32_e32 v4, 16, v0
	v_and_b32_e32 v0, 0xffff0000, v0
	v_lshlrev_b32_e32 v5, 16, v1
	v_and_b32_e32 v1, 0xffff0000, v1
	v_mul_f32_e32 v4, 0xbfb8aa3b, v4
	v_mul_f32_e32 v9, 0xbfb8aa3b, v0
	;; [unrolled: 1-line block ×3, first 2 shown]
	v_exp_f32_e32 v0, v4
	v_exp_f32_e32 v1, v9
	v_lshlrev_b32_e32 v6, 16, v2
	v_and_b32_e32 v2, 0xffff0000, v2
	v_lshlrev_b32_e32 v7, 16, v3
	v_and_b32_e32 v3, 0xffff0000, v3
	v_mul_f32_e32 v5, 0xbfb8aa3b, v5
	v_mul_f32_e32 v11, 0xbfb8aa3b, v2
	;; [unrolled: 1-line block ×3, first 2 shown]
	v_exp_f32_e32 v2, v5
	v_exp_f32_e32 v3, v10
	v_pk_add_f32 v[0:1], v[0:1], 1.0 op_sel_hi:[1,0]
	v_div_scale_f32 v9, s[0:1], v1, v1, 1.0
	v_rcp_f32_e32 v21, v9
	v_exp_f32_e32 v5, v11
	v_div_scale_f32 v11, s[0:1], v0, v0, 1.0
	v_pk_add_f32 v[2:3], v[2:3], 1.0 op_sel_hi:[1,0]
	v_rcp_f32_e32 v22, v11
	v_div_scale_f32 v13, s[2:3], v3, v3, 1.0
	v_rcp_f32_e32 v23, v13
	v_fma_f32 v26, -v9, v21, 1.0
	v_div_scale_f32 v10, vcc, 1.0, v1, 1.0
	v_div_scale_f32 v15, s[6:7], v2, v2, 1.0
	v_fmac_f32_e32 v21, v26, v21
	v_mul_f32_e32 v6, 0xbfb8aa3b, v6
	v_mul_f32_e32 v7, 0xbfb8aa3b, v7
	v_rcp_f32_e32 v24, v15
	v_fma_f32 v27, -v11, v22, 1.0
	v_mul_f32_e32 v26, v10, v21
	v_exp_f32_e32 v4, v6
	v_exp_f32_e32 v6, v7
	;; [unrolled: 1-line block ×3, first 2 shown]
	v_div_scale_f32 v12, s[0:1], 1.0, v0, 1.0
	v_fmac_f32_e32 v22, v27, v22
	v_fma_f32 v30, -v9, v26, v10
	v_fma_f32 v28, -v13, v23, 1.0
	v_mul_f32_e32 v27, v12, v22
	v_fmac_f32_e32 v26, v30, v21
	v_div_scale_f32 v14, s[2:3], 1.0, v3, 1.0
	v_fmac_f32_e32 v23, v28, v23
	v_fma_f32 v31, -v11, v27, v12
	v_fma_f32 v9, -v9, v26, v10
	v_fma_f32 v29, -v15, v24, 1.0
	v_mul_f32_e32 v28, v14, v23
	v_fmac_f32_e32 v27, v31, v22
	v_div_fmas_f32 v9, v9, v21, v26
	v_div_scale_f32 v19, s[6:7], 1.0, v2, 1.0
	v_fmac_f32_e32 v24, v29, v24
	v_fma_f32 v32, -v13, v28, v14
	v_fma_f32 v10, -v11, v27, v12
	v_div_fixup_f32 v1, v9, v1, 1.0
	s_mov_b64 vcc, s[0:1]
	v_pk_add_f32 v[4:5], v[4:5], 1.0 op_sel_hi:[1,0]
	v_mul_f32_e32 v29, v19, v24
	v_fmac_f32_e32 v28, v32, v23
	v_div_fmas_f32 v9, v10, v22, v27
	v_cmp_class_f32_e32 vcc, v1, v8
	v_div_scale_f32 v20, s[12:13], v5, v5, 1.0
	v_fma_f32 v33, -v15, v29, v19
	v_fma_f32 v11, -v13, v28, v14
	v_div_fixup_f32 v0, v9, v0, 1.0
	v_cndmask_b32_e64 v1, v1, 0, vcc
	s_mov_b64 vcc, s[2:3]
	v_rcp_f32_e32 v25, v20
	v_fmac_f32_e32 v29, v33, v24
	v_div_fmas_f32 v9, v11, v23, v28
	v_cmp_class_f32_e32 vcc, v0, v8
	v_fma_f32 v12, -v15, v29, v19
	v_cndmask_b32_e64 v0, v0, 0, vcc
	s_mov_b64 vcc, s[6:7]
	v_div_fixup_f32 v3, v9, v3, 1.0
	v_div_fmas_f32 v9, v12, v24, v29
	v_div_fixup_f32 v2, v9, v2, 1.0
	v_cmp_class_f32_e32 vcc, v3, v8
	v_cndmask_b32_e64 v3, v3, 0, vcc
	v_cmp_class_f32_e32 vcc, v2, v8
	v_fma_f32 v9, -v20, v25, 1.0
	v_cndmask_b32_e64 v2, v2, 0, vcc
	v_fmac_f32_e32 v25, v9, v25
	v_div_scale_f32 v9, vcc, 1.0, v5, 1.0
	v_mul_f32_e32 v10, v9, v25
	v_fma_f32 v11, -v20, v10, v9
	v_fmac_f32_e32 v10, v11, v25
	v_div_scale_f32 v11, s[0:1], v4, v4, 1.0
	v_rcp_f32_e32 v12, v11
	v_fma_f32 v9, -v20, v10, v9
	v_div_fmas_f32 v9, v9, v25, v10
	v_div_fixup_f32 v5, v9, v5, 1.0
	v_fma_f32 v9, -v11, v12, 1.0
	v_fmac_f32_e32 v12, v9, v12
	v_div_scale_f32 v9, vcc, 1.0, v4, 1.0
	v_mul_f32_e32 v10, v9, v12
	v_fma_f32 v13, -v11, v10, v9
	v_fmac_f32_e32 v10, v13, v12
	v_fma_f32 v9, -v11, v10, v9
	v_div_fmas_f32 v9, v9, v12, v10
	v_pk_add_f32 v[6:7], v[6:7], 1.0 op_sel_hi:[1,0]
	v_div_fixup_f32 v4, v9, v4, 1.0
	v_div_scale_f32 v9, s[0:1], v7, v7, 1.0
	v_rcp_f32_e32 v10, v9
	v_cmp_class_f32_e32 vcc, v5, v8
	v_cndmask_b32_e64 v5, v5, 0, vcc
	v_cmp_class_f32_e32 vcc, v4, v8
	v_fma_f32 v11, -v9, v10, 1.0
	v_cndmask_b32_e64 v4, v4, 0, vcc
	v_fmac_f32_e32 v10, v11, v10
	v_div_scale_f32 v11, vcc, 1.0, v7, 1.0
	v_mul_f32_e32 v12, v11, v10
	v_fma_f32 v13, -v9, v12, v11
	v_fmac_f32_e32 v12, v13, v10
	v_fma_f32 v9, -v9, v12, v11
	v_div_scale_f32 v11, s[0:1], v6, v6, 1.0
	v_rcp_f32_e32 v13, v11
	v_div_fmas_f32 v9, v9, v10, v12
	v_div_fixup_f32 v7, v9, v7, 1.0
	v_fma_f32 v9, -v11, v13, 1.0
	v_fmac_f32_e32 v13, v9, v13
	v_div_scale_f32 v9, vcc, 1.0, v6, 1.0
	v_mul_f32_e32 v10, v9, v13
	v_fma_f32 v12, -v11, v10, v9
	v_fmac_f32_e32 v10, v12, v13
	v_fma_f32 v9, -v11, v10, v9
	v_div_fmas_f32 v9, v9, v13, v10
	v_div_fixup_f32 v6, v9, v6, 1.0
	v_cmp_class_f32_e32 vcc, v7, v8
	v_cndmask_b32_e64 v7, v7, 0, vcc
	v_cmp_class_f32_e32 vcc, v6, v8
	v_cndmask_b32_e64 v6, v6, 0, vcc
	s_cbranch_scc1 .LBB339_19
; %bb.4:
	v_lshlrev_b32_e32 v19, 2, v18
	global_load_dwordx4 v[8:11], v19, s[10:11]
	global_load_dwordx4 v[12:15], v19, s[10:11] offset:16
	s_waitcnt vmcnt(1)
	v_pk_add_f32 v[8:9], v[8:9], v[0:1]
	v_pk_add_f32 v[10:11], v[10:11], v[2:3]
	s_waitcnt vmcnt(0)
	v_pk_add_f32 v[12:13], v[12:13], v[4:5]
	v_pk_add_f32 v[14:15], v[14:15], v[6:7]
	s_cbranch_execnz .LBB339_6
.LBB339_5:
	v_pk_mov_b32 v[14:15], v[6:7], v[6:7] op_sel:[0,1]
	v_pk_mov_b32 v[12:13], v[4:5], v[4:5] op_sel:[0,1]
	;; [unrolled: 1-line block ×4, first 2 shown]
.LBB339_6:
	s_load_dwordx4 s[8:11], s[4:5], 0x30
	s_mov_b32 s25, 0
	v_cmp_eq_u32_e64 s[0:1], 0, v17
	s_waitcnt lgkmcnt(0)
	s_bitcmp1_b32 s11, 0
	s_cselect_b64 vcc, -1, 0
	s_cmp_gt_i32 s8, 0
	s_cselect_b64 s[6:7], -1, 0
	s_cmp_lt_i32 s8, 1
	s_cbranch_scc1 .LBB339_20
; %bb.7:
	v_mbcnt_lo_u32_b32 v19, -1, 0
	v_mbcnt_hi_u32_b32 v19, -1, v19
	s_load_dwordx4 s[12:15], s[4:5], 0x20
	v_and_b32_e32 v21, 0x7e, v19
	v_xor_b32_e32 v20, 1, v19
	v_add_u32_e32 v21, 2, v21
	v_cmp_lt_i32_e64 s[2:3], v20, v21
	v_cndmask_b32_e64 v19, v19, v20, s[2:3]
	v_lshlrev_b32_e32 v20, 2, v19
	v_mul_lo_u32 v21, v16, s8
	v_mov_b32_e32 v19, 0
	v_mov_b32_e32 v22, 0xc61c4000
	;; [unrolled: 1-line block ×3, first 2 shown]
	s_branch .LBB339_10
.LBB339_8:                              ;   in Loop: Header=BB339_10 Depth=1
	s_or_b64 exec, exec, s[4:5]
.LBB339_9:                              ;   in Loop: Header=BB339_10 Depth=1
	s_cmp_eq_u32 s8, s25
	v_add_u32_e32 v23, s24, v23
	s_cbranch_scc1 .LBB339_21
.LBB339_10:                             ; =>This Inner Loop Header: Depth=1
	v_cmp_gt_f32_e64 s[2:3], v9, v8
	v_cndmask_b32_e64 v26, v8, v9, s[2:3]
	v_cndmask_b32_e64 v24, 0, 1, s[2:3]
	v_cndmask_b32_e64 v25, v0, v1, s[2:3]
	v_cmp_gt_f32_e64 s[2:3], v10, v26
	v_cndmask_b32_e64 v26, v26, v10, s[2:3]
	v_cndmask_b32_e64 v24, v24, 2, s[2:3]
	v_cndmask_b32_e64 v25, v25, v2, s[2:3]
	v_cmp_gt_f32_e64 s[2:3], v11, v26
	v_cndmask_b32_e64 v26, v26, v11, s[2:3]
	v_cndmask_b32_e64 v24, v24, 3, s[2:3]
	v_cndmask_b32_e64 v25, v25, v3, s[2:3]
	v_cmp_gt_f32_e64 s[2:3], v12, v26
	v_cndmask_b32_e64 v26, v26, v12, s[2:3]
	v_cndmask_b32_e64 v24, v24, 4, s[2:3]
	v_cndmask_b32_e64 v25, v25, v4, s[2:3]
	v_cmp_gt_f32_e64 s[2:3], v13, v26
	v_cndmask_b32_e64 v26, v26, v13, s[2:3]
	v_cndmask_b32_e64 v24, v24, 5, s[2:3]
	v_cndmask_b32_e64 v25, v25, v5, s[2:3]
	v_cmp_gt_f32_e64 s[2:3], v14, v26
	v_cndmask_b32_e64 v26, v26, v14, s[2:3]
	v_cndmask_b32_e64 v24, v24, 6, s[2:3]
	v_cndmask_b32_e64 v25, v25, v6, s[2:3]
	v_cmp_gt_f32_e64 s[2:3], v15, v26
	v_cndmask_b32_e64 v24, v24, 7, s[2:3]
	v_cndmask_b32_e64 v28, v26, v15, s[2:3]
	v_or_b32_e32 v24, v18, v24
	v_cndmask_b32_e64 v25, v25, v7, s[2:3]
	ds_bpermute_b32 v29, v20, v28
	ds_bpermute_b32 v26, v20, v25
	;; [unrolled: 1-line block ×3, first 2 shown]
	s_waitcnt lgkmcnt(0)
	v_cmp_lt_f32_e64 s[20:21], v28, v29
	v_cmp_nlt_f32_e64 s[2:3], v28, v29
	s_and_saveexec_b64 s[22:23], s[2:3]
	s_cbranch_execnz .LBB339_14
; %bb.11:                               ;   in Loop: Header=BB339_10 Depth=1
	s_or_b64 exec, exec, s[22:23]
	s_and_saveexec_b64 s[2:3], s[20:21]
	s_cbranch_execnz .LBB339_15
.LBB339_12:                             ;   in Loop: Header=BB339_10 Depth=1
	s_or_b64 exec, exec, s[2:3]
	s_and_saveexec_b64 s[20:21], s[0:1]
	s_cbranch_execnz .LBB339_16
.LBB339_13:                             ;   in Loop: Header=BB339_10 Depth=1
	s_or_b64 exec, exec, s[20:21]
	s_add_i32 s25, s25, 1
	s_cmp_ge_i32 s25, s8
	s_cbranch_scc1 .LBB339_9
	s_branch .LBB339_17
.LBB339_14:                             ;   in Loop: Header=BB339_10 Depth=1
	v_cmp_eq_f32_e64 s[2:3], v28, v29
	v_cmp_lt_i32_e64 s[4:5], v27, v24
	s_and_b64 s[2:3], s[2:3], s[4:5]
	s_andn2_b64 s[4:5], s[20:21], exec
	s_and_b64 s[2:3], s[2:3], exec
	s_or_b64 s[20:21], s[4:5], s[2:3]
	s_or_b64 exec, exec, s[22:23]
	s_and_saveexec_b64 s[2:3], s[20:21]
	s_cbranch_execz .LBB339_12
.LBB339_15:                             ;   in Loop: Header=BB339_10 Depth=1
	v_mov_b32_e32 v24, v27
	v_mov_b32_e32 v25, v26
	s_or_b64 exec, exec, s[2:3]
	s_and_saveexec_b64 s[20:21], s[0:1]
	s_cbranch_execz .LBB339_13
.LBB339_16:                             ;   in Loop: Header=BB339_10 Depth=1
	v_add_u32_e32 v26, s25, v21
	v_ashrrev_i32_e32 v27, 31, v26
	v_cmp_le_i32_e64 s[2:3], s9, v24
	v_cmp_gt_i32_e64 s[4:5], s10, v24
	v_lshlrev_b64 v[26:27], 2, v[26:27]
	s_and_b64 s[4:5], s[2:3], s[4:5]
	v_mov_b32_e32 v29, s17
	v_add_co_u32_e64 v28, s[2:3], s16, v26
	v_addc_co_u32_e64 v29, s[2:3], v29, v27, s[2:3]
	global_store_dword v[28:29], v25, off
	v_subrev_u32_e32 v28, s9, v24
	s_and_b64 s[2:3], s[18:19], s[4:5]
	v_cndmask_b32_e64 v30, 16, v28, s[2:3]
	v_mov_b32_e32 v29, s13
	v_add_co_u32_e64 v28, s[2:3], s12, v26
	v_addc_co_u32_e64 v29, s[2:3], v29, v27, s[2:3]
	global_store_dword v[28:29], v30, off
	v_mov_b32_e32 v28, s15
	v_add_co_u32_e64 v26, s[2:3], s14, v26
	v_add_f32_e32 v25, v19, v25
	v_addc_co_u32_e64 v27, s[2:3], v28, v27, s[2:3]
	v_cndmask_b32_e32 v19, v19, v25, vcc
	global_store_dword v[26:27], v23, off
	s_or_b64 exec, exec, s[20:21]
	s_add_i32 s25, s25, 1
	s_cmp_ge_i32 s25, s8
	s_cbranch_scc1 .LBB339_9
.LBB339_17:                             ;   in Loop: Header=BB339_10 Depth=1
	v_ashrrev_i32_e32 v26, 31, v24
	v_lshrrev_b32_e32 v25, 29, v26
	v_add_u32_e32 v27, v24, v25
	v_ashrrev_i32_e32 v25, 3, v27
	v_lshrrev_b32_e32 v27, 31, v27
	v_add_u32_e32 v27, v25, v27
	v_and_b32_e32 v27, -2, v27
	v_sub_u32_e32 v27, v25, v27
	v_cmp_eq_u32_e64 s[2:3], v17, v27
	s_and_saveexec_b64 s[4:5], s[2:3]
	s_cbranch_execz .LBB339_8
; %bb.18:                               ;   in Loop: Header=BB339_10 Depth=1
	v_lshrrev_b32_e32 v26, 28, v26
	v_add_u32_e32 v26, v24, v26
	v_lshlrev_b32_e32 v25, 3, v25
	v_ashrrev_i32_e32 v26, 4, v26
	v_sub_u32_e32 v24, v24, v25
	v_lshl_add_u32 v24, v26, 3, v24
	v_cmp_ne_u32_e64 s[2:3], 7, v24
	v_cndmask_b32_e64 v15, v22, v15, s[2:3]
	v_cmp_ne_u32_e64 s[2:3], 6, v24
	v_cndmask_b32_e64 v14, v22, v14, s[2:3]
	v_cmp_ne_u32_e64 s[2:3], 5, v24
	v_cndmask_b32_e64 v13, v22, v13, s[2:3]
	v_cmp_ne_u32_e64 s[2:3], 4, v24
	v_cndmask_b32_e64 v12, v22, v12, s[2:3]
	v_cmp_ne_u32_e64 s[2:3], 3, v24
	v_cndmask_b32_e64 v11, v22, v11, s[2:3]
	v_cmp_ne_u32_e64 s[2:3], 2, v24
	v_cndmask_b32_e64 v10, v22, v10, s[2:3]
	v_cmp_ne_u32_e64 s[2:3], 1, v24
	v_cndmask_b32_e64 v9, v22, v9, s[2:3]
	v_cmp_ne_u32_e64 s[2:3], 0, v24
	v_cndmask_b32_e64 v8, v22, v8, s[2:3]
	s_branch .LBB339_8
.LBB339_19:
                                        ; implicit-def: $vgpr8_vgpr9_vgpr10_vgpr11_vgpr12_vgpr13_vgpr14_vgpr15
	s_andn2_b64 vcc, exec, s[8:9]
	s_cbranch_vccz .LBB339_5
	s_branch .LBB339_6
.LBB339_20:
	v_mov_b32_e32 v19, 0
.LBB339_21:
	v_cmp_eq_u32_e64 s[0:1], 0, v17
	s_and_b64 s[0:1], s[0:1], vcc
	s_and_b64 exec, exec, s[0:1]
	s_cbranch_execz .LBB339_30
; %bb.22:
	s_andn2_b64 vcc, exec, s[6:7]
	s_cbranch_vccnz .LBB339_30
; %bb.23:
	v_cmp_lt_f32_e32 vcc, 0, v19
	s_mov_b32 s2, 0
	v_cndmask_b32_e32 v0, 1.0, v19, vcc
	v_mul_lo_u32 v4, v16, s8
	s_cmp_eq_u32 s8, 1
	s_mov_b64 s[0:1], -1
	s_cbranch_scc1 .LBB339_27
; %bb.24:
	s_and_b32 s2, s8, 0x7ffffffe
	v_mov_b32_e32 v1, v0
	v_mov_b32_e32 v5, s17
	s_mov_b32 s3, s2
	v_mov_b32_e32 v2, v4
.LBB339_25:                             ; =>This Inner Loop Header: Depth=1
	v_ashrrev_i32_e32 v3, 31, v2
	v_lshlrev_b64 v[6:7], 2, v[2:3]
	v_add_co_u32_e32 v6, vcc, s16, v6
	v_addc_co_u32_e32 v7, vcc, v5, v7, vcc
	global_load_dwordx2 v[8:9], v[6:7], off
	s_add_i32 s3, s3, -2
	s_cmp_lg_u32 s3, 0
	v_add_u32_e32 v2, 2, v2
	s_waitcnt vmcnt(0)
	v_div_scale_f32 v3, s[0:1], v1, v1, v9
	v_div_scale_f32 v11, s[0:1], v0, v0, v8
	v_rcp_f32_e32 v12, v3
	v_rcp_f32_e32 v13, v11
	v_div_scale_f32 v10, vcc, v9, v1, v9
	v_fma_f32 v15, -v3, v12, 1.0
	v_fma_f32 v16, -v11, v13, 1.0
	v_fmac_f32_e32 v12, v15, v12
	v_div_scale_f32 v14, s[0:1], v8, v0, v8
	v_fmac_f32_e32 v13, v16, v13
	v_mul_f32_e32 v15, v10, v12
	v_mul_f32_e32 v16, v14, v13
	v_fma_f32 v17, -v3, v15, v10
	v_fma_f32 v18, -v11, v16, v14
	v_fmac_f32_e32 v15, v17, v12
	v_fmac_f32_e32 v16, v18, v13
	v_fma_f32 v3, -v3, v15, v10
	v_fma_f32 v10, -v11, v16, v14
	v_div_fmas_f32 v3, v3, v12, v15
	s_mov_b64 vcc, s[0:1]
	v_div_fixup_f32 v9, v3, v1, v9
	v_div_fmas_f32 v3, v10, v13, v16
	v_div_fixup_f32 v8, v3, v0, v8
	global_store_dwordx2 v[6:7], v[8:9], off
	s_cbranch_scc1 .LBB339_25
; %bb.26:
	s_cmp_lg_u32 s2, s8
	s_cselect_b64 s[0:1], -1, 0
.LBB339_27:
	s_and_b64 vcc, exec, s[0:1]
	s_cbranch_vccz .LBB339_30
; %bb.28:
	v_ashrrev_i32_e32 v1, 31, v4
	v_add_co_u32_e32 v2, vcc, s2, v4
	v_addc_co_u32_e32 v3, vcc, 0, v1, vcc
	v_lshlrev_b64 v[2:3], 2, v[2:3]
	v_mov_b32_e32 v1, s17
	v_add_co_u32_e32 v2, vcc, s16, v2
	s_sub_i32 s0, s8, s2
	v_addc_co_u32_e32 v3, vcc, v1, v3, vcc
.LBB339_29:                             ; =>This Inner Loop Header: Depth=1
	global_load_dword v1, v[2:3], off
	s_add_i32 s0, s0, -1
	s_cmp_lg_u32 s0, 0
	s_waitcnt vmcnt(0)
	v_div_scale_f32 v4, s[2:3], v0, v0, v1
	v_rcp_f32_e32 v5, v4
	v_div_scale_f32 v6, vcc, v1, v0, v1
	v_fma_f32 v7, -v4, v5, 1.0
	v_fmac_f32_e32 v5, v7, v5
	v_mul_f32_e32 v7, v6, v5
	v_fma_f32 v8, -v4, v7, v6
	v_fmac_f32_e32 v7, v8, v5
	v_fma_f32 v4, -v4, v7, v6
	v_div_fmas_f32 v4, v4, v5, v7
	v_div_fixup_f32 v1, v4, v0, v1
	global_store_dword v[2:3], v1, off
	v_add_co_u32_e32 v2, vcc, 4, v2
	v_addc_co_u32_e32 v3, vcc, 0, v3, vcc
	s_cbranch_scc1 .LBB339_29
.LBB339_30:
	s_endpgm
	.section	.rodata,"a",@progbits
	.p2align	6, 0x0
	.amdhsa_kernel _ZN4vllm3moe10topkGatingILi8ELi16ELi4ELi16ELi64Ej14__hip_bfloat16LNS0_11ScoringFuncE1EEEvPKT5_PKbPfiPT4_PiiiibPKf
		.amdhsa_group_segment_fixed_size 0
		.amdhsa_private_segment_fixed_size 0
		.amdhsa_kernarg_size 72
		.amdhsa_user_sgpr_count 6
		.amdhsa_user_sgpr_private_segment_buffer 1
		.amdhsa_user_sgpr_dispatch_ptr 0
		.amdhsa_user_sgpr_queue_ptr 0
		.amdhsa_user_sgpr_kernarg_segment_ptr 1
		.amdhsa_user_sgpr_dispatch_id 0
		.amdhsa_user_sgpr_flat_scratch_init 0
		.amdhsa_user_sgpr_kernarg_preload_length 0
		.amdhsa_user_sgpr_kernarg_preload_offset 0
		.amdhsa_user_sgpr_private_segment_size 0
		.amdhsa_uses_dynamic_stack 0
		.amdhsa_system_sgpr_private_segment_wavefront_offset 0
		.amdhsa_system_sgpr_workgroup_id_x 1
		.amdhsa_system_sgpr_workgroup_id_y 0
		.amdhsa_system_sgpr_workgroup_id_z 0
		.amdhsa_system_sgpr_workgroup_info 0
		.amdhsa_system_vgpr_workitem_id 1
		.amdhsa_next_free_vgpr 34
		.amdhsa_next_free_sgpr 26
		.amdhsa_accum_offset 36
		.amdhsa_reserve_vcc 1
		.amdhsa_reserve_flat_scratch 0
		.amdhsa_float_round_mode_32 0
		.amdhsa_float_round_mode_16_64 0
		.amdhsa_float_denorm_mode_32 3
		.amdhsa_float_denorm_mode_16_64 3
		.amdhsa_dx10_clamp 1
		.amdhsa_ieee_mode 1
		.amdhsa_fp16_overflow 0
		.amdhsa_tg_split 0
		.amdhsa_exception_fp_ieee_invalid_op 0
		.amdhsa_exception_fp_denorm_src 0
		.amdhsa_exception_fp_ieee_div_zero 0
		.amdhsa_exception_fp_ieee_overflow 0
		.amdhsa_exception_fp_ieee_underflow 0
		.amdhsa_exception_fp_ieee_inexact 0
		.amdhsa_exception_int_div_zero 0
	.end_amdhsa_kernel
	.section	.text._ZN4vllm3moe10topkGatingILi8ELi16ELi4ELi16ELi64Ej14__hip_bfloat16LNS0_11ScoringFuncE1EEEvPKT5_PKbPfiPT4_PiiiibPKf,"axG",@progbits,_ZN4vllm3moe10topkGatingILi8ELi16ELi4ELi16ELi64Ej14__hip_bfloat16LNS0_11ScoringFuncE1EEEvPKT5_PKbPfiPT4_PiiiibPKf,comdat
.Lfunc_end339:
	.size	_ZN4vllm3moe10topkGatingILi8ELi16ELi4ELi16ELi64Ej14__hip_bfloat16LNS0_11ScoringFuncE1EEEvPKT5_PKbPfiPT4_PiiiibPKf, .Lfunc_end339-_ZN4vllm3moe10topkGatingILi8ELi16ELi4ELi16ELi64Ej14__hip_bfloat16LNS0_11ScoringFuncE1EEEvPKT5_PKbPfiPT4_PiiiibPKf
                                        ; -- End function
	.section	.AMDGPU.csdata,"",@progbits
; Kernel info:
; codeLenInByte = 2564
; NumSgprs: 30
; NumVgprs: 34
; NumAgprs: 0
; TotalNumVgprs: 34
; ScratchSize: 0
; MemoryBound: 0
; FloatMode: 240
; IeeeMode: 1
; LDSByteSize: 0 bytes/workgroup (compile time only)
; SGPRBlocks: 3
; VGPRBlocks: 4
; NumSGPRsForWavesPerEU: 30
; NumVGPRsForWavesPerEU: 34
; AccumOffset: 36
; Occupancy: 8
; WaveLimiterHint : 0
; COMPUTE_PGM_RSRC2:SCRATCH_EN: 0
; COMPUTE_PGM_RSRC2:USER_SGPR: 6
; COMPUTE_PGM_RSRC2:TRAP_HANDLER: 0
; COMPUTE_PGM_RSRC2:TGID_X_EN: 1
; COMPUTE_PGM_RSRC2:TGID_Y_EN: 0
; COMPUTE_PGM_RSRC2:TGID_Z_EN: 0
; COMPUTE_PGM_RSRC2:TIDIG_COMP_CNT: 1
; COMPUTE_PGM_RSRC3_GFX90A:ACCUM_OFFSET: 8
; COMPUTE_PGM_RSRC3_GFX90A:TG_SPLIT: 0
	.section	.text._ZN4vllm3moe10topkGatingILi8ELi16ELi4ELi16ELi32Ej14__hip_bfloat16LNS0_11ScoringFuncE1EEEvPKT5_PKbPfiPT4_PiiiibPKf,"axG",@progbits,_ZN4vllm3moe10topkGatingILi8ELi16ELi4ELi16ELi32Ej14__hip_bfloat16LNS0_11ScoringFuncE1EEEvPKT5_PKbPfiPT4_PiiiibPKf,comdat
	.protected	_ZN4vllm3moe10topkGatingILi8ELi16ELi4ELi16ELi32Ej14__hip_bfloat16LNS0_11ScoringFuncE1EEEvPKT5_PKbPfiPT4_PiiiibPKf ; -- Begin function _ZN4vllm3moe10topkGatingILi8ELi16ELi4ELi16ELi32Ej14__hip_bfloat16LNS0_11ScoringFuncE1EEEvPKT5_PKbPfiPT4_PiiiibPKf
	.globl	_ZN4vllm3moe10topkGatingILi8ELi16ELi4ELi16ELi32Ej14__hip_bfloat16LNS0_11ScoringFuncE1EEEvPKT5_PKbPfiPT4_PiiiibPKf
	.p2align	8
	.type	_ZN4vllm3moe10topkGatingILi8ELi16ELi4ELi16ELi32Ej14__hip_bfloat16LNS0_11ScoringFuncE1EEEvPKT5_PKbPfiPT4_PiiiibPKf,@function
_ZN4vllm3moe10topkGatingILi8ELi16ELi4ELi16ELi32Ej14__hip_bfloat16LNS0_11ScoringFuncE1EEEvPKT5_PKbPfiPT4_PiiiibPKf: ; @_ZN4vllm3moe10topkGatingILi8ELi16ELi4ELi16ELi32Ej14__hip_bfloat16LNS0_11ScoringFuncE1EEEvPKT5_PKbPfiPT4_PiiiibPKf
; %bb.0:
	s_load_dword s24, s[4:5], 0x18
	v_bfe_u32 v1, v0, 10, 10
	v_and_b32_e32 v0, 0x3ff, v0
	s_lshl_b32 s0, s6, 6
	v_lshlrev_b32_e32 v1, 4, v1
	v_lshrrev_b32_e32 v2, 1, v0
	v_add3_u32 v16, s0, v1, v2
	s_waitcnt lgkmcnt(0)
	v_cmp_gt_i32_e32 vcc, s24, v16
	s_and_saveexec_b64 s[0:1], vcc
	s_cbranch_execz .LBB340_30
; %bb.1:
	s_load_dwordx4 s[0:3], s[4:5], 0x0
	s_load_dwordx2 s[16:17], s[4:5], 0x10
	s_mov_b64 s[8:9], -1
	s_mov_b64 s[18:19], -1
	s_waitcnt lgkmcnt(0)
	s_cmp_eq_u64 s[2:3], 0
	s_cbranch_scc1 .LBB340_3
; %bb.2:
	v_ashrrev_i32_e32 v1, 31, v16
	v_mov_b32_e32 v3, s3
	v_add_co_u32_e32 v2, vcc, s2, v16
	v_addc_co_u32_e32 v3, vcc, v3, v1, vcc
	global_load_ubyte v1, v[2:3], off
	s_waitcnt vmcnt(0)
	v_and_b32_e32 v1, 1, v1
	v_cmp_eq_u32_e32 vcc, 1, v1
	s_xor_b64 s[2:3], vcc, -1
	s_orn2_b64 s[18:19], s[2:3], exec
.LBB340_3:
	v_lshlrev_b32_e32 v2, 4, v16
	v_ashrrev_i32_e32 v3, 31, v2
	v_lshlrev_b64 v[2:3], 1, v[2:3]
	v_mov_b32_e32 v1, s1
	v_add_co_u32_e32 v2, vcc, s0, v2
	v_and_b32_e32 v17, 1, v0
	v_addc_co_u32_e32 v1, vcc, v1, v3, vcc
	v_lshlrev_b32_e32 v0, 4, v17
	v_add_co_u32_e32 v0, vcc, v2, v0
	v_addc_co_u32_e32 v1, vcc, 0, v1, vcc
	global_load_dwordx4 v[0:3], v[0:1], off
	v_mov_b32_e32 v8, 0x207
	s_load_dwordx2 s[10:11], s[4:5], 0x40
	v_lshlrev_b32_e32 v18, 3, v17
	s_waitcnt lgkmcnt(0)
	s_cmp_eq_u64 s[10:11], 0
	s_waitcnt vmcnt(0)
	v_lshlrev_b32_e32 v4, 16, v0
	v_and_b32_e32 v0, 0xffff0000, v0
	v_lshlrev_b32_e32 v5, 16, v1
	v_and_b32_e32 v1, 0xffff0000, v1
	v_mul_f32_e32 v4, 0xbfb8aa3b, v4
	v_mul_f32_e32 v9, 0xbfb8aa3b, v0
	;; [unrolled: 1-line block ×3, first 2 shown]
	v_exp_f32_e32 v0, v4
	v_exp_f32_e32 v1, v9
	v_lshlrev_b32_e32 v6, 16, v2
	v_and_b32_e32 v2, 0xffff0000, v2
	v_lshlrev_b32_e32 v7, 16, v3
	v_and_b32_e32 v3, 0xffff0000, v3
	v_mul_f32_e32 v5, 0xbfb8aa3b, v5
	v_mul_f32_e32 v11, 0xbfb8aa3b, v2
	;; [unrolled: 1-line block ×3, first 2 shown]
	v_exp_f32_e32 v2, v5
	v_exp_f32_e32 v3, v10
	v_pk_add_f32 v[0:1], v[0:1], 1.0 op_sel_hi:[1,0]
	v_div_scale_f32 v9, s[0:1], v1, v1, 1.0
	v_rcp_f32_e32 v21, v9
	v_exp_f32_e32 v5, v11
	v_div_scale_f32 v11, s[0:1], v0, v0, 1.0
	v_pk_add_f32 v[2:3], v[2:3], 1.0 op_sel_hi:[1,0]
	v_rcp_f32_e32 v22, v11
	v_div_scale_f32 v13, s[2:3], v3, v3, 1.0
	v_rcp_f32_e32 v23, v13
	v_fma_f32 v26, -v9, v21, 1.0
	v_div_scale_f32 v10, vcc, 1.0, v1, 1.0
	v_div_scale_f32 v15, s[6:7], v2, v2, 1.0
	v_fmac_f32_e32 v21, v26, v21
	v_mul_f32_e32 v6, 0xbfb8aa3b, v6
	v_mul_f32_e32 v7, 0xbfb8aa3b, v7
	v_rcp_f32_e32 v24, v15
	v_fma_f32 v27, -v11, v22, 1.0
	v_mul_f32_e32 v26, v10, v21
	v_exp_f32_e32 v4, v6
	v_exp_f32_e32 v6, v7
	;; [unrolled: 1-line block ×3, first 2 shown]
	v_div_scale_f32 v12, s[0:1], 1.0, v0, 1.0
	v_fmac_f32_e32 v22, v27, v22
	v_fma_f32 v30, -v9, v26, v10
	v_fma_f32 v28, -v13, v23, 1.0
	v_mul_f32_e32 v27, v12, v22
	v_fmac_f32_e32 v26, v30, v21
	v_div_scale_f32 v14, s[2:3], 1.0, v3, 1.0
	v_fmac_f32_e32 v23, v28, v23
	v_fma_f32 v31, -v11, v27, v12
	v_fma_f32 v9, -v9, v26, v10
	v_fma_f32 v29, -v15, v24, 1.0
	v_mul_f32_e32 v28, v14, v23
	v_fmac_f32_e32 v27, v31, v22
	v_div_fmas_f32 v9, v9, v21, v26
	v_div_scale_f32 v19, s[6:7], 1.0, v2, 1.0
	v_fmac_f32_e32 v24, v29, v24
	v_fma_f32 v32, -v13, v28, v14
	v_fma_f32 v10, -v11, v27, v12
	v_div_fixup_f32 v1, v9, v1, 1.0
	s_mov_b64 vcc, s[0:1]
	v_pk_add_f32 v[4:5], v[4:5], 1.0 op_sel_hi:[1,0]
	v_mul_f32_e32 v29, v19, v24
	v_fmac_f32_e32 v28, v32, v23
	v_div_fmas_f32 v9, v10, v22, v27
	v_cmp_class_f32_e32 vcc, v1, v8
	v_div_scale_f32 v20, s[12:13], v5, v5, 1.0
	v_fma_f32 v33, -v15, v29, v19
	v_fma_f32 v11, -v13, v28, v14
	v_div_fixup_f32 v0, v9, v0, 1.0
	v_cndmask_b32_e64 v1, v1, 0, vcc
	s_mov_b64 vcc, s[2:3]
	v_rcp_f32_e32 v25, v20
	v_fmac_f32_e32 v29, v33, v24
	v_div_fmas_f32 v9, v11, v23, v28
	v_cmp_class_f32_e32 vcc, v0, v8
	v_fma_f32 v12, -v15, v29, v19
	v_cndmask_b32_e64 v0, v0, 0, vcc
	s_mov_b64 vcc, s[6:7]
	v_div_fixup_f32 v3, v9, v3, 1.0
	v_div_fmas_f32 v9, v12, v24, v29
	v_div_fixup_f32 v2, v9, v2, 1.0
	v_cmp_class_f32_e32 vcc, v3, v8
	v_cndmask_b32_e64 v3, v3, 0, vcc
	v_cmp_class_f32_e32 vcc, v2, v8
	v_fma_f32 v9, -v20, v25, 1.0
	v_cndmask_b32_e64 v2, v2, 0, vcc
	v_fmac_f32_e32 v25, v9, v25
	v_div_scale_f32 v9, vcc, 1.0, v5, 1.0
	v_mul_f32_e32 v10, v9, v25
	v_fma_f32 v11, -v20, v10, v9
	v_fmac_f32_e32 v10, v11, v25
	v_div_scale_f32 v11, s[0:1], v4, v4, 1.0
	v_rcp_f32_e32 v12, v11
	v_fma_f32 v9, -v20, v10, v9
	v_div_fmas_f32 v9, v9, v25, v10
	v_div_fixup_f32 v5, v9, v5, 1.0
	v_fma_f32 v9, -v11, v12, 1.0
	v_fmac_f32_e32 v12, v9, v12
	v_div_scale_f32 v9, vcc, 1.0, v4, 1.0
	v_mul_f32_e32 v10, v9, v12
	v_fma_f32 v13, -v11, v10, v9
	v_fmac_f32_e32 v10, v13, v12
	v_fma_f32 v9, -v11, v10, v9
	v_div_fmas_f32 v9, v9, v12, v10
	v_pk_add_f32 v[6:7], v[6:7], 1.0 op_sel_hi:[1,0]
	v_div_fixup_f32 v4, v9, v4, 1.0
	v_div_scale_f32 v9, s[0:1], v7, v7, 1.0
	v_rcp_f32_e32 v10, v9
	v_cmp_class_f32_e32 vcc, v5, v8
	v_cndmask_b32_e64 v5, v5, 0, vcc
	v_cmp_class_f32_e32 vcc, v4, v8
	v_fma_f32 v11, -v9, v10, 1.0
	v_cndmask_b32_e64 v4, v4, 0, vcc
	v_fmac_f32_e32 v10, v11, v10
	v_div_scale_f32 v11, vcc, 1.0, v7, 1.0
	v_mul_f32_e32 v12, v11, v10
	v_fma_f32 v13, -v9, v12, v11
	v_fmac_f32_e32 v12, v13, v10
	v_fma_f32 v9, -v9, v12, v11
	v_div_scale_f32 v11, s[0:1], v6, v6, 1.0
	v_rcp_f32_e32 v13, v11
	v_div_fmas_f32 v9, v9, v10, v12
	v_div_fixup_f32 v7, v9, v7, 1.0
	v_fma_f32 v9, -v11, v13, 1.0
	v_fmac_f32_e32 v13, v9, v13
	v_div_scale_f32 v9, vcc, 1.0, v6, 1.0
	v_mul_f32_e32 v10, v9, v13
	v_fma_f32 v12, -v11, v10, v9
	v_fmac_f32_e32 v10, v12, v13
	v_fma_f32 v9, -v11, v10, v9
	v_div_fmas_f32 v9, v9, v13, v10
	v_div_fixup_f32 v6, v9, v6, 1.0
	v_cmp_class_f32_e32 vcc, v7, v8
	v_cndmask_b32_e64 v7, v7, 0, vcc
	v_cmp_class_f32_e32 vcc, v6, v8
	v_cndmask_b32_e64 v6, v6, 0, vcc
	s_cbranch_scc1 .LBB340_19
; %bb.4:
	v_lshlrev_b32_e32 v19, 2, v18
	global_load_dwordx4 v[8:11], v19, s[10:11]
	global_load_dwordx4 v[12:15], v19, s[10:11] offset:16
	s_waitcnt vmcnt(1)
	v_pk_add_f32 v[8:9], v[8:9], v[0:1]
	v_pk_add_f32 v[10:11], v[10:11], v[2:3]
	s_waitcnt vmcnt(0)
	v_pk_add_f32 v[12:13], v[12:13], v[4:5]
	v_pk_add_f32 v[14:15], v[14:15], v[6:7]
	s_cbranch_execnz .LBB340_6
.LBB340_5:
	v_pk_mov_b32 v[14:15], v[6:7], v[6:7] op_sel:[0,1]
	v_pk_mov_b32 v[12:13], v[4:5], v[4:5] op_sel:[0,1]
	;; [unrolled: 1-line block ×4, first 2 shown]
.LBB340_6:
	s_load_dwordx4 s[8:11], s[4:5], 0x30
	s_mov_b32 s25, 0
	v_cmp_eq_u32_e64 s[0:1], 0, v17
	s_waitcnt lgkmcnt(0)
	s_bitcmp1_b32 s11, 0
	s_cselect_b64 vcc, -1, 0
	s_cmp_gt_i32 s8, 0
	s_cselect_b64 s[6:7], -1, 0
	s_cmp_lt_i32 s8, 1
	s_cbranch_scc1 .LBB340_20
; %bb.7:
	v_mbcnt_lo_u32_b32 v19, -1, 0
	v_mbcnt_hi_u32_b32 v19, -1, v19
	s_load_dwordx4 s[12:15], s[4:5], 0x20
	v_and_b32_e32 v21, 0x7e, v19
	v_xor_b32_e32 v20, 1, v19
	v_add_u32_e32 v21, 2, v21
	v_cmp_lt_i32_e64 s[2:3], v20, v21
	v_cndmask_b32_e64 v19, v19, v20, s[2:3]
	v_lshlrev_b32_e32 v20, 2, v19
	v_mul_lo_u32 v21, v16, s8
	v_mov_b32_e32 v19, 0
	v_mov_b32_e32 v22, 0xc61c4000
	;; [unrolled: 1-line block ×3, first 2 shown]
	s_branch .LBB340_10
.LBB340_8:                              ;   in Loop: Header=BB340_10 Depth=1
	s_or_b64 exec, exec, s[4:5]
.LBB340_9:                              ;   in Loop: Header=BB340_10 Depth=1
	s_cmp_eq_u32 s8, s25
	v_add_u32_e32 v23, s24, v23
	s_cbranch_scc1 .LBB340_21
.LBB340_10:                             ; =>This Inner Loop Header: Depth=1
	v_cmp_gt_f32_e64 s[2:3], v9, v8
	v_cndmask_b32_e64 v26, v8, v9, s[2:3]
	v_cndmask_b32_e64 v24, 0, 1, s[2:3]
	v_cndmask_b32_e64 v25, v0, v1, s[2:3]
	v_cmp_gt_f32_e64 s[2:3], v10, v26
	v_cndmask_b32_e64 v26, v26, v10, s[2:3]
	v_cndmask_b32_e64 v24, v24, 2, s[2:3]
	v_cndmask_b32_e64 v25, v25, v2, s[2:3]
	;; [unrolled: 4-line block ×6, first 2 shown]
	v_cmp_gt_f32_e64 s[2:3], v15, v26
	v_cndmask_b32_e64 v24, v24, 7, s[2:3]
	v_cndmask_b32_e64 v28, v26, v15, s[2:3]
	v_or_b32_e32 v24, v18, v24
	v_cndmask_b32_e64 v25, v25, v7, s[2:3]
	ds_bpermute_b32 v29, v20, v28
	ds_bpermute_b32 v26, v20, v25
	;; [unrolled: 1-line block ×3, first 2 shown]
	s_waitcnt lgkmcnt(0)
	v_cmp_lt_f32_e64 s[20:21], v28, v29
	v_cmp_nlt_f32_e64 s[2:3], v28, v29
	s_and_saveexec_b64 s[22:23], s[2:3]
	s_cbranch_execnz .LBB340_14
; %bb.11:                               ;   in Loop: Header=BB340_10 Depth=1
	s_or_b64 exec, exec, s[22:23]
	s_and_saveexec_b64 s[2:3], s[20:21]
	s_cbranch_execnz .LBB340_15
.LBB340_12:                             ;   in Loop: Header=BB340_10 Depth=1
	s_or_b64 exec, exec, s[2:3]
	s_and_saveexec_b64 s[20:21], s[0:1]
	s_cbranch_execnz .LBB340_16
.LBB340_13:                             ;   in Loop: Header=BB340_10 Depth=1
	s_or_b64 exec, exec, s[20:21]
	s_add_i32 s25, s25, 1
	s_cmp_ge_i32 s25, s8
	s_cbranch_scc1 .LBB340_9
	s_branch .LBB340_17
.LBB340_14:                             ;   in Loop: Header=BB340_10 Depth=1
	v_cmp_eq_f32_e64 s[2:3], v28, v29
	v_cmp_lt_i32_e64 s[4:5], v27, v24
	s_and_b64 s[2:3], s[2:3], s[4:5]
	s_andn2_b64 s[4:5], s[20:21], exec
	s_and_b64 s[2:3], s[2:3], exec
	s_or_b64 s[20:21], s[4:5], s[2:3]
	s_or_b64 exec, exec, s[22:23]
	s_and_saveexec_b64 s[2:3], s[20:21]
	s_cbranch_execz .LBB340_12
.LBB340_15:                             ;   in Loop: Header=BB340_10 Depth=1
	v_mov_b32_e32 v24, v27
	v_mov_b32_e32 v25, v26
	s_or_b64 exec, exec, s[2:3]
	s_and_saveexec_b64 s[20:21], s[0:1]
	s_cbranch_execz .LBB340_13
.LBB340_16:                             ;   in Loop: Header=BB340_10 Depth=1
	v_add_u32_e32 v26, s25, v21
	v_ashrrev_i32_e32 v27, 31, v26
	v_cmp_le_i32_e64 s[2:3], s9, v24
	v_cmp_gt_i32_e64 s[4:5], s10, v24
	v_lshlrev_b64 v[26:27], 2, v[26:27]
	s_and_b64 s[4:5], s[2:3], s[4:5]
	v_mov_b32_e32 v29, s17
	v_add_co_u32_e64 v28, s[2:3], s16, v26
	v_addc_co_u32_e64 v29, s[2:3], v29, v27, s[2:3]
	global_store_dword v[28:29], v25, off
	v_subrev_u32_e32 v28, s9, v24
	s_and_b64 s[2:3], s[18:19], s[4:5]
	v_cndmask_b32_e64 v30, 16, v28, s[2:3]
	v_mov_b32_e32 v29, s13
	v_add_co_u32_e64 v28, s[2:3], s12, v26
	v_addc_co_u32_e64 v29, s[2:3], v29, v27, s[2:3]
	global_store_dword v[28:29], v30, off
	v_mov_b32_e32 v28, s15
	v_add_co_u32_e64 v26, s[2:3], s14, v26
	v_add_f32_e32 v25, v19, v25
	v_addc_co_u32_e64 v27, s[2:3], v28, v27, s[2:3]
	v_cndmask_b32_e32 v19, v19, v25, vcc
	global_store_dword v[26:27], v23, off
	s_or_b64 exec, exec, s[20:21]
	s_add_i32 s25, s25, 1
	s_cmp_ge_i32 s25, s8
	s_cbranch_scc1 .LBB340_9
.LBB340_17:                             ;   in Loop: Header=BB340_10 Depth=1
	v_ashrrev_i32_e32 v26, 31, v24
	v_lshrrev_b32_e32 v25, 29, v26
	v_add_u32_e32 v27, v24, v25
	v_ashrrev_i32_e32 v25, 3, v27
	v_lshrrev_b32_e32 v27, 31, v27
	v_add_u32_e32 v27, v25, v27
	v_and_b32_e32 v27, -2, v27
	v_sub_u32_e32 v27, v25, v27
	v_cmp_eq_u32_e64 s[2:3], v17, v27
	s_and_saveexec_b64 s[4:5], s[2:3]
	s_cbranch_execz .LBB340_8
; %bb.18:                               ;   in Loop: Header=BB340_10 Depth=1
	v_lshrrev_b32_e32 v26, 28, v26
	v_add_u32_e32 v26, v24, v26
	v_lshlrev_b32_e32 v25, 3, v25
	v_ashrrev_i32_e32 v26, 4, v26
	v_sub_u32_e32 v24, v24, v25
	v_lshl_add_u32 v24, v26, 3, v24
	v_cmp_ne_u32_e64 s[2:3], 7, v24
	v_cndmask_b32_e64 v15, v22, v15, s[2:3]
	v_cmp_ne_u32_e64 s[2:3], 6, v24
	v_cndmask_b32_e64 v14, v22, v14, s[2:3]
	;; [unrolled: 2-line block ×8, first 2 shown]
	s_branch .LBB340_8
.LBB340_19:
                                        ; implicit-def: $vgpr8_vgpr9_vgpr10_vgpr11_vgpr12_vgpr13_vgpr14_vgpr15
	s_andn2_b64 vcc, exec, s[8:9]
	s_cbranch_vccz .LBB340_5
	s_branch .LBB340_6
.LBB340_20:
	v_mov_b32_e32 v19, 0
.LBB340_21:
	v_cmp_eq_u32_e64 s[0:1], 0, v17
	s_and_b64 s[0:1], s[0:1], vcc
	s_and_b64 exec, exec, s[0:1]
	s_cbranch_execz .LBB340_30
; %bb.22:
	s_andn2_b64 vcc, exec, s[6:7]
	s_cbranch_vccnz .LBB340_30
; %bb.23:
	v_cmp_lt_f32_e32 vcc, 0, v19
	s_mov_b32 s2, 0
	v_cndmask_b32_e32 v0, 1.0, v19, vcc
	v_mul_lo_u32 v4, v16, s8
	s_cmp_eq_u32 s8, 1
	s_mov_b64 s[0:1], -1
	s_cbranch_scc1 .LBB340_27
; %bb.24:
	s_and_b32 s2, s8, 0x7ffffffe
	v_mov_b32_e32 v1, v0
	v_mov_b32_e32 v5, s17
	s_mov_b32 s3, s2
	v_mov_b32_e32 v2, v4
.LBB340_25:                             ; =>This Inner Loop Header: Depth=1
	v_ashrrev_i32_e32 v3, 31, v2
	v_lshlrev_b64 v[6:7], 2, v[2:3]
	v_add_co_u32_e32 v6, vcc, s16, v6
	v_addc_co_u32_e32 v7, vcc, v5, v7, vcc
	global_load_dwordx2 v[8:9], v[6:7], off
	s_add_i32 s3, s3, -2
	s_cmp_lg_u32 s3, 0
	v_add_u32_e32 v2, 2, v2
	s_waitcnt vmcnt(0)
	v_div_scale_f32 v3, s[0:1], v1, v1, v9
	v_div_scale_f32 v11, s[0:1], v0, v0, v8
	v_rcp_f32_e32 v12, v3
	v_rcp_f32_e32 v13, v11
	v_div_scale_f32 v10, vcc, v9, v1, v9
	v_fma_f32 v15, -v3, v12, 1.0
	v_fma_f32 v16, -v11, v13, 1.0
	v_fmac_f32_e32 v12, v15, v12
	v_div_scale_f32 v14, s[0:1], v8, v0, v8
	v_fmac_f32_e32 v13, v16, v13
	v_mul_f32_e32 v15, v10, v12
	v_mul_f32_e32 v16, v14, v13
	v_fma_f32 v17, -v3, v15, v10
	v_fma_f32 v18, -v11, v16, v14
	v_fmac_f32_e32 v15, v17, v12
	v_fmac_f32_e32 v16, v18, v13
	v_fma_f32 v3, -v3, v15, v10
	v_fma_f32 v10, -v11, v16, v14
	v_div_fmas_f32 v3, v3, v12, v15
	s_mov_b64 vcc, s[0:1]
	v_div_fixup_f32 v9, v3, v1, v9
	v_div_fmas_f32 v3, v10, v13, v16
	v_div_fixup_f32 v8, v3, v0, v8
	global_store_dwordx2 v[6:7], v[8:9], off
	s_cbranch_scc1 .LBB340_25
; %bb.26:
	s_cmp_lg_u32 s2, s8
	s_cselect_b64 s[0:1], -1, 0
.LBB340_27:
	s_and_b64 vcc, exec, s[0:1]
	s_cbranch_vccz .LBB340_30
; %bb.28:
	v_ashrrev_i32_e32 v1, 31, v4
	v_add_co_u32_e32 v2, vcc, s2, v4
	v_addc_co_u32_e32 v3, vcc, 0, v1, vcc
	v_lshlrev_b64 v[2:3], 2, v[2:3]
	v_mov_b32_e32 v1, s17
	v_add_co_u32_e32 v2, vcc, s16, v2
	s_sub_i32 s0, s8, s2
	v_addc_co_u32_e32 v3, vcc, v1, v3, vcc
.LBB340_29:                             ; =>This Inner Loop Header: Depth=1
	global_load_dword v1, v[2:3], off
	s_add_i32 s0, s0, -1
	s_cmp_lg_u32 s0, 0
	s_waitcnt vmcnt(0)
	v_div_scale_f32 v4, s[2:3], v0, v0, v1
	v_rcp_f32_e32 v5, v4
	v_div_scale_f32 v6, vcc, v1, v0, v1
	v_fma_f32 v7, -v4, v5, 1.0
	v_fmac_f32_e32 v5, v7, v5
	v_mul_f32_e32 v7, v6, v5
	v_fma_f32 v8, -v4, v7, v6
	v_fmac_f32_e32 v7, v8, v5
	v_fma_f32 v4, -v4, v7, v6
	v_div_fmas_f32 v4, v4, v5, v7
	v_div_fixup_f32 v1, v4, v0, v1
	global_store_dword v[2:3], v1, off
	v_add_co_u32_e32 v2, vcc, 4, v2
	v_addc_co_u32_e32 v3, vcc, 0, v3, vcc
	s_cbranch_scc1 .LBB340_29
.LBB340_30:
	s_endpgm
	.section	.rodata,"a",@progbits
	.p2align	6, 0x0
	.amdhsa_kernel _ZN4vllm3moe10topkGatingILi8ELi16ELi4ELi16ELi32Ej14__hip_bfloat16LNS0_11ScoringFuncE1EEEvPKT5_PKbPfiPT4_PiiiibPKf
		.amdhsa_group_segment_fixed_size 0
		.amdhsa_private_segment_fixed_size 0
		.amdhsa_kernarg_size 72
		.amdhsa_user_sgpr_count 6
		.amdhsa_user_sgpr_private_segment_buffer 1
		.amdhsa_user_sgpr_dispatch_ptr 0
		.amdhsa_user_sgpr_queue_ptr 0
		.amdhsa_user_sgpr_kernarg_segment_ptr 1
		.amdhsa_user_sgpr_dispatch_id 0
		.amdhsa_user_sgpr_flat_scratch_init 0
		.amdhsa_user_sgpr_kernarg_preload_length 0
		.amdhsa_user_sgpr_kernarg_preload_offset 0
		.amdhsa_user_sgpr_private_segment_size 0
		.amdhsa_uses_dynamic_stack 0
		.amdhsa_system_sgpr_private_segment_wavefront_offset 0
		.amdhsa_system_sgpr_workgroup_id_x 1
		.amdhsa_system_sgpr_workgroup_id_y 0
		.amdhsa_system_sgpr_workgroup_id_z 0
		.amdhsa_system_sgpr_workgroup_info 0
		.amdhsa_system_vgpr_workitem_id 1
		.amdhsa_next_free_vgpr 34
		.amdhsa_next_free_sgpr 26
		.amdhsa_accum_offset 36
		.amdhsa_reserve_vcc 1
		.amdhsa_reserve_flat_scratch 0
		.amdhsa_float_round_mode_32 0
		.amdhsa_float_round_mode_16_64 0
		.amdhsa_float_denorm_mode_32 3
		.amdhsa_float_denorm_mode_16_64 3
		.amdhsa_dx10_clamp 1
		.amdhsa_ieee_mode 1
		.amdhsa_fp16_overflow 0
		.amdhsa_tg_split 0
		.amdhsa_exception_fp_ieee_invalid_op 0
		.amdhsa_exception_fp_denorm_src 0
		.amdhsa_exception_fp_ieee_div_zero 0
		.amdhsa_exception_fp_ieee_overflow 0
		.amdhsa_exception_fp_ieee_underflow 0
		.amdhsa_exception_fp_ieee_inexact 0
		.amdhsa_exception_int_div_zero 0
	.end_amdhsa_kernel
	.section	.text._ZN4vllm3moe10topkGatingILi8ELi16ELi4ELi16ELi32Ej14__hip_bfloat16LNS0_11ScoringFuncE1EEEvPKT5_PKbPfiPT4_PiiiibPKf,"axG",@progbits,_ZN4vllm3moe10topkGatingILi8ELi16ELi4ELi16ELi32Ej14__hip_bfloat16LNS0_11ScoringFuncE1EEEvPKT5_PKbPfiPT4_PiiiibPKf,comdat
.Lfunc_end340:
	.size	_ZN4vllm3moe10topkGatingILi8ELi16ELi4ELi16ELi32Ej14__hip_bfloat16LNS0_11ScoringFuncE1EEEvPKT5_PKbPfiPT4_PiiiibPKf, .Lfunc_end340-_ZN4vllm3moe10topkGatingILi8ELi16ELi4ELi16ELi32Ej14__hip_bfloat16LNS0_11ScoringFuncE1EEEvPKT5_PKbPfiPT4_PiiiibPKf
                                        ; -- End function
	.section	.AMDGPU.csdata,"",@progbits
; Kernel info:
; codeLenInByte = 2564
; NumSgprs: 30
; NumVgprs: 34
; NumAgprs: 0
; TotalNumVgprs: 34
; ScratchSize: 0
; MemoryBound: 0
; FloatMode: 240
; IeeeMode: 1
; LDSByteSize: 0 bytes/workgroup (compile time only)
; SGPRBlocks: 3
; VGPRBlocks: 4
; NumSGPRsForWavesPerEU: 30
; NumVGPRsForWavesPerEU: 34
; AccumOffset: 36
; Occupancy: 8
; WaveLimiterHint : 0
; COMPUTE_PGM_RSRC2:SCRATCH_EN: 0
; COMPUTE_PGM_RSRC2:USER_SGPR: 6
; COMPUTE_PGM_RSRC2:TRAP_HANDLER: 0
; COMPUTE_PGM_RSRC2:TGID_X_EN: 1
; COMPUTE_PGM_RSRC2:TGID_Y_EN: 0
; COMPUTE_PGM_RSRC2:TGID_Z_EN: 0
; COMPUTE_PGM_RSRC2:TIDIG_COMP_CNT: 1
; COMPUTE_PGM_RSRC3_GFX90A:ACCUM_OFFSET: 8
; COMPUTE_PGM_RSRC3_GFX90A:TG_SPLIT: 0
	.section	.text._ZN4vllm3moe10topkGatingILi8ELi32ELi4ELi16ELi64Ej14__hip_bfloat16LNS0_11ScoringFuncE1EEEvPKT5_PKbPfiPT4_PiiiibPKf,"axG",@progbits,_ZN4vllm3moe10topkGatingILi8ELi32ELi4ELi16ELi64Ej14__hip_bfloat16LNS0_11ScoringFuncE1EEEvPKT5_PKbPfiPT4_PiiiibPKf,comdat
	.protected	_ZN4vllm3moe10topkGatingILi8ELi32ELi4ELi16ELi64Ej14__hip_bfloat16LNS0_11ScoringFuncE1EEEvPKT5_PKbPfiPT4_PiiiibPKf ; -- Begin function _ZN4vllm3moe10topkGatingILi8ELi32ELi4ELi16ELi64Ej14__hip_bfloat16LNS0_11ScoringFuncE1EEEvPKT5_PKbPfiPT4_PiiiibPKf
	.globl	_ZN4vllm3moe10topkGatingILi8ELi32ELi4ELi16ELi64Ej14__hip_bfloat16LNS0_11ScoringFuncE1EEEvPKT5_PKbPfiPT4_PiiiibPKf
	.p2align	8
	.type	_ZN4vllm3moe10topkGatingILi8ELi32ELi4ELi16ELi64Ej14__hip_bfloat16LNS0_11ScoringFuncE1EEEvPKT5_PKbPfiPT4_PiiiibPKf,@function
_ZN4vllm3moe10topkGatingILi8ELi32ELi4ELi16ELi64Ej14__hip_bfloat16LNS0_11ScoringFuncE1EEEvPKT5_PKbPfiPT4_PiiiibPKf: ; @_ZN4vllm3moe10topkGatingILi8ELi32ELi4ELi16ELi64Ej14__hip_bfloat16LNS0_11ScoringFuncE1EEEvPKT5_PKbPfiPT4_PiiiibPKf
; %bb.0:
	s_load_dword s24, s[4:5], 0x18
	v_bfe_u32 v1, v0, 10, 10
	v_and_b32_e32 v0, 0x3ff, v0
	s_lshl_b32 s0, s6, 6
	v_lshlrev_b32_e32 v1, 4, v1
	v_lshrrev_b32_e32 v2, 2, v0
	v_add3_u32 v16, s0, v1, v2
	s_waitcnt lgkmcnt(0)
	v_cmp_gt_i32_e32 vcc, s24, v16
	s_and_saveexec_b64 s[0:1], vcc
	s_cbranch_execz .LBB341_34
; %bb.1:
	s_load_dwordx4 s[0:3], s[4:5], 0x0
	s_load_dwordx2 s[16:17], s[4:5], 0x10
	s_mov_b64 s[8:9], -1
	s_mov_b64 s[18:19], -1
	s_waitcnt lgkmcnt(0)
	s_cmp_eq_u64 s[2:3], 0
	s_cbranch_scc1 .LBB341_3
; %bb.2:
	v_ashrrev_i32_e32 v1, 31, v16
	v_mov_b32_e32 v3, s3
	v_add_co_u32_e32 v2, vcc, s2, v16
	v_addc_co_u32_e32 v3, vcc, v3, v1, vcc
	global_load_ubyte v1, v[2:3], off
	s_waitcnt vmcnt(0)
	v_and_b32_e32 v1, 1, v1
	v_cmp_eq_u32_e32 vcc, 1, v1
	s_xor_b64 s[2:3], vcc, -1
	s_orn2_b64 s[18:19], s[2:3], exec
.LBB341_3:
	v_lshlrev_b32_e32 v2, 5, v16
	v_ashrrev_i32_e32 v3, 31, v2
	v_lshlrev_b64 v[2:3], 1, v[2:3]
	v_mov_b32_e32 v1, s1
	v_add_co_u32_e32 v2, vcc, s0, v2
	v_and_b32_e32 v17, 3, v0
	v_addc_co_u32_e32 v1, vcc, v1, v3, vcc
	v_lshlrev_b32_e32 v0, 4, v17
	v_add_co_u32_e32 v0, vcc, v2, v0
	v_addc_co_u32_e32 v1, vcc, 0, v1, vcc
	global_load_dwordx4 v[0:3], v[0:1], off
	v_mov_b32_e32 v8, 0x207
	s_load_dwordx2 s[10:11], s[4:5], 0x40
	v_lshlrev_b32_e32 v18, 3, v17
	s_waitcnt lgkmcnt(0)
	s_cmp_eq_u64 s[10:11], 0
	s_waitcnt vmcnt(0)
	v_lshlrev_b32_e32 v4, 16, v0
	v_and_b32_e32 v0, 0xffff0000, v0
	v_lshlrev_b32_e32 v5, 16, v1
	v_and_b32_e32 v1, 0xffff0000, v1
	v_mul_f32_e32 v4, 0xbfb8aa3b, v4
	v_mul_f32_e32 v9, 0xbfb8aa3b, v0
	;; [unrolled: 1-line block ×3, first 2 shown]
	v_exp_f32_e32 v0, v4
	v_exp_f32_e32 v1, v9
	v_lshlrev_b32_e32 v6, 16, v2
	v_and_b32_e32 v2, 0xffff0000, v2
	v_lshlrev_b32_e32 v7, 16, v3
	v_and_b32_e32 v3, 0xffff0000, v3
	v_mul_f32_e32 v5, 0xbfb8aa3b, v5
	v_mul_f32_e32 v11, 0xbfb8aa3b, v2
	;; [unrolled: 1-line block ×3, first 2 shown]
	v_exp_f32_e32 v2, v5
	v_exp_f32_e32 v3, v10
	v_pk_add_f32 v[0:1], v[0:1], 1.0 op_sel_hi:[1,0]
	v_div_scale_f32 v9, s[0:1], v1, v1, 1.0
	v_rcp_f32_e32 v21, v9
	v_exp_f32_e32 v5, v11
	v_div_scale_f32 v11, s[0:1], v0, v0, 1.0
	v_pk_add_f32 v[2:3], v[2:3], 1.0 op_sel_hi:[1,0]
	v_rcp_f32_e32 v22, v11
	v_div_scale_f32 v13, s[2:3], v3, v3, 1.0
	v_rcp_f32_e32 v23, v13
	v_fma_f32 v26, -v9, v21, 1.0
	v_div_scale_f32 v10, vcc, 1.0, v1, 1.0
	v_div_scale_f32 v15, s[6:7], v2, v2, 1.0
	v_fmac_f32_e32 v21, v26, v21
	v_mul_f32_e32 v6, 0xbfb8aa3b, v6
	v_mul_f32_e32 v7, 0xbfb8aa3b, v7
	v_rcp_f32_e32 v24, v15
	v_fma_f32 v27, -v11, v22, 1.0
	v_mul_f32_e32 v26, v10, v21
	v_exp_f32_e32 v4, v6
	v_exp_f32_e32 v6, v7
	;; [unrolled: 1-line block ×3, first 2 shown]
	v_div_scale_f32 v12, s[0:1], 1.0, v0, 1.0
	v_fmac_f32_e32 v22, v27, v22
	v_fma_f32 v30, -v9, v26, v10
	v_fma_f32 v28, -v13, v23, 1.0
	v_mul_f32_e32 v27, v12, v22
	v_fmac_f32_e32 v26, v30, v21
	v_div_scale_f32 v14, s[2:3], 1.0, v3, 1.0
	v_fmac_f32_e32 v23, v28, v23
	v_fma_f32 v31, -v11, v27, v12
	v_fma_f32 v9, -v9, v26, v10
	v_fma_f32 v29, -v15, v24, 1.0
	v_mul_f32_e32 v28, v14, v23
	v_fmac_f32_e32 v27, v31, v22
	v_div_fmas_f32 v9, v9, v21, v26
	v_div_scale_f32 v19, s[6:7], 1.0, v2, 1.0
	v_fmac_f32_e32 v24, v29, v24
	v_fma_f32 v32, -v13, v28, v14
	v_fma_f32 v10, -v11, v27, v12
	v_div_fixup_f32 v1, v9, v1, 1.0
	s_mov_b64 vcc, s[0:1]
	v_pk_add_f32 v[4:5], v[4:5], 1.0 op_sel_hi:[1,0]
	v_mul_f32_e32 v29, v19, v24
	v_fmac_f32_e32 v28, v32, v23
	v_div_fmas_f32 v9, v10, v22, v27
	v_cmp_class_f32_e32 vcc, v1, v8
	v_div_scale_f32 v20, s[12:13], v5, v5, 1.0
	v_fma_f32 v33, -v15, v29, v19
	v_fma_f32 v11, -v13, v28, v14
	v_div_fixup_f32 v0, v9, v0, 1.0
	v_cndmask_b32_e64 v1, v1, 0, vcc
	s_mov_b64 vcc, s[2:3]
	v_rcp_f32_e32 v25, v20
	v_fmac_f32_e32 v29, v33, v24
	v_div_fmas_f32 v9, v11, v23, v28
	v_cmp_class_f32_e32 vcc, v0, v8
	v_fma_f32 v12, -v15, v29, v19
	v_cndmask_b32_e64 v0, v0, 0, vcc
	s_mov_b64 vcc, s[6:7]
	v_div_fixup_f32 v3, v9, v3, 1.0
	v_div_fmas_f32 v9, v12, v24, v29
	v_div_fixup_f32 v2, v9, v2, 1.0
	v_cmp_class_f32_e32 vcc, v3, v8
	v_cndmask_b32_e64 v3, v3, 0, vcc
	v_cmp_class_f32_e32 vcc, v2, v8
	v_fma_f32 v9, -v20, v25, 1.0
	v_cndmask_b32_e64 v2, v2, 0, vcc
	v_fmac_f32_e32 v25, v9, v25
	v_div_scale_f32 v9, vcc, 1.0, v5, 1.0
	v_mul_f32_e32 v10, v9, v25
	v_fma_f32 v11, -v20, v10, v9
	v_fmac_f32_e32 v10, v11, v25
	v_div_scale_f32 v11, s[0:1], v4, v4, 1.0
	v_rcp_f32_e32 v12, v11
	v_fma_f32 v9, -v20, v10, v9
	v_div_fmas_f32 v9, v9, v25, v10
	v_div_fixup_f32 v5, v9, v5, 1.0
	v_fma_f32 v9, -v11, v12, 1.0
	v_fmac_f32_e32 v12, v9, v12
	v_div_scale_f32 v9, vcc, 1.0, v4, 1.0
	v_mul_f32_e32 v10, v9, v12
	v_fma_f32 v13, -v11, v10, v9
	v_fmac_f32_e32 v10, v13, v12
	v_fma_f32 v9, -v11, v10, v9
	v_div_fmas_f32 v9, v9, v12, v10
	v_pk_add_f32 v[6:7], v[6:7], 1.0 op_sel_hi:[1,0]
	v_div_fixup_f32 v4, v9, v4, 1.0
	v_div_scale_f32 v9, s[0:1], v7, v7, 1.0
	v_rcp_f32_e32 v10, v9
	v_cmp_class_f32_e32 vcc, v5, v8
	v_cndmask_b32_e64 v5, v5, 0, vcc
	v_cmp_class_f32_e32 vcc, v4, v8
	v_fma_f32 v11, -v9, v10, 1.0
	v_cndmask_b32_e64 v4, v4, 0, vcc
	v_fmac_f32_e32 v10, v11, v10
	v_div_scale_f32 v11, vcc, 1.0, v7, 1.0
	v_mul_f32_e32 v12, v11, v10
	v_fma_f32 v13, -v9, v12, v11
	v_fmac_f32_e32 v12, v13, v10
	v_fma_f32 v9, -v9, v12, v11
	v_div_scale_f32 v11, s[0:1], v6, v6, 1.0
	v_rcp_f32_e32 v13, v11
	v_div_fmas_f32 v9, v9, v10, v12
	v_div_fixup_f32 v7, v9, v7, 1.0
	v_fma_f32 v9, -v11, v13, 1.0
	v_fmac_f32_e32 v13, v9, v13
	v_div_scale_f32 v9, vcc, 1.0, v6, 1.0
	v_mul_f32_e32 v10, v9, v13
	v_fma_f32 v12, -v11, v10, v9
	v_fmac_f32_e32 v10, v12, v13
	v_fma_f32 v9, -v11, v10, v9
	v_div_fmas_f32 v9, v9, v13, v10
	v_div_fixup_f32 v6, v9, v6, 1.0
	v_cmp_class_f32_e32 vcc, v7, v8
	v_cndmask_b32_e64 v7, v7, 0, vcc
	v_cmp_class_f32_e32 vcc, v6, v8
	v_cndmask_b32_e64 v6, v6, 0, vcc
	s_cbranch_scc1 .LBB341_23
; %bb.4:
	v_lshlrev_b32_e32 v19, 2, v18
	global_load_dwordx4 v[8:11], v19, s[10:11]
	global_load_dwordx4 v[12:15], v19, s[10:11] offset:16
	s_waitcnt vmcnt(1)
	v_pk_add_f32 v[8:9], v[8:9], v[0:1]
	v_pk_add_f32 v[10:11], v[10:11], v[2:3]
	s_waitcnt vmcnt(0)
	v_pk_add_f32 v[12:13], v[12:13], v[4:5]
	v_pk_add_f32 v[14:15], v[14:15], v[6:7]
	s_cbranch_execnz .LBB341_6
.LBB341_5:
	v_pk_mov_b32 v[14:15], v[6:7], v[6:7] op_sel:[0,1]
	v_pk_mov_b32 v[12:13], v[4:5], v[4:5] op_sel:[0,1]
	;; [unrolled: 1-line block ×4, first 2 shown]
.LBB341_6:
	s_load_dwordx4 s[8:11], s[4:5], 0x30
	s_mov_b32 s25, 0
	v_cmp_eq_u32_e64 s[0:1], 0, v17
	s_waitcnt lgkmcnt(0)
	s_bitcmp1_b32 s11, 0
	s_cselect_b64 vcc, -1, 0
	s_cmp_gt_i32 s8, 0
	s_cselect_b64 s[6:7], -1, 0
	s_cmp_lt_i32 s8, 1
	s_cbranch_scc1 .LBB341_24
; %bb.7:
	v_mbcnt_lo_u32_b32 v19, -1, 0
	v_mbcnt_hi_u32_b32 v19, -1, v19
	v_and_b32_e32 v20, 0x7c, v19
	s_load_dwordx4 s[12:15], s[4:5], 0x20
	v_add_u32_e32 v22, 4, v20
	v_xor_b32_e32 v21, 2, v19
	v_cmp_lt_i32_e64 s[2:3], v21, v22
	v_xor_b32_e32 v23, 1, v19
	v_cndmask_b32_e64 v21, v19, v21, s[2:3]
	v_cmp_lt_i32_e64 s[2:3], v23, v22
	v_cndmask_b32_e64 v19, v19, v23, s[2:3]
	v_mul_lo_u32 v20, v16, s8
	v_lshlrev_b32_e32 v21, 2, v21
	v_lshlrev_b32_e32 v22, 2, v19
	v_mov_b32_e32 v19, 0
	v_mov_b32_e32 v23, 0xc61c4000
	;; [unrolled: 1-line block ×3, first 2 shown]
	s_branch .LBB341_10
.LBB341_8:                              ;   in Loop: Header=BB341_10 Depth=1
	s_or_b64 exec, exec, s[4:5]
.LBB341_9:                              ;   in Loop: Header=BB341_10 Depth=1
	s_cmp_eq_u32 s8, s25
	v_add_u32_e32 v24, s24, v24
	s_cbranch_scc1 .LBB341_25
.LBB341_10:                             ; =>This Inner Loop Header: Depth=1
	v_cmp_gt_f32_e64 s[2:3], v9, v8
	v_cndmask_b32_e64 v27, v8, v9, s[2:3]
	v_cndmask_b32_e64 v25, 0, 1, s[2:3]
	v_cndmask_b32_e64 v26, v0, v1, s[2:3]
	v_cmp_gt_f32_e64 s[2:3], v10, v27
	v_cndmask_b32_e64 v27, v27, v10, s[2:3]
	v_cndmask_b32_e64 v25, v25, 2, s[2:3]
	v_cndmask_b32_e64 v26, v26, v2, s[2:3]
	;; [unrolled: 4-line block ×6, first 2 shown]
	v_cmp_gt_f32_e64 s[2:3], v15, v27
	v_cndmask_b32_e64 v25, v25, 7, s[2:3]
	v_cndmask_b32_e64 v27, v27, v15, s[2:3]
	v_or_b32_e32 v25, v18, v25
	v_cndmask_b32_e64 v26, v26, v7, s[2:3]
	s_waitcnt lgkmcnt(0)
	ds_bpermute_b32 v28, v21, v27
	ds_bpermute_b32 v30, v21, v26
	;; [unrolled: 1-line block ×3, first 2 shown]
	s_waitcnt lgkmcnt(0)
	v_cmp_lt_f32_e64 s[20:21], v27, v28
	v_cmp_nlt_f32_e64 s[2:3], v27, v28
	s_and_saveexec_b64 s[22:23], s[2:3]
; %bb.11:                               ;   in Loop: Header=BB341_10 Depth=1
	v_cmp_eq_f32_e64 s[2:3], v27, v28
	v_cmp_lt_i32_e64 s[4:5], v29, v25
	s_and_b64 s[2:3], s[2:3], s[4:5]
	s_andn2_b64 s[4:5], s[20:21], exec
	s_and_b64 s[2:3], s[2:3], exec
	s_or_b64 s[20:21], s[4:5], s[2:3]
; %bb.12:                               ;   in Loop: Header=BB341_10 Depth=1
	s_or_b64 exec, exec, s[22:23]
	s_and_saveexec_b64 s[2:3], s[20:21]
; %bb.13:                               ;   in Loop: Header=BB341_10 Depth=1
	v_mov_b32_e32 v26, v30
	v_mov_b32_e32 v27, v28
	;; [unrolled: 1-line block ×3, first 2 shown]
; %bb.14:                               ;   in Loop: Header=BB341_10 Depth=1
	s_or_b64 exec, exec, s[2:3]
	ds_bpermute_b32 v30, v22, v27
	ds_bpermute_b32 v28, v22, v26
	;; [unrolled: 1-line block ×3, first 2 shown]
	s_waitcnt lgkmcnt(2)
	v_cmp_lt_f32_e64 s[20:21], v27, v30
	v_cmp_nlt_f32_e64 s[2:3], v27, v30
	s_and_saveexec_b64 s[22:23], s[2:3]
	s_cbranch_execnz .LBB341_18
; %bb.15:                               ;   in Loop: Header=BB341_10 Depth=1
	s_or_b64 exec, exec, s[22:23]
	s_and_saveexec_b64 s[2:3], s[20:21]
	s_cbranch_execnz .LBB341_19
.LBB341_16:                             ;   in Loop: Header=BB341_10 Depth=1
	s_or_b64 exec, exec, s[2:3]
	s_and_saveexec_b64 s[20:21], s[0:1]
	s_cbranch_execnz .LBB341_20
.LBB341_17:                             ;   in Loop: Header=BB341_10 Depth=1
	s_or_b64 exec, exec, s[20:21]
	s_add_i32 s25, s25, 1
	s_cmp_ge_i32 s25, s8
	s_cbranch_scc1 .LBB341_9
	s_branch .LBB341_21
.LBB341_18:                             ;   in Loop: Header=BB341_10 Depth=1
	v_cmp_eq_f32_e64 s[2:3], v27, v30
	s_waitcnt lgkmcnt(0)
	v_cmp_lt_i32_e64 s[4:5], v29, v25
	s_and_b64 s[2:3], s[2:3], s[4:5]
	s_andn2_b64 s[4:5], s[20:21], exec
	s_and_b64 s[2:3], s[2:3], exec
	s_or_b64 s[20:21], s[4:5], s[2:3]
	s_or_b64 exec, exec, s[22:23]
	s_and_saveexec_b64 s[2:3], s[20:21]
	s_cbranch_execz .LBB341_16
.LBB341_19:                             ;   in Loop: Header=BB341_10 Depth=1
	s_waitcnt lgkmcnt(0)
	v_mov_b32_e32 v25, v29
	v_mov_b32_e32 v26, v28
	s_or_b64 exec, exec, s[2:3]
	s_and_saveexec_b64 s[20:21], s[0:1]
	s_cbranch_execz .LBB341_17
.LBB341_20:                             ;   in Loop: Header=BB341_10 Depth=1
	s_waitcnt lgkmcnt(1)
	v_add_u32_e32 v28, s25, v20
	s_waitcnt lgkmcnt(0)
	v_ashrrev_i32_e32 v29, 31, v28
	v_cmp_le_i32_e64 s[2:3], s9, v25
	v_cmp_gt_i32_e64 s[4:5], s10, v25
	v_lshlrev_b64 v[28:29], 2, v[28:29]
	s_and_b64 s[4:5], s[2:3], s[4:5]
	v_mov_b32_e32 v27, s17
	v_add_co_u32_e64 v30, s[2:3], s16, v28
	v_addc_co_u32_e64 v31, s[2:3], v27, v29, s[2:3]
	v_subrev_u32_e32 v27, s9, v25
	s_and_b64 s[2:3], s[18:19], s[4:5]
	global_store_dword v[30:31], v26, off
	v_cndmask_b32_e64 v27, 32, v27, s[2:3]
	v_mov_b32_e32 v31, s13
	v_add_co_u32_e64 v30, s[2:3], s12, v28
	v_addc_co_u32_e64 v31, s[2:3], v31, v29, s[2:3]
	global_store_dword v[30:31], v27, off
	v_mov_b32_e32 v27, s15
	v_add_co_u32_e64 v28, s[2:3], s14, v28
	v_add_f32_e32 v26, v19, v26
	v_addc_co_u32_e64 v29, s[2:3], v27, v29, s[2:3]
	v_cndmask_b32_e32 v19, v19, v26, vcc
	global_store_dword v[28:29], v24, off
	s_or_b64 exec, exec, s[20:21]
	s_add_i32 s25, s25, 1
	s_cmp_ge_i32 s25, s8
	s_cbranch_scc1 .LBB341_9
.LBB341_21:                             ;   in Loop: Header=BB341_10 Depth=1
	v_ashrrev_i32_e32 v27, 31, v25
	v_lshrrev_b32_e32 v26, 29, v27
	v_add_u32_e32 v26, v25, v26
	v_ashrrev_i32_e32 v26, 3, v26
	s_waitcnt lgkmcnt(1)
	v_lshrrev_b32_e32 v28, 30, v26
	v_add_u32_e32 v28, v26, v28
	v_and_b32_e32 v28, -4, v28
	v_sub_u32_e32 v28, v26, v28
	v_cmp_eq_u32_e64 s[2:3], v17, v28
	s_and_saveexec_b64 s[4:5], s[2:3]
	s_cbranch_execz .LBB341_8
; %bb.22:                               ;   in Loop: Header=BB341_10 Depth=1
	v_lshrrev_b32_e32 v27, 27, v27
	v_add_u32_e32 v27, v25, v27
	v_lshlrev_b32_e32 v26, 3, v26
	v_ashrrev_i32_e32 v27, 5, v27
	v_sub_u32_e32 v25, v25, v26
	v_lshl_add_u32 v25, v27, 3, v25
	v_cmp_ne_u32_e64 s[2:3], 7, v25
	v_cndmask_b32_e64 v15, v23, v15, s[2:3]
	v_cmp_ne_u32_e64 s[2:3], 6, v25
	v_cndmask_b32_e64 v14, v23, v14, s[2:3]
	;; [unrolled: 2-line block ×8, first 2 shown]
	s_branch .LBB341_8
.LBB341_23:
                                        ; implicit-def: $vgpr8_vgpr9_vgpr10_vgpr11_vgpr12_vgpr13_vgpr14_vgpr15
	s_andn2_b64 vcc, exec, s[8:9]
	s_cbranch_vccz .LBB341_5
	s_branch .LBB341_6
.LBB341_24:
	v_mov_b32_e32 v19, 0
.LBB341_25:
	v_cmp_eq_u32_e64 s[0:1], 0, v17
	s_and_b64 s[0:1], s[0:1], vcc
	s_and_b64 exec, exec, s[0:1]
	s_cbranch_execz .LBB341_34
; %bb.26:
	s_andn2_b64 vcc, exec, s[6:7]
	s_cbranch_vccnz .LBB341_34
; %bb.27:
	v_cmp_lt_f32_e32 vcc, 0, v19
	s_mov_b32 s2, 0
	v_cndmask_b32_e32 v0, 1.0, v19, vcc
	v_mul_lo_u32 v4, v16, s8
	s_cmp_eq_u32 s8, 1
	s_mov_b64 s[0:1], -1
	s_cbranch_scc1 .LBB341_31
; %bb.28:
	s_and_b32 s2, s8, 0x7ffffffe
	v_mov_b32_e32 v1, v0
	v_mov_b32_e32 v5, s17
	s_mov_b32 s3, s2
	v_mov_b32_e32 v2, v4
.LBB341_29:                             ; =>This Inner Loop Header: Depth=1
	v_ashrrev_i32_e32 v3, 31, v2
	v_lshlrev_b64 v[6:7], 2, v[2:3]
	v_add_co_u32_e32 v6, vcc, s16, v6
	v_addc_co_u32_e32 v7, vcc, v5, v7, vcc
	global_load_dwordx2 v[8:9], v[6:7], off
	s_add_i32 s3, s3, -2
	s_cmp_lg_u32 s3, 0
	v_add_u32_e32 v2, 2, v2
	s_waitcnt vmcnt(0)
	v_div_scale_f32 v3, s[0:1], v1, v1, v9
	v_div_scale_f32 v11, s[0:1], v0, v0, v8
	v_rcp_f32_e32 v12, v3
	v_rcp_f32_e32 v13, v11
	v_div_scale_f32 v10, vcc, v9, v1, v9
	v_fma_f32 v15, -v3, v12, 1.0
	v_fma_f32 v16, -v11, v13, 1.0
	v_fmac_f32_e32 v12, v15, v12
	v_div_scale_f32 v14, s[0:1], v8, v0, v8
	v_fmac_f32_e32 v13, v16, v13
	v_mul_f32_e32 v15, v10, v12
	v_mul_f32_e32 v16, v14, v13
	v_fma_f32 v17, -v3, v15, v10
	v_fma_f32 v18, -v11, v16, v14
	v_fmac_f32_e32 v15, v17, v12
	v_fmac_f32_e32 v16, v18, v13
	v_fma_f32 v3, -v3, v15, v10
	v_fma_f32 v10, -v11, v16, v14
	v_div_fmas_f32 v3, v3, v12, v15
	s_mov_b64 vcc, s[0:1]
	v_div_fixup_f32 v9, v3, v1, v9
	v_div_fmas_f32 v3, v10, v13, v16
	v_div_fixup_f32 v8, v3, v0, v8
	global_store_dwordx2 v[6:7], v[8:9], off
	s_cbranch_scc1 .LBB341_29
; %bb.30:
	s_cmp_lg_u32 s2, s8
	s_cselect_b64 s[0:1], -1, 0
.LBB341_31:
	s_and_b64 vcc, exec, s[0:1]
	s_cbranch_vccz .LBB341_34
; %bb.32:
	v_ashrrev_i32_e32 v1, 31, v4
	v_add_co_u32_e32 v2, vcc, s2, v4
	v_addc_co_u32_e32 v3, vcc, 0, v1, vcc
	v_lshlrev_b64 v[2:3], 2, v[2:3]
	v_mov_b32_e32 v1, s17
	v_add_co_u32_e32 v2, vcc, s16, v2
	s_sub_i32 s0, s8, s2
	v_addc_co_u32_e32 v3, vcc, v1, v3, vcc
.LBB341_33:                             ; =>This Inner Loop Header: Depth=1
	global_load_dword v1, v[2:3], off
	s_add_i32 s0, s0, -1
	s_cmp_lg_u32 s0, 0
	s_waitcnt vmcnt(0)
	v_div_scale_f32 v4, s[2:3], v0, v0, v1
	v_rcp_f32_e32 v5, v4
	v_div_scale_f32 v6, vcc, v1, v0, v1
	v_fma_f32 v7, -v4, v5, 1.0
	v_fmac_f32_e32 v5, v7, v5
	v_mul_f32_e32 v7, v6, v5
	v_fma_f32 v8, -v4, v7, v6
	v_fmac_f32_e32 v7, v8, v5
	v_fma_f32 v4, -v4, v7, v6
	v_div_fmas_f32 v4, v4, v5, v7
	v_div_fixup_f32 v1, v4, v0, v1
	global_store_dword v[2:3], v1, off
	v_add_co_u32_e32 v2, vcc, 4, v2
	v_addc_co_u32_e32 v3, vcc, 0, v3, vcc
	s_cbranch_scc1 .LBB341_33
.LBB341_34:
	s_endpgm
	.section	.rodata,"a",@progbits
	.p2align	6, 0x0
	.amdhsa_kernel _ZN4vllm3moe10topkGatingILi8ELi32ELi4ELi16ELi64Ej14__hip_bfloat16LNS0_11ScoringFuncE1EEEvPKT5_PKbPfiPT4_PiiiibPKf
		.amdhsa_group_segment_fixed_size 0
		.amdhsa_private_segment_fixed_size 0
		.amdhsa_kernarg_size 72
		.amdhsa_user_sgpr_count 6
		.amdhsa_user_sgpr_private_segment_buffer 1
		.amdhsa_user_sgpr_dispatch_ptr 0
		.amdhsa_user_sgpr_queue_ptr 0
		.amdhsa_user_sgpr_kernarg_segment_ptr 1
		.amdhsa_user_sgpr_dispatch_id 0
		.amdhsa_user_sgpr_flat_scratch_init 0
		.amdhsa_user_sgpr_kernarg_preload_length 0
		.amdhsa_user_sgpr_kernarg_preload_offset 0
		.amdhsa_user_sgpr_private_segment_size 0
		.amdhsa_uses_dynamic_stack 0
		.amdhsa_system_sgpr_private_segment_wavefront_offset 0
		.amdhsa_system_sgpr_workgroup_id_x 1
		.amdhsa_system_sgpr_workgroup_id_y 0
		.amdhsa_system_sgpr_workgroup_id_z 0
		.amdhsa_system_sgpr_workgroup_info 0
		.amdhsa_system_vgpr_workitem_id 1
		.amdhsa_next_free_vgpr 34
		.amdhsa_next_free_sgpr 26
		.amdhsa_accum_offset 36
		.amdhsa_reserve_vcc 1
		.amdhsa_reserve_flat_scratch 0
		.amdhsa_float_round_mode_32 0
		.amdhsa_float_round_mode_16_64 0
		.amdhsa_float_denorm_mode_32 3
		.amdhsa_float_denorm_mode_16_64 3
		.amdhsa_dx10_clamp 1
		.amdhsa_ieee_mode 1
		.amdhsa_fp16_overflow 0
		.amdhsa_tg_split 0
		.amdhsa_exception_fp_ieee_invalid_op 0
		.amdhsa_exception_fp_denorm_src 0
		.amdhsa_exception_fp_ieee_div_zero 0
		.amdhsa_exception_fp_ieee_overflow 0
		.amdhsa_exception_fp_ieee_underflow 0
		.amdhsa_exception_fp_ieee_inexact 0
		.amdhsa_exception_int_div_zero 0
	.end_amdhsa_kernel
	.section	.text._ZN4vllm3moe10topkGatingILi8ELi32ELi4ELi16ELi64Ej14__hip_bfloat16LNS0_11ScoringFuncE1EEEvPKT5_PKbPfiPT4_PiiiibPKf,"axG",@progbits,_ZN4vllm3moe10topkGatingILi8ELi32ELi4ELi16ELi64Ej14__hip_bfloat16LNS0_11ScoringFuncE1EEEvPKT5_PKbPfiPT4_PiiiibPKf,comdat
.Lfunc_end341:
	.size	_ZN4vllm3moe10topkGatingILi8ELi32ELi4ELi16ELi64Ej14__hip_bfloat16LNS0_11ScoringFuncE1EEEvPKT5_PKbPfiPT4_PiiiibPKf, .Lfunc_end341-_ZN4vllm3moe10topkGatingILi8ELi32ELi4ELi16ELi64Ej14__hip_bfloat16LNS0_11ScoringFuncE1EEEvPKT5_PKbPfiPT4_PiiiibPKf
                                        ; -- End function
	.section	.AMDGPU.csdata,"",@progbits
; Kernel info:
; codeLenInByte = 2716
; NumSgprs: 30
; NumVgprs: 34
; NumAgprs: 0
; TotalNumVgprs: 34
; ScratchSize: 0
; MemoryBound: 0
; FloatMode: 240
; IeeeMode: 1
; LDSByteSize: 0 bytes/workgroup (compile time only)
; SGPRBlocks: 3
; VGPRBlocks: 4
; NumSGPRsForWavesPerEU: 30
; NumVGPRsForWavesPerEU: 34
; AccumOffset: 36
; Occupancy: 8
; WaveLimiterHint : 0
; COMPUTE_PGM_RSRC2:SCRATCH_EN: 0
; COMPUTE_PGM_RSRC2:USER_SGPR: 6
; COMPUTE_PGM_RSRC2:TRAP_HANDLER: 0
; COMPUTE_PGM_RSRC2:TGID_X_EN: 1
; COMPUTE_PGM_RSRC2:TGID_Y_EN: 0
; COMPUTE_PGM_RSRC2:TGID_Z_EN: 0
; COMPUTE_PGM_RSRC2:TIDIG_COMP_CNT: 1
; COMPUTE_PGM_RSRC3_GFX90A:ACCUM_OFFSET: 8
; COMPUTE_PGM_RSRC3_GFX90A:TG_SPLIT: 0
	.section	.text._ZN4vllm3moe10topkGatingILi8ELi32ELi4ELi16ELi32Ej14__hip_bfloat16LNS0_11ScoringFuncE1EEEvPKT5_PKbPfiPT4_PiiiibPKf,"axG",@progbits,_ZN4vllm3moe10topkGatingILi8ELi32ELi4ELi16ELi32Ej14__hip_bfloat16LNS0_11ScoringFuncE1EEEvPKT5_PKbPfiPT4_PiiiibPKf,comdat
	.protected	_ZN4vllm3moe10topkGatingILi8ELi32ELi4ELi16ELi32Ej14__hip_bfloat16LNS0_11ScoringFuncE1EEEvPKT5_PKbPfiPT4_PiiiibPKf ; -- Begin function _ZN4vllm3moe10topkGatingILi8ELi32ELi4ELi16ELi32Ej14__hip_bfloat16LNS0_11ScoringFuncE1EEEvPKT5_PKbPfiPT4_PiiiibPKf
	.globl	_ZN4vllm3moe10topkGatingILi8ELi32ELi4ELi16ELi32Ej14__hip_bfloat16LNS0_11ScoringFuncE1EEEvPKT5_PKbPfiPT4_PiiiibPKf
	.p2align	8
	.type	_ZN4vllm3moe10topkGatingILi8ELi32ELi4ELi16ELi32Ej14__hip_bfloat16LNS0_11ScoringFuncE1EEEvPKT5_PKbPfiPT4_PiiiibPKf,@function
_ZN4vllm3moe10topkGatingILi8ELi32ELi4ELi16ELi32Ej14__hip_bfloat16LNS0_11ScoringFuncE1EEEvPKT5_PKbPfiPT4_PiiiibPKf: ; @_ZN4vllm3moe10topkGatingILi8ELi32ELi4ELi16ELi32Ej14__hip_bfloat16LNS0_11ScoringFuncE1EEEvPKT5_PKbPfiPT4_PiiiibPKf
; %bb.0:
	s_load_dword s24, s[4:5], 0x18
	v_bfe_u32 v1, v0, 10, 10
	v_and_b32_e32 v0, 0x3ff, v0
	s_lshl_b32 s0, s6, 5
	v_lshlrev_b32_e32 v1, 3, v1
	v_lshrrev_b32_e32 v2, 2, v0
	v_add3_u32 v16, s0, v1, v2
	s_waitcnt lgkmcnt(0)
	v_cmp_gt_i32_e32 vcc, s24, v16
	s_and_saveexec_b64 s[0:1], vcc
	s_cbranch_execz .LBB342_34
; %bb.1:
	s_load_dwordx4 s[0:3], s[4:5], 0x0
	s_load_dwordx2 s[16:17], s[4:5], 0x10
	s_mov_b64 s[8:9], -1
	s_mov_b64 s[18:19], -1
	s_waitcnt lgkmcnt(0)
	s_cmp_eq_u64 s[2:3], 0
	s_cbranch_scc1 .LBB342_3
; %bb.2:
	v_ashrrev_i32_e32 v1, 31, v16
	v_mov_b32_e32 v3, s3
	v_add_co_u32_e32 v2, vcc, s2, v16
	v_addc_co_u32_e32 v3, vcc, v3, v1, vcc
	global_load_ubyte v1, v[2:3], off
	s_waitcnt vmcnt(0)
	v_and_b32_e32 v1, 1, v1
	v_cmp_eq_u32_e32 vcc, 1, v1
	s_xor_b64 s[2:3], vcc, -1
	s_orn2_b64 s[18:19], s[2:3], exec
.LBB342_3:
	v_lshlrev_b32_e32 v2, 5, v16
	v_ashrrev_i32_e32 v3, 31, v2
	v_lshlrev_b64 v[2:3], 1, v[2:3]
	v_mov_b32_e32 v1, s1
	v_add_co_u32_e32 v2, vcc, s0, v2
	v_and_b32_e32 v17, 3, v0
	v_addc_co_u32_e32 v1, vcc, v1, v3, vcc
	v_lshlrev_b32_e32 v0, 4, v17
	v_add_co_u32_e32 v0, vcc, v2, v0
	v_addc_co_u32_e32 v1, vcc, 0, v1, vcc
	global_load_dwordx4 v[0:3], v[0:1], off
	v_mov_b32_e32 v8, 0x207
	s_load_dwordx2 s[10:11], s[4:5], 0x40
	v_lshlrev_b32_e32 v18, 3, v17
	s_waitcnt lgkmcnt(0)
	s_cmp_eq_u64 s[10:11], 0
	s_waitcnt vmcnt(0)
	v_lshlrev_b32_e32 v4, 16, v0
	v_and_b32_e32 v0, 0xffff0000, v0
	v_lshlrev_b32_e32 v5, 16, v1
	v_and_b32_e32 v1, 0xffff0000, v1
	v_mul_f32_e32 v4, 0xbfb8aa3b, v4
	v_mul_f32_e32 v9, 0xbfb8aa3b, v0
	;; [unrolled: 1-line block ×3, first 2 shown]
	v_exp_f32_e32 v0, v4
	v_exp_f32_e32 v1, v9
	v_lshlrev_b32_e32 v6, 16, v2
	v_and_b32_e32 v2, 0xffff0000, v2
	v_lshlrev_b32_e32 v7, 16, v3
	v_and_b32_e32 v3, 0xffff0000, v3
	v_mul_f32_e32 v5, 0xbfb8aa3b, v5
	v_mul_f32_e32 v11, 0xbfb8aa3b, v2
	;; [unrolled: 1-line block ×3, first 2 shown]
	v_exp_f32_e32 v2, v5
	v_exp_f32_e32 v3, v10
	v_pk_add_f32 v[0:1], v[0:1], 1.0 op_sel_hi:[1,0]
	v_div_scale_f32 v9, s[0:1], v1, v1, 1.0
	v_rcp_f32_e32 v21, v9
	v_exp_f32_e32 v5, v11
	v_div_scale_f32 v11, s[0:1], v0, v0, 1.0
	v_pk_add_f32 v[2:3], v[2:3], 1.0 op_sel_hi:[1,0]
	v_rcp_f32_e32 v22, v11
	v_div_scale_f32 v13, s[2:3], v3, v3, 1.0
	v_rcp_f32_e32 v23, v13
	v_fma_f32 v26, -v9, v21, 1.0
	v_div_scale_f32 v10, vcc, 1.0, v1, 1.0
	v_div_scale_f32 v15, s[6:7], v2, v2, 1.0
	v_fmac_f32_e32 v21, v26, v21
	v_mul_f32_e32 v6, 0xbfb8aa3b, v6
	v_mul_f32_e32 v7, 0xbfb8aa3b, v7
	v_rcp_f32_e32 v24, v15
	v_fma_f32 v27, -v11, v22, 1.0
	v_mul_f32_e32 v26, v10, v21
	v_exp_f32_e32 v4, v6
	v_exp_f32_e32 v6, v7
	;; [unrolled: 1-line block ×3, first 2 shown]
	v_div_scale_f32 v12, s[0:1], 1.0, v0, 1.0
	v_fmac_f32_e32 v22, v27, v22
	v_fma_f32 v30, -v9, v26, v10
	v_fma_f32 v28, -v13, v23, 1.0
	v_mul_f32_e32 v27, v12, v22
	v_fmac_f32_e32 v26, v30, v21
	v_div_scale_f32 v14, s[2:3], 1.0, v3, 1.0
	v_fmac_f32_e32 v23, v28, v23
	v_fma_f32 v31, -v11, v27, v12
	v_fma_f32 v9, -v9, v26, v10
	v_fma_f32 v29, -v15, v24, 1.0
	v_mul_f32_e32 v28, v14, v23
	v_fmac_f32_e32 v27, v31, v22
	v_div_fmas_f32 v9, v9, v21, v26
	v_div_scale_f32 v19, s[6:7], 1.0, v2, 1.0
	v_fmac_f32_e32 v24, v29, v24
	v_fma_f32 v32, -v13, v28, v14
	v_fma_f32 v10, -v11, v27, v12
	v_div_fixup_f32 v1, v9, v1, 1.0
	s_mov_b64 vcc, s[0:1]
	v_pk_add_f32 v[4:5], v[4:5], 1.0 op_sel_hi:[1,0]
	v_mul_f32_e32 v29, v19, v24
	v_fmac_f32_e32 v28, v32, v23
	v_div_fmas_f32 v9, v10, v22, v27
	v_cmp_class_f32_e32 vcc, v1, v8
	v_div_scale_f32 v20, s[12:13], v5, v5, 1.0
	v_fma_f32 v33, -v15, v29, v19
	v_fma_f32 v11, -v13, v28, v14
	v_div_fixup_f32 v0, v9, v0, 1.0
	v_cndmask_b32_e64 v1, v1, 0, vcc
	s_mov_b64 vcc, s[2:3]
	v_rcp_f32_e32 v25, v20
	v_fmac_f32_e32 v29, v33, v24
	v_div_fmas_f32 v9, v11, v23, v28
	v_cmp_class_f32_e32 vcc, v0, v8
	v_fma_f32 v12, -v15, v29, v19
	v_cndmask_b32_e64 v0, v0, 0, vcc
	s_mov_b64 vcc, s[6:7]
	v_div_fixup_f32 v3, v9, v3, 1.0
	v_div_fmas_f32 v9, v12, v24, v29
	v_div_fixup_f32 v2, v9, v2, 1.0
	v_cmp_class_f32_e32 vcc, v3, v8
	v_cndmask_b32_e64 v3, v3, 0, vcc
	v_cmp_class_f32_e32 vcc, v2, v8
	v_fma_f32 v9, -v20, v25, 1.0
	v_cndmask_b32_e64 v2, v2, 0, vcc
	v_fmac_f32_e32 v25, v9, v25
	v_div_scale_f32 v9, vcc, 1.0, v5, 1.0
	v_mul_f32_e32 v10, v9, v25
	v_fma_f32 v11, -v20, v10, v9
	v_fmac_f32_e32 v10, v11, v25
	v_div_scale_f32 v11, s[0:1], v4, v4, 1.0
	v_rcp_f32_e32 v12, v11
	v_fma_f32 v9, -v20, v10, v9
	v_div_fmas_f32 v9, v9, v25, v10
	v_div_fixup_f32 v5, v9, v5, 1.0
	v_fma_f32 v9, -v11, v12, 1.0
	v_fmac_f32_e32 v12, v9, v12
	v_div_scale_f32 v9, vcc, 1.0, v4, 1.0
	v_mul_f32_e32 v10, v9, v12
	v_fma_f32 v13, -v11, v10, v9
	v_fmac_f32_e32 v10, v13, v12
	v_fma_f32 v9, -v11, v10, v9
	v_div_fmas_f32 v9, v9, v12, v10
	v_pk_add_f32 v[6:7], v[6:7], 1.0 op_sel_hi:[1,0]
	v_div_fixup_f32 v4, v9, v4, 1.0
	v_div_scale_f32 v9, s[0:1], v7, v7, 1.0
	v_rcp_f32_e32 v10, v9
	v_cmp_class_f32_e32 vcc, v5, v8
	v_cndmask_b32_e64 v5, v5, 0, vcc
	v_cmp_class_f32_e32 vcc, v4, v8
	v_fma_f32 v11, -v9, v10, 1.0
	v_cndmask_b32_e64 v4, v4, 0, vcc
	v_fmac_f32_e32 v10, v11, v10
	v_div_scale_f32 v11, vcc, 1.0, v7, 1.0
	v_mul_f32_e32 v12, v11, v10
	v_fma_f32 v13, -v9, v12, v11
	v_fmac_f32_e32 v12, v13, v10
	v_fma_f32 v9, -v9, v12, v11
	v_div_scale_f32 v11, s[0:1], v6, v6, 1.0
	v_rcp_f32_e32 v13, v11
	v_div_fmas_f32 v9, v9, v10, v12
	v_div_fixup_f32 v7, v9, v7, 1.0
	v_fma_f32 v9, -v11, v13, 1.0
	v_fmac_f32_e32 v13, v9, v13
	v_div_scale_f32 v9, vcc, 1.0, v6, 1.0
	v_mul_f32_e32 v10, v9, v13
	v_fma_f32 v12, -v11, v10, v9
	v_fmac_f32_e32 v10, v12, v13
	v_fma_f32 v9, -v11, v10, v9
	v_div_fmas_f32 v9, v9, v13, v10
	v_div_fixup_f32 v6, v9, v6, 1.0
	v_cmp_class_f32_e32 vcc, v7, v8
	v_cndmask_b32_e64 v7, v7, 0, vcc
	v_cmp_class_f32_e32 vcc, v6, v8
	v_cndmask_b32_e64 v6, v6, 0, vcc
	s_cbranch_scc1 .LBB342_23
; %bb.4:
	v_lshlrev_b32_e32 v19, 2, v18
	global_load_dwordx4 v[8:11], v19, s[10:11]
	global_load_dwordx4 v[12:15], v19, s[10:11] offset:16
	s_waitcnt vmcnt(1)
	v_pk_add_f32 v[8:9], v[8:9], v[0:1]
	v_pk_add_f32 v[10:11], v[10:11], v[2:3]
	s_waitcnt vmcnt(0)
	v_pk_add_f32 v[12:13], v[12:13], v[4:5]
	v_pk_add_f32 v[14:15], v[14:15], v[6:7]
	s_cbranch_execnz .LBB342_6
.LBB342_5:
	v_pk_mov_b32 v[14:15], v[6:7], v[6:7] op_sel:[0,1]
	v_pk_mov_b32 v[12:13], v[4:5], v[4:5] op_sel:[0,1]
	;; [unrolled: 1-line block ×4, first 2 shown]
.LBB342_6:
	s_load_dwordx4 s[8:11], s[4:5], 0x30
	s_mov_b32 s25, 0
	v_cmp_eq_u32_e64 s[0:1], 0, v17
	s_waitcnt lgkmcnt(0)
	s_bitcmp1_b32 s11, 0
	s_cselect_b64 vcc, -1, 0
	s_cmp_gt_i32 s8, 0
	s_cselect_b64 s[6:7], -1, 0
	s_cmp_lt_i32 s8, 1
	s_cbranch_scc1 .LBB342_24
; %bb.7:
	v_mbcnt_lo_u32_b32 v19, -1, 0
	v_mbcnt_hi_u32_b32 v19, -1, v19
	v_and_b32_e32 v20, 0x7c, v19
	s_load_dwordx4 s[12:15], s[4:5], 0x20
	v_add_u32_e32 v22, 4, v20
	v_xor_b32_e32 v21, 2, v19
	v_cmp_lt_i32_e64 s[2:3], v21, v22
	v_xor_b32_e32 v23, 1, v19
	v_cndmask_b32_e64 v21, v19, v21, s[2:3]
	v_cmp_lt_i32_e64 s[2:3], v23, v22
	v_cndmask_b32_e64 v19, v19, v23, s[2:3]
	v_mul_lo_u32 v20, v16, s8
	v_lshlrev_b32_e32 v21, 2, v21
	v_lshlrev_b32_e32 v22, 2, v19
	v_mov_b32_e32 v19, 0
	v_mov_b32_e32 v23, 0xc61c4000
	;; [unrolled: 1-line block ×3, first 2 shown]
	s_branch .LBB342_10
.LBB342_8:                              ;   in Loop: Header=BB342_10 Depth=1
	s_or_b64 exec, exec, s[4:5]
.LBB342_9:                              ;   in Loop: Header=BB342_10 Depth=1
	s_cmp_eq_u32 s8, s25
	v_add_u32_e32 v24, s24, v24
	s_cbranch_scc1 .LBB342_25
.LBB342_10:                             ; =>This Inner Loop Header: Depth=1
	v_cmp_gt_f32_e64 s[2:3], v9, v8
	v_cndmask_b32_e64 v27, v8, v9, s[2:3]
	v_cndmask_b32_e64 v25, 0, 1, s[2:3]
	v_cndmask_b32_e64 v26, v0, v1, s[2:3]
	v_cmp_gt_f32_e64 s[2:3], v10, v27
	v_cndmask_b32_e64 v27, v27, v10, s[2:3]
	v_cndmask_b32_e64 v25, v25, 2, s[2:3]
	v_cndmask_b32_e64 v26, v26, v2, s[2:3]
	;; [unrolled: 4-line block ×6, first 2 shown]
	v_cmp_gt_f32_e64 s[2:3], v15, v27
	v_cndmask_b32_e64 v25, v25, 7, s[2:3]
	v_cndmask_b32_e64 v27, v27, v15, s[2:3]
	v_or_b32_e32 v25, v18, v25
	v_cndmask_b32_e64 v26, v26, v7, s[2:3]
	s_waitcnt lgkmcnt(0)
	ds_bpermute_b32 v28, v21, v27
	ds_bpermute_b32 v30, v21, v26
	;; [unrolled: 1-line block ×3, first 2 shown]
	s_waitcnt lgkmcnt(0)
	v_cmp_lt_f32_e64 s[20:21], v27, v28
	v_cmp_nlt_f32_e64 s[2:3], v27, v28
	s_and_saveexec_b64 s[22:23], s[2:3]
; %bb.11:                               ;   in Loop: Header=BB342_10 Depth=1
	v_cmp_eq_f32_e64 s[2:3], v27, v28
	v_cmp_lt_i32_e64 s[4:5], v29, v25
	s_and_b64 s[2:3], s[2:3], s[4:5]
	s_andn2_b64 s[4:5], s[20:21], exec
	s_and_b64 s[2:3], s[2:3], exec
	s_or_b64 s[20:21], s[4:5], s[2:3]
; %bb.12:                               ;   in Loop: Header=BB342_10 Depth=1
	s_or_b64 exec, exec, s[22:23]
	s_and_saveexec_b64 s[2:3], s[20:21]
; %bb.13:                               ;   in Loop: Header=BB342_10 Depth=1
	v_mov_b32_e32 v26, v30
	v_mov_b32_e32 v27, v28
	;; [unrolled: 1-line block ×3, first 2 shown]
; %bb.14:                               ;   in Loop: Header=BB342_10 Depth=1
	s_or_b64 exec, exec, s[2:3]
	ds_bpermute_b32 v30, v22, v27
	ds_bpermute_b32 v28, v22, v26
	;; [unrolled: 1-line block ×3, first 2 shown]
	s_waitcnt lgkmcnt(2)
	v_cmp_lt_f32_e64 s[20:21], v27, v30
	v_cmp_nlt_f32_e64 s[2:3], v27, v30
	s_and_saveexec_b64 s[22:23], s[2:3]
	s_cbranch_execnz .LBB342_18
; %bb.15:                               ;   in Loop: Header=BB342_10 Depth=1
	s_or_b64 exec, exec, s[22:23]
	s_and_saveexec_b64 s[2:3], s[20:21]
	s_cbranch_execnz .LBB342_19
.LBB342_16:                             ;   in Loop: Header=BB342_10 Depth=1
	s_or_b64 exec, exec, s[2:3]
	s_and_saveexec_b64 s[20:21], s[0:1]
	s_cbranch_execnz .LBB342_20
.LBB342_17:                             ;   in Loop: Header=BB342_10 Depth=1
	s_or_b64 exec, exec, s[20:21]
	s_add_i32 s25, s25, 1
	s_cmp_ge_i32 s25, s8
	s_cbranch_scc1 .LBB342_9
	s_branch .LBB342_21
.LBB342_18:                             ;   in Loop: Header=BB342_10 Depth=1
	v_cmp_eq_f32_e64 s[2:3], v27, v30
	s_waitcnt lgkmcnt(0)
	v_cmp_lt_i32_e64 s[4:5], v29, v25
	s_and_b64 s[2:3], s[2:3], s[4:5]
	s_andn2_b64 s[4:5], s[20:21], exec
	s_and_b64 s[2:3], s[2:3], exec
	s_or_b64 s[20:21], s[4:5], s[2:3]
	s_or_b64 exec, exec, s[22:23]
	s_and_saveexec_b64 s[2:3], s[20:21]
	s_cbranch_execz .LBB342_16
.LBB342_19:                             ;   in Loop: Header=BB342_10 Depth=1
	s_waitcnt lgkmcnt(0)
	v_mov_b32_e32 v25, v29
	v_mov_b32_e32 v26, v28
	s_or_b64 exec, exec, s[2:3]
	s_and_saveexec_b64 s[20:21], s[0:1]
	s_cbranch_execz .LBB342_17
.LBB342_20:                             ;   in Loop: Header=BB342_10 Depth=1
	s_waitcnt lgkmcnt(1)
	v_add_u32_e32 v28, s25, v20
	s_waitcnt lgkmcnt(0)
	v_ashrrev_i32_e32 v29, 31, v28
	v_cmp_le_i32_e64 s[2:3], s9, v25
	v_cmp_gt_i32_e64 s[4:5], s10, v25
	v_lshlrev_b64 v[28:29], 2, v[28:29]
	s_and_b64 s[4:5], s[2:3], s[4:5]
	v_mov_b32_e32 v27, s17
	v_add_co_u32_e64 v30, s[2:3], s16, v28
	v_addc_co_u32_e64 v31, s[2:3], v27, v29, s[2:3]
	v_subrev_u32_e32 v27, s9, v25
	s_and_b64 s[2:3], s[18:19], s[4:5]
	global_store_dword v[30:31], v26, off
	v_cndmask_b32_e64 v27, 32, v27, s[2:3]
	v_mov_b32_e32 v31, s13
	v_add_co_u32_e64 v30, s[2:3], s12, v28
	v_addc_co_u32_e64 v31, s[2:3], v31, v29, s[2:3]
	global_store_dword v[30:31], v27, off
	v_mov_b32_e32 v27, s15
	v_add_co_u32_e64 v28, s[2:3], s14, v28
	v_add_f32_e32 v26, v19, v26
	v_addc_co_u32_e64 v29, s[2:3], v27, v29, s[2:3]
	v_cndmask_b32_e32 v19, v19, v26, vcc
	global_store_dword v[28:29], v24, off
	s_or_b64 exec, exec, s[20:21]
	s_add_i32 s25, s25, 1
	s_cmp_ge_i32 s25, s8
	s_cbranch_scc1 .LBB342_9
.LBB342_21:                             ;   in Loop: Header=BB342_10 Depth=1
	v_ashrrev_i32_e32 v27, 31, v25
	v_lshrrev_b32_e32 v26, 29, v27
	v_add_u32_e32 v26, v25, v26
	v_ashrrev_i32_e32 v26, 3, v26
	s_waitcnt lgkmcnt(1)
	v_lshrrev_b32_e32 v28, 30, v26
	v_add_u32_e32 v28, v26, v28
	v_and_b32_e32 v28, -4, v28
	v_sub_u32_e32 v28, v26, v28
	v_cmp_eq_u32_e64 s[2:3], v17, v28
	s_and_saveexec_b64 s[4:5], s[2:3]
	s_cbranch_execz .LBB342_8
; %bb.22:                               ;   in Loop: Header=BB342_10 Depth=1
	v_lshrrev_b32_e32 v27, 27, v27
	v_add_u32_e32 v27, v25, v27
	v_lshlrev_b32_e32 v26, 3, v26
	v_ashrrev_i32_e32 v27, 5, v27
	v_sub_u32_e32 v25, v25, v26
	v_lshl_add_u32 v25, v27, 3, v25
	v_cmp_ne_u32_e64 s[2:3], 7, v25
	v_cndmask_b32_e64 v15, v23, v15, s[2:3]
	v_cmp_ne_u32_e64 s[2:3], 6, v25
	v_cndmask_b32_e64 v14, v23, v14, s[2:3]
	v_cmp_ne_u32_e64 s[2:3], 5, v25
	v_cndmask_b32_e64 v13, v23, v13, s[2:3]
	v_cmp_ne_u32_e64 s[2:3], 4, v25
	v_cndmask_b32_e64 v12, v23, v12, s[2:3]
	v_cmp_ne_u32_e64 s[2:3], 3, v25
	v_cndmask_b32_e64 v11, v23, v11, s[2:3]
	v_cmp_ne_u32_e64 s[2:3], 2, v25
	v_cndmask_b32_e64 v10, v23, v10, s[2:3]
	v_cmp_ne_u32_e64 s[2:3], 1, v25
	v_cndmask_b32_e64 v9, v23, v9, s[2:3]
	v_cmp_ne_u32_e64 s[2:3], 0, v25
	v_cndmask_b32_e64 v8, v23, v8, s[2:3]
	s_branch .LBB342_8
.LBB342_23:
                                        ; implicit-def: $vgpr8_vgpr9_vgpr10_vgpr11_vgpr12_vgpr13_vgpr14_vgpr15
	s_andn2_b64 vcc, exec, s[8:9]
	s_cbranch_vccz .LBB342_5
	s_branch .LBB342_6
.LBB342_24:
	v_mov_b32_e32 v19, 0
.LBB342_25:
	v_cmp_eq_u32_e64 s[0:1], 0, v17
	s_and_b64 s[0:1], s[0:1], vcc
	s_and_b64 exec, exec, s[0:1]
	s_cbranch_execz .LBB342_34
; %bb.26:
	s_andn2_b64 vcc, exec, s[6:7]
	s_cbranch_vccnz .LBB342_34
; %bb.27:
	v_cmp_lt_f32_e32 vcc, 0, v19
	s_mov_b32 s2, 0
	v_cndmask_b32_e32 v0, 1.0, v19, vcc
	v_mul_lo_u32 v4, v16, s8
	s_cmp_eq_u32 s8, 1
	s_mov_b64 s[0:1], -1
	s_cbranch_scc1 .LBB342_31
; %bb.28:
	s_and_b32 s2, s8, 0x7ffffffe
	v_mov_b32_e32 v1, v0
	v_mov_b32_e32 v5, s17
	s_mov_b32 s3, s2
	v_mov_b32_e32 v2, v4
.LBB342_29:                             ; =>This Inner Loop Header: Depth=1
	v_ashrrev_i32_e32 v3, 31, v2
	v_lshlrev_b64 v[6:7], 2, v[2:3]
	v_add_co_u32_e32 v6, vcc, s16, v6
	v_addc_co_u32_e32 v7, vcc, v5, v7, vcc
	global_load_dwordx2 v[8:9], v[6:7], off
	s_add_i32 s3, s3, -2
	s_cmp_lg_u32 s3, 0
	v_add_u32_e32 v2, 2, v2
	s_waitcnt vmcnt(0)
	v_div_scale_f32 v3, s[0:1], v1, v1, v9
	v_div_scale_f32 v11, s[0:1], v0, v0, v8
	v_rcp_f32_e32 v12, v3
	v_rcp_f32_e32 v13, v11
	v_div_scale_f32 v10, vcc, v9, v1, v9
	v_fma_f32 v15, -v3, v12, 1.0
	v_fma_f32 v16, -v11, v13, 1.0
	v_fmac_f32_e32 v12, v15, v12
	v_div_scale_f32 v14, s[0:1], v8, v0, v8
	v_fmac_f32_e32 v13, v16, v13
	v_mul_f32_e32 v15, v10, v12
	v_mul_f32_e32 v16, v14, v13
	v_fma_f32 v17, -v3, v15, v10
	v_fma_f32 v18, -v11, v16, v14
	v_fmac_f32_e32 v15, v17, v12
	v_fmac_f32_e32 v16, v18, v13
	v_fma_f32 v3, -v3, v15, v10
	v_fma_f32 v10, -v11, v16, v14
	v_div_fmas_f32 v3, v3, v12, v15
	s_mov_b64 vcc, s[0:1]
	v_div_fixup_f32 v9, v3, v1, v9
	v_div_fmas_f32 v3, v10, v13, v16
	v_div_fixup_f32 v8, v3, v0, v8
	global_store_dwordx2 v[6:7], v[8:9], off
	s_cbranch_scc1 .LBB342_29
; %bb.30:
	s_cmp_lg_u32 s2, s8
	s_cselect_b64 s[0:1], -1, 0
.LBB342_31:
	s_and_b64 vcc, exec, s[0:1]
	s_cbranch_vccz .LBB342_34
; %bb.32:
	v_ashrrev_i32_e32 v1, 31, v4
	v_add_co_u32_e32 v2, vcc, s2, v4
	v_addc_co_u32_e32 v3, vcc, 0, v1, vcc
	v_lshlrev_b64 v[2:3], 2, v[2:3]
	v_mov_b32_e32 v1, s17
	v_add_co_u32_e32 v2, vcc, s16, v2
	s_sub_i32 s0, s8, s2
	v_addc_co_u32_e32 v3, vcc, v1, v3, vcc
.LBB342_33:                             ; =>This Inner Loop Header: Depth=1
	global_load_dword v1, v[2:3], off
	s_add_i32 s0, s0, -1
	s_cmp_lg_u32 s0, 0
	s_waitcnt vmcnt(0)
	v_div_scale_f32 v4, s[2:3], v0, v0, v1
	v_rcp_f32_e32 v5, v4
	v_div_scale_f32 v6, vcc, v1, v0, v1
	v_fma_f32 v7, -v4, v5, 1.0
	v_fmac_f32_e32 v5, v7, v5
	v_mul_f32_e32 v7, v6, v5
	v_fma_f32 v8, -v4, v7, v6
	v_fmac_f32_e32 v7, v8, v5
	v_fma_f32 v4, -v4, v7, v6
	v_div_fmas_f32 v4, v4, v5, v7
	v_div_fixup_f32 v1, v4, v0, v1
	global_store_dword v[2:3], v1, off
	v_add_co_u32_e32 v2, vcc, 4, v2
	v_addc_co_u32_e32 v3, vcc, 0, v3, vcc
	s_cbranch_scc1 .LBB342_33
.LBB342_34:
	s_endpgm
	.section	.rodata,"a",@progbits
	.p2align	6, 0x0
	.amdhsa_kernel _ZN4vllm3moe10topkGatingILi8ELi32ELi4ELi16ELi32Ej14__hip_bfloat16LNS0_11ScoringFuncE1EEEvPKT5_PKbPfiPT4_PiiiibPKf
		.amdhsa_group_segment_fixed_size 0
		.amdhsa_private_segment_fixed_size 0
		.amdhsa_kernarg_size 72
		.amdhsa_user_sgpr_count 6
		.amdhsa_user_sgpr_private_segment_buffer 1
		.amdhsa_user_sgpr_dispatch_ptr 0
		.amdhsa_user_sgpr_queue_ptr 0
		.amdhsa_user_sgpr_kernarg_segment_ptr 1
		.amdhsa_user_sgpr_dispatch_id 0
		.amdhsa_user_sgpr_flat_scratch_init 0
		.amdhsa_user_sgpr_kernarg_preload_length 0
		.amdhsa_user_sgpr_kernarg_preload_offset 0
		.amdhsa_user_sgpr_private_segment_size 0
		.amdhsa_uses_dynamic_stack 0
		.amdhsa_system_sgpr_private_segment_wavefront_offset 0
		.amdhsa_system_sgpr_workgroup_id_x 1
		.amdhsa_system_sgpr_workgroup_id_y 0
		.amdhsa_system_sgpr_workgroup_id_z 0
		.amdhsa_system_sgpr_workgroup_info 0
		.amdhsa_system_vgpr_workitem_id 1
		.amdhsa_next_free_vgpr 34
		.amdhsa_next_free_sgpr 26
		.amdhsa_accum_offset 36
		.amdhsa_reserve_vcc 1
		.amdhsa_reserve_flat_scratch 0
		.amdhsa_float_round_mode_32 0
		.amdhsa_float_round_mode_16_64 0
		.amdhsa_float_denorm_mode_32 3
		.amdhsa_float_denorm_mode_16_64 3
		.amdhsa_dx10_clamp 1
		.amdhsa_ieee_mode 1
		.amdhsa_fp16_overflow 0
		.amdhsa_tg_split 0
		.amdhsa_exception_fp_ieee_invalid_op 0
		.amdhsa_exception_fp_denorm_src 0
		.amdhsa_exception_fp_ieee_div_zero 0
		.amdhsa_exception_fp_ieee_overflow 0
		.amdhsa_exception_fp_ieee_underflow 0
		.amdhsa_exception_fp_ieee_inexact 0
		.amdhsa_exception_int_div_zero 0
	.end_amdhsa_kernel
	.section	.text._ZN4vllm3moe10topkGatingILi8ELi32ELi4ELi16ELi32Ej14__hip_bfloat16LNS0_11ScoringFuncE1EEEvPKT5_PKbPfiPT4_PiiiibPKf,"axG",@progbits,_ZN4vllm3moe10topkGatingILi8ELi32ELi4ELi16ELi32Ej14__hip_bfloat16LNS0_11ScoringFuncE1EEEvPKT5_PKbPfiPT4_PiiiibPKf,comdat
.Lfunc_end342:
	.size	_ZN4vllm3moe10topkGatingILi8ELi32ELi4ELi16ELi32Ej14__hip_bfloat16LNS0_11ScoringFuncE1EEEvPKT5_PKbPfiPT4_PiiiibPKf, .Lfunc_end342-_ZN4vllm3moe10topkGatingILi8ELi32ELi4ELi16ELi32Ej14__hip_bfloat16LNS0_11ScoringFuncE1EEEvPKT5_PKbPfiPT4_PiiiibPKf
                                        ; -- End function
	.section	.AMDGPU.csdata,"",@progbits
; Kernel info:
; codeLenInByte = 2716
; NumSgprs: 30
; NumVgprs: 34
; NumAgprs: 0
; TotalNumVgprs: 34
; ScratchSize: 0
; MemoryBound: 0
; FloatMode: 240
; IeeeMode: 1
; LDSByteSize: 0 bytes/workgroup (compile time only)
; SGPRBlocks: 3
; VGPRBlocks: 4
; NumSGPRsForWavesPerEU: 30
; NumVGPRsForWavesPerEU: 34
; AccumOffset: 36
; Occupancy: 8
; WaveLimiterHint : 0
; COMPUTE_PGM_RSRC2:SCRATCH_EN: 0
; COMPUTE_PGM_RSRC2:USER_SGPR: 6
; COMPUTE_PGM_RSRC2:TRAP_HANDLER: 0
; COMPUTE_PGM_RSRC2:TGID_X_EN: 1
; COMPUTE_PGM_RSRC2:TGID_Y_EN: 0
; COMPUTE_PGM_RSRC2:TGID_Z_EN: 0
; COMPUTE_PGM_RSRC2:TIDIG_COMP_CNT: 1
; COMPUTE_PGM_RSRC3_GFX90A:ACCUM_OFFSET: 8
; COMPUTE_PGM_RSRC3_GFX90A:TG_SPLIT: 0
	.section	.text._ZN4vllm3moe10topkGatingILi8ELi64ELi4ELi16ELi64Ej14__hip_bfloat16LNS0_11ScoringFuncE1EEEvPKT5_PKbPfiPT4_PiiiibPKf,"axG",@progbits,_ZN4vllm3moe10topkGatingILi8ELi64ELi4ELi16ELi64Ej14__hip_bfloat16LNS0_11ScoringFuncE1EEEvPKT5_PKbPfiPT4_PiiiibPKf,comdat
	.protected	_ZN4vllm3moe10topkGatingILi8ELi64ELi4ELi16ELi64Ej14__hip_bfloat16LNS0_11ScoringFuncE1EEEvPKT5_PKbPfiPT4_PiiiibPKf ; -- Begin function _ZN4vllm3moe10topkGatingILi8ELi64ELi4ELi16ELi64Ej14__hip_bfloat16LNS0_11ScoringFuncE1EEEvPKT5_PKbPfiPT4_PiiiibPKf
	.globl	_ZN4vllm3moe10topkGatingILi8ELi64ELi4ELi16ELi64Ej14__hip_bfloat16LNS0_11ScoringFuncE1EEEvPKT5_PKbPfiPT4_PiiiibPKf
	.p2align	8
	.type	_ZN4vllm3moe10topkGatingILi8ELi64ELi4ELi16ELi64Ej14__hip_bfloat16LNS0_11ScoringFuncE1EEEvPKT5_PKbPfiPT4_PiiiibPKf,@function
_ZN4vllm3moe10topkGatingILi8ELi64ELi4ELi16ELi64Ej14__hip_bfloat16LNS0_11ScoringFuncE1EEEvPKT5_PKbPfiPT4_PiiiibPKf: ; @_ZN4vllm3moe10topkGatingILi8ELi64ELi4ELi16ELi64Ej14__hip_bfloat16LNS0_11ScoringFuncE1EEEvPKT5_PKbPfiPT4_PiiiibPKf
; %bb.0:
	s_load_dword s24, s[4:5], 0x18
	v_bfe_u32 v1, v0, 10, 10
	v_and_b32_e32 v0, 0x3ff, v0
	s_lshl_b32 s0, s6, 5
	v_lshlrev_b32_e32 v1, 3, v1
	v_lshrrev_b32_e32 v2, 3, v0
	v_add3_u32 v16, s0, v1, v2
	s_waitcnt lgkmcnt(0)
	v_cmp_gt_i32_e32 vcc, s24, v16
	s_and_saveexec_b64 s[0:1], vcc
	s_cbranch_execz .LBB343_38
; %bb.1:
	s_load_dwordx4 s[0:3], s[4:5], 0x0
	s_load_dwordx2 s[16:17], s[4:5], 0x10
	s_mov_b64 s[8:9], -1
	s_mov_b64 s[18:19], -1
	s_waitcnt lgkmcnt(0)
	s_cmp_eq_u64 s[2:3], 0
	s_cbranch_scc1 .LBB343_3
; %bb.2:
	v_ashrrev_i32_e32 v1, 31, v16
	v_mov_b32_e32 v3, s3
	v_add_co_u32_e32 v2, vcc, s2, v16
	v_addc_co_u32_e32 v3, vcc, v3, v1, vcc
	global_load_ubyte v1, v[2:3], off
	s_waitcnt vmcnt(0)
	v_and_b32_e32 v1, 1, v1
	v_cmp_eq_u32_e32 vcc, 1, v1
	s_xor_b64 s[2:3], vcc, -1
	s_orn2_b64 s[18:19], s[2:3], exec
.LBB343_3:
	v_lshlrev_b32_e32 v2, 6, v16
	v_ashrrev_i32_e32 v3, 31, v2
	v_lshlrev_b64 v[2:3], 1, v[2:3]
	v_mov_b32_e32 v1, s1
	v_add_co_u32_e32 v2, vcc, s0, v2
	v_and_b32_e32 v17, 7, v0
	v_addc_co_u32_e32 v1, vcc, v1, v3, vcc
	v_lshlrev_b32_e32 v0, 4, v17
	v_add_co_u32_e32 v0, vcc, v2, v0
	v_addc_co_u32_e32 v1, vcc, 0, v1, vcc
	global_load_dwordx4 v[0:3], v[0:1], off
	v_mov_b32_e32 v8, 0x207
	s_load_dwordx2 s[10:11], s[4:5], 0x40
	v_lshlrev_b32_e32 v18, 3, v17
	s_waitcnt lgkmcnt(0)
	s_cmp_eq_u64 s[10:11], 0
	s_waitcnt vmcnt(0)
	v_lshlrev_b32_e32 v4, 16, v0
	v_and_b32_e32 v0, 0xffff0000, v0
	v_lshlrev_b32_e32 v5, 16, v1
	v_and_b32_e32 v1, 0xffff0000, v1
	v_mul_f32_e32 v4, 0xbfb8aa3b, v4
	v_mul_f32_e32 v9, 0xbfb8aa3b, v0
	;; [unrolled: 1-line block ×3, first 2 shown]
	v_exp_f32_e32 v0, v4
	v_exp_f32_e32 v1, v9
	v_lshlrev_b32_e32 v6, 16, v2
	v_and_b32_e32 v2, 0xffff0000, v2
	v_lshlrev_b32_e32 v7, 16, v3
	v_and_b32_e32 v3, 0xffff0000, v3
	v_mul_f32_e32 v5, 0xbfb8aa3b, v5
	v_mul_f32_e32 v11, 0xbfb8aa3b, v2
	;; [unrolled: 1-line block ×3, first 2 shown]
	v_exp_f32_e32 v2, v5
	v_exp_f32_e32 v3, v10
	v_pk_add_f32 v[0:1], v[0:1], 1.0 op_sel_hi:[1,0]
	v_div_scale_f32 v9, s[0:1], v1, v1, 1.0
	v_rcp_f32_e32 v21, v9
	v_exp_f32_e32 v5, v11
	v_div_scale_f32 v11, s[0:1], v0, v0, 1.0
	v_pk_add_f32 v[2:3], v[2:3], 1.0 op_sel_hi:[1,0]
	v_rcp_f32_e32 v22, v11
	v_div_scale_f32 v13, s[2:3], v3, v3, 1.0
	v_rcp_f32_e32 v23, v13
	v_fma_f32 v26, -v9, v21, 1.0
	v_div_scale_f32 v10, vcc, 1.0, v1, 1.0
	v_div_scale_f32 v15, s[6:7], v2, v2, 1.0
	v_fmac_f32_e32 v21, v26, v21
	v_mul_f32_e32 v6, 0xbfb8aa3b, v6
	v_mul_f32_e32 v7, 0xbfb8aa3b, v7
	v_rcp_f32_e32 v24, v15
	v_fma_f32 v27, -v11, v22, 1.0
	v_mul_f32_e32 v26, v10, v21
	v_exp_f32_e32 v4, v6
	v_exp_f32_e32 v6, v7
	;; [unrolled: 1-line block ×3, first 2 shown]
	v_div_scale_f32 v12, s[0:1], 1.0, v0, 1.0
	v_fmac_f32_e32 v22, v27, v22
	v_fma_f32 v30, -v9, v26, v10
	v_fma_f32 v28, -v13, v23, 1.0
	v_mul_f32_e32 v27, v12, v22
	v_fmac_f32_e32 v26, v30, v21
	v_div_scale_f32 v14, s[2:3], 1.0, v3, 1.0
	v_fmac_f32_e32 v23, v28, v23
	v_fma_f32 v31, -v11, v27, v12
	v_fma_f32 v9, -v9, v26, v10
	v_fma_f32 v29, -v15, v24, 1.0
	v_mul_f32_e32 v28, v14, v23
	v_fmac_f32_e32 v27, v31, v22
	v_div_fmas_f32 v9, v9, v21, v26
	v_div_scale_f32 v19, s[6:7], 1.0, v2, 1.0
	v_fmac_f32_e32 v24, v29, v24
	v_fma_f32 v32, -v13, v28, v14
	v_fma_f32 v10, -v11, v27, v12
	v_div_fixup_f32 v1, v9, v1, 1.0
	s_mov_b64 vcc, s[0:1]
	v_pk_add_f32 v[4:5], v[4:5], 1.0 op_sel_hi:[1,0]
	v_mul_f32_e32 v29, v19, v24
	v_fmac_f32_e32 v28, v32, v23
	v_div_fmas_f32 v9, v10, v22, v27
	v_cmp_class_f32_e32 vcc, v1, v8
	v_div_scale_f32 v20, s[12:13], v5, v5, 1.0
	v_fma_f32 v33, -v15, v29, v19
	v_fma_f32 v11, -v13, v28, v14
	v_div_fixup_f32 v0, v9, v0, 1.0
	v_cndmask_b32_e64 v1, v1, 0, vcc
	s_mov_b64 vcc, s[2:3]
	v_rcp_f32_e32 v25, v20
	v_fmac_f32_e32 v29, v33, v24
	v_div_fmas_f32 v9, v11, v23, v28
	v_cmp_class_f32_e32 vcc, v0, v8
	v_fma_f32 v12, -v15, v29, v19
	v_cndmask_b32_e64 v0, v0, 0, vcc
	s_mov_b64 vcc, s[6:7]
	v_div_fixup_f32 v3, v9, v3, 1.0
	v_div_fmas_f32 v9, v12, v24, v29
	v_div_fixup_f32 v2, v9, v2, 1.0
	v_cmp_class_f32_e32 vcc, v3, v8
	v_cndmask_b32_e64 v3, v3, 0, vcc
	v_cmp_class_f32_e32 vcc, v2, v8
	v_fma_f32 v9, -v20, v25, 1.0
	v_cndmask_b32_e64 v2, v2, 0, vcc
	v_fmac_f32_e32 v25, v9, v25
	v_div_scale_f32 v9, vcc, 1.0, v5, 1.0
	v_mul_f32_e32 v10, v9, v25
	v_fma_f32 v11, -v20, v10, v9
	v_fmac_f32_e32 v10, v11, v25
	v_div_scale_f32 v11, s[0:1], v4, v4, 1.0
	v_rcp_f32_e32 v12, v11
	v_fma_f32 v9, -v20, v10, v9
	v_div_fmas_f32 v9, v9, v25, v10
	v_div_fixup_f32 v5, v9, v5, 1.0
	v_fma_f32 v9, -v11, v12, 1.0
	v_fmac_f32_e32 v12, v9, v12
	v_div_scale_f32 v9, vcc, 1.0, v4, 1.0
	v_mul_f32_e32 v10, v9, v12
	v_fma_f32 v13, -v11, v10, v9
	v_fmac_f32_e32 v10, v13, v12
	v_fma_f32 v9, -v11, v10, v9
	v_div_fmas_f32 v9, v9, v12, v10
	v_pk_add_f32 v[6:7], v[6:7], 1.0 op_sel_hi:[1,0]
	v_div_fixup_f32 v4, v9, v4, 1.0
	v_div_scale_f32 v9, s[0:1], v7, v7, 1.0
	v_rcp_f32_e32 v10, v9
	v_cmp_class_f32_e32 vcc, v5, v8
	v_cndmask_b32_e64 v5, v5, 0, vcc
	v_cmp_class_f32_e32 vcc, v4, v8
	v_fma_f32 v11, -v9, v10, 1.0
	v_cndmask_b32_e64 v4, v4, 0, vcc
	v_fmac_f32_e32 v10, v11, v10
	v_div_scale_f32 v11, vcc, 1.0, v7, 1.0
	v_mul_f32_e32 v12, v11, v10
	v_fma_f32 v13, -v9, v12, v11
	v_fmac_f32_e32 v12, v13, v10
	v_fma_f32 v9, -v9, v12, v11
	v_div_scale_f32 v11, s[0:1], v6, v6, 1.0
	v_rcp_f32_e32 v13, v11
	v_div_fmas_f32 v9, v9, v10, v12
	v_div_fixup_f32 v7, v9, v7, 1.0
	v_fma_f32 v9, -v11, v13, 1.0
	v_fmac_f32_e32 v13, v9, v13
	v_div_scale_f32 v9, vcc, 1.0, v6, 1.0
	v_mul_f32_e32 v10, v9, v13
	v_fma_f32 v12, -v11, v10, v9
	v_fmac_f32_e32 v10, v12, v13
	v_fma_f32 v9, -v11, v10, v9
	v_div_fmas_f32 v9, v9, v13, v10
	v_div_fixup_f32 v6, v9, v6, 1.0
	v_cmp_class_f32_e32 vcc, v7, v8
	v_cndmask_b32_e64 v7, v7, 0, vcc
	v_cmp_class_f32_e32 vcc, v6, v8
	v_cndmask_b32_e64 v6, v6, 0, vcc
	s_cbranch_scc1 .LBB343_27
; %bb.4:
	v_lshlrev_b32_e32 v19, 2, v18
	global_load_dwordx4 v[8:11], v19, s[10:11]
	global_load_dwordx4 v[12:15], v19, s[10:11] offset:16
	s_waitcnt vmcnt(1)
	v_pk_add_f32 v[8:9], v[8:9], v[0:1]
	v_pk_add_f32 v[10:11], v[10:11], v[2:3]
	s_waitcnt vmcnt(0)
	v_pk_add_f32 v[12:13], v[12:13], v[4:5]
	v_pk_add_f32 v[14:15], v[14:15], v[6:7]
	s_cbranch_execnz .LBB343_6
.LBB343_5:
	v_pk_mov_b32 v[14:15], v[6:7], v[6:7] op_sel:[0,1]
	v_pk_mov_b32 v[12:13], v[4:5], v[4:5] op_sel:[0,1]
	v_pk_mov_b32 v[10:11], v[2:3], v[2:3] op_sel:[0,1]
	v_pk_mov_b32 v[8:9], v[0:1], v[0:1] op_sel:[0,1]
.LBB343_6:
	s_load_dwordx4 s[8:11], s[4:5], 0x30
	s_mov_b32 s25, 0
	v_cmp_eq_u32_e64 s[0:1], 0, v17
	s_waitcnt lgkmcnt(0)
	s_bitcmp1_b32 s11, 0
	s_cselect_b64 vcc, -1, 0
	s_cmp_gt_i32 s8, 0
	s_cselect_b64 s[6:7], -1, 0
	s_cmp_lt_i32 s8, 1
	s_cbranch_scc1 .LBB343_28
; %bb.7:
	v_mbcnt_lo_u32_b32 v19, -1, 0
	v_mbcnt_hi_u32_b32 v19, -1, v19
	v_and_b32_e32 v20, 0x78, v19
	v_add_u32_e32 v23, 8, v20
	v_xor_b32_e32 v21, 4, v19
	s_load_dwordx4 s[12:15], s[4:5], 0x20
	v_cmp_lt_i32_e64 s[2:3], v21, v23
	v_xor_b32_e32 v22, 2, v19
	v_cndmask_b32_e64 v21, v19, v21, s[2:3]
	v_cmp_lt_i32_e64 s[2:3], v22, v23
	v_xor_b32_e32 v24, 1, v19
	v_cndmask_b32_e64 v22, v19, v22, s[2:3]
	v_cmp_lt_i32_e64 s[2:3], v24, v23
	v_cndmask_b32_e64 v19, v19, v24, s[2:3]
	v_mul_lo_u32 v20, v16, s8
	v_lshlrev_b32_e32 v21, 2, v21
	v_lshlrev_b32_e32 v22, 2, v22
	;; [unrolled: 1-line block ×3, first 2 shown]
	v_mov_b32_e32 v19, 0
	v_mov_b32_e32 v24, 0xc61c4000
	;; [unrolled: 1-line block ×3, first 2 shown]
	s_branch .LBB343_10
.LBB343_8:                              ;   in Loop: Header=BB343_10 Depth=1
	s_or_b64 exec, exec, s[4:5]
.LBB343_9:                              ;   in Loop: Header=BB343_10 Depth=1
	s_cmp_eq_u32 s8, s25
	v_add_u32_e32 v25, s24, v25
	s_cbranch_scc1 .LBB343_29
.LBB343_10:                             ; =>This Inner Loop Header: Depth=1
	v_cmp_gt_f32_e64 s[2:3], v9, v8
	v_cndmask_b32_e64 v28, v8, v9, s[2:3]
	v_cndmask_b32_e64 v26, 0, 1, s[2:3]
	v_cndmask_b32_e64 v27, v0, v1, s[2:3]
	v_cmp_gt_f32_e64 s[2:3], v10, v28
	v_cndmask_b32_e64 v28, v28, v10, s[2:3]
	v_cndmask_b32_e64 v26, v26, 2, s[2:3]
	v_cndmask_b32_e64 v27, v27, v2, s[2:3]
	;; [unrolled: 4-line block ×6, first 2 shown]
	v_cmp_gt_f32_e64 s[2:3], v15, v28
	v_cndmask_b32_e64 v26, v26, 7, s[2:3]
	v_cndmask_b32_e64 v28, v28, v15, s[2:3]
	v_or_b32_e32 v26, v18, v26
	v_cndmask_b32_e64 v27, v27, v7, s[2:3]
	s_waitcnt lgkmcnt(0)
	ds_bpermute_b32 v29, v21, v28
	ds_bpermute_b32 v31, v21, v27
	;; [unrolled: 1-line block ×3, first 2 shown]
	s_waitcnt lgkmcnt(0)
	v_cmp_lt_f32_e64 s[20:21], v28, v29
	v_cmp_nlt_f32_e64 s[2:3], v28, v29
	s_and_saveexec_b64 s[22:23], s[2:3]
; %bb.11:                               ;   in Loop: Header=BB343_10 Depth=1
	v_cmp_eq_f32_e64 s[2:3], v28, v29
	v_cmp_lt_i32_e64 s[4:5], v30, v26
	s_and_b64 s[2:3], s[2:3], s[4:5]
	s_andn2_b64 s[4:5], s[20:21], exec
	s_and_b64 s[2:3], s[2:3], exec
	s_or_b64 s[20:21], s[4:5], s[2:3]
; %bb.12:                               ;   in Loop: Header=BB343_10 Depth=1
	s_or_b64 exec, exec, s[22:23]
	s_and_saveexec_b64 s[2:3], s[20:21]
; %bb.13:                               ;   in Loop: Header=BB343_10 Depth=1
	v_mov_b32_e32 v27, v31
	v_mov_b32_e32 v28, v29
	;; [unrolled: 1-line block ×3, first 2 shown]
; %bb.14:                               ;   in Loop: Header=BB343_10 Depth=1
	s_or_b64 exec, exec, s[2:3]
	ds_bpermute_b32 v29, v22, v28
	ds_bpermute_b32 v31, v22, v27
	;; [unrolled: 1-line block ×3, first 2 shown]
	s_waitcnt lgkmcnt(2)
	v_cmp_lt_f32_e64 s[20:21], v28, v29
	v_cmp_nlt_f32_e64 s[2:3], v28, v29
	s_and_saveexec_b64 s[22:23], s[2:3]
	s_cbranch_execz .LBB343_16
; %bb.15:                               ;   in Loop: Header=BB343_10 Depth=1
	v_cmp_eq_f32_e64 s[2:3], v28, v29
	s_waitcnt lgkmcnt(0)
	v_cmp_lt_i32_e64 s[4:5], v30, v26
	s_and_b64 s[2:3], s[2:3], s[4:5]
	s_andn2_b64 s[4:5], s[20:21], exec
	s_and_b64 s[2:3], s[2:3], exec
	s_or_b64 s[20:21], s[4:5], s[2:3]
.LBB343_16:                             ;   in Loop: Header=BB343_10 Depth=1
	s_or_b64 exec, exec, s[22:23]
	s_and_saveexec_b64 s[2:3], s[20:21]
	s_cbranch_execz .LBB343_18
; %bb.17:                               ;   in Loop: Header=BB343_10 Depth=1
	s_waitcnt lgkmcnt(1)
	v_mov_b32_e32 v27, v31
	v_mov_b32_e32 v28, v29
	s_waitcnt lgkmcnt(0)
	v_mov_b32_e32 v26, v30
.LBB343_18:                             ;   in Loop: Header=BB343_10 Depth=1
	s_or_b64 exec, exec, s[2:3]
	s_waitcnt lgkmcnt(1)
	ds_bpermute_b32 v31, v23, v28
	ds_bpermute_b32 v29, v23, v27
	s_waitcnt lgkmcnt(2)
	ds_bpermute_b32 v30, v23, v26
	s_waitcnt lgkmcnt(2)
	v_cmp_lt_f32_e64 s[20:21], v28, v31
	v_cmp_nlt_f32_e64 s[2:3], v28, v31
	s_and_saveexec_b64 s[22:23], s[2:3]
	s_cbranch_execnz .LBB343_22
; %bb.19:                               ;   in Loop: Header=BB343_10 Depth=1
	s_or_b64 exec, exec, s[22:23]
	s_and_saveexec_b64 s[2:3], s[20:21]
	s_cbranch_execnz .LBB343_23
.LBB343_20:                             ;   in Loop: Header=BB343_10 Depth=1
	s_or_b64 exec, exec, s[2:3]
	s_and_saveexec_b64 s[20:21], s[0:1]
	s_cbranch_execnz .LBB343_24
.LBB343_21:                             ;   in Loop: Header=BB343_10 Depth=1
	s_or_b64 exec, exec, s[20:21]
	s_add_i32 s25, s25, 1
	s_cmp_ge_i32 s25, s8
	s_cbranch_scc1 .LBB343_9
	s_branch .LBB343_25
.LBB343_22:                             ;   in Loop: Header=BB343_10 Depth=1
	v_cmp_eq_f32_e64 s[2:3], v28, v31
	s_waitcnt lgkmcnt(0)
	v_cmp_lt_i32_e64 s[4:5], v30, v26
	s_and_b64 s[2:3], s[2:3], s[4:5]
	s_andn2_b64 s[4:5], s[20:21], exec
	s_and_b64 s[2:3], s[2:3], exec
	s_or_b64 s[20:21], s[4:5], s[2:3]
	s_or_b64 exec, exec, s[22:23]
	s_and_saveexec_b64 s[2:3], s[20:21]
	s_cbranch_execz .LBB343_20
.LBB343_23:                             ;   in Loop: Header=BB343_10 Depth=1
	s_waitcnt lgkmcnt(0)
	v_mov_b32_e32 v26, v30
	v_mov_b32_e32 v27, v29
	s_or_b64 exec, exec, s[2:3]
	s_and_saveexec_b64 s[20:21], s[0:1]
	s_cbranch_execz .LBB343_21
.LBB343_24:                             ;   in Loop: Header=BB343_10 Depth=1
	v_add_u32_e32 v28, s25, v20
	s_waitcnt lgkmcnt(1)
	v_ashrrev_i32_e32 v29, 31, v28
	v_cmp_le_i32_e64 s[2:3], s9, v26
	v_cmp_gt_i32_e64 s[4:5], s10, v26
	v_lshlrev_b64 v[28:29], 2, v[28:29]
	s_and_b64 s[4:5], s[2:3], s[4:5]
	v_mov_b32_e32 v31, s17
	s_waitcnt lgkmcnt(0)
	v_add_co_u32_e64 v30, s[2:3], s16, v28
	v_addc_co_u32_e64 v31, s[2:3], v31, v29, s[2:3]
	global_store_dword v[30:31], v27, off
	v_subrev_u32_e32 v30, s9, v26
	s_and_b64 s[2:3], s[18:19], s[4:5]
	v_cndmask_b32_e64 v32, 64, v30, s[2:3]
	v_mov_b32_e32 v31, s13
	v_add_co_u32_e64 v30, s[2:3], s12, v28
	v_addc_co_u32_e64 v31, s[2:3], v31, v29, s[2:3]
	global_store_dword v[30:31], v32, off
	v_mov_b32_e32 v30, s15
	v_add_co_u32_e64 v28, s[2:3], s14, v28
	v_add_f32_e32 v27, v19, v27
	v_addc_co_u32_e64 v29, s[2:3], v30, v29, s[2:3]
	v_cndmask_b32_e32 v19, v19, v27, vcc
	global_store_dword v[28:29], v25, off
	s_or_b64 exec, exec, s[20:21]
	s_add_i32 s25, s25, 1
	s_cmp_ge_i32 s25, s8
	s_cbranch_scc1 .LBB343_9
.LBB343_25:                             ;   in Loop: Header=BB343_10 Depth=1
	v_ashrrev_i32_e32 v28, 31, v26
	v_lshrrev_b32_e32 v27, 29, v28
	v_add_u32_e32 v27, v26, v27
	v_ashrrev_i32_e32 v27, 3, v27
	s_waitcnt lgkmcnt(1)
	v_lshrrev_b32_e32 v29, 29, v27
	v_add_u32_e32 v29, v27, v29
	v_and_b32_e32 v29, -8, v29
	v_sub_u32_e32 v29, v27, v29
	v_cmp_eq_u32_e64 s[2:3], v17, v29
	s_and_saveexec_b64 s[4:5], s[2:3]
	s_cbranch_execz .LBB343_8
; %bb.26:                               ;   in Loop: Header=BB343_10 Depth=1
	v_lshrrev_b32_e32 v28, 26, v28
	v_add_u32_e32 v28, v26, v28
	v_lshlrev_b32_e32 v27, 3, v27
	v_ashrrev_i32_e32 v28, 6, v28
	v_sub_u32_e32 v26, v26, v27
	v_lshl_add_u32 v26, v28, 3, v26
	v_cmp_ne_u32_e64 s[2:3], 7, v26
	v_cndmask_b32_e64 v15, v24, v15, s[2:3]
	v_cmp_ne_u32_e64 s[2:3], 6, v26
	v_cndmask_b32_e64 v14, v24, v14, s[2:3]
	;; [unrolled: 2-line block ×8, first 2 shown]
	s_branch .LBB343_8
.LBB343_27:
                                        ; implicit-def: $vgpr8_vgpr9_vgpr10_vgpr11_vgpr12_vgpr13_vgpr14_vgpr15
	s_andn2_b64 vcc, exec, s[8:9]
	s_cbranch_vccz .LBB343_5
	s_branch .LBB343_6
.LBB343_28:
	v_mov_b32_e32 v19, 0
.LBB343_29:
	v_cmp_eq_u32_e64 s[0:1], 0, v17
	s_and_b64 s[0:1], s[0:1], vcc
	s_and_b64 exec, exec, s[0:1]
	s_cbranch_execz .LBB343_38
; %bb.30:
	s_andn2_b64 vcc, exec, s[6:7]
	s_cbranch_vccnz .LBB343_38
; %bb.31:
	v_cmp_lt_f32_e32 vcc, 0, v19
	s_mov_b32 s2, 0
	v_cndmask_b32_e32 v0, 1.0, v19, vcc
	v_mul_lo_u32 v4, v16, s8
	s_cmp_eq_u32 s8, 1
	s_mov_b64 s[0:1], -1
	s_cbranch_scc1 .LBB343_35
; %bb.32:
	s_and_b32 s2, s8, 0x7ffffffe
	v_mov_b32_e32 v1, v0
	v_mov_b32_e32 v5, s17
	s_mov_b32 s3, s2
	v_mov_b32_e32 v2, v4
.LBB343_33:                             ; =>This Inner Loop Header: Depth=1
	v_ashrrev_i32_e32 v3, 31, v2
	v_lshlrev_b64 v[6:7], 2, v[2:3]
	v_add_co_u32_e32 v6, vcc, s16, v6
	v_addc_co_u32_e32 v7, vcc, v5, v7, vcc
	global_load_dwordx2 v[8:9], v[6:7], off
	s_add_i32 s3, s3, -2
	s_cmp_lg_u32 s3, 0
	v_add_u32_e32 v2, 2, v2
	s_waitcnt vmcnt(0)
	v_div_scale_f32 v3, s[0:1], v1, v1, v9
	v_div_scale_f32 v11, s[0:1], v0, v0, v8
	v_rcp_f32_e32 v12, v3
	v_rcp_f32_e32 v13, v11
	v_div_scale_f32 v10, vcc, v9, v1, v9
	v_fma_f32 v15, -v3, v12, 1.0
	v_fma_f32 v16, -v11, v13, 1.0
	v_fmac_f32_e32 v12, v15, v12
	v_div_scale_f32 v14, s[0:1], v8, v0, v8
	v_fmac_f32_e32 v13, v16, v13
	v_mul_f32_e32 v15, v10, v12
	v_mul_f32_e32 v16, v14, v13
	v_fma_f32 v17, -v3, v15, v10
	v_fma_f32 v18, -v11, v16, v14
	v_fmac_f32_e32 v15, v17, v12
	v_fmac_f32_e32 v16, v18, v13
	v_fma_f32 v3, -v3, v15, v10
	v_fma_f32 v10, -v11, v16, v14
	v_div_fmas_f32 v3, v3, v12, v15
	s_mov_b64 vcc, s[0:1]
	v_div_fixup_f32 v9, v3, v1, v9
	v_div_fmas_f32 v3, v10, v13, v16
	v_div_fixup_f32 v8, v3, v0, v8
	global_store_dwordx2 v[6:7], v[8:9], off
	s_cbranch_scc1 .LBB343_33
; %bb.34:
	s_cmp_lg_u32 s2, s8
	s_cselect_b64 s[0:1], -1, 0
.LBB343_35:
	s_and_b64 vcc, exec, s[0:1]
	s_cbranch_vccz .LBB343_38
; %bb.36:
	v_ashrrev_i32_e32 v1, 31, v4
	v_add_co_u32_e32 v2, vcc, s2, v4
	v_addc_co_u32_e32 v3, vcc, 0, v1, vcc
	v_lshlrev_b64 v[2:3], 2, v[2:3]
	v_mov_b32_e32 v1, s17
	v_add_co_u32_e32 v2, vcc, s16, v2
	s_sub_i32 s0, s8, s2
	v_addc_co_u32_e32 v3, vcc, v1, v3, vcc
.LBB343_37:                             ; =>This Inner Loop Header: Depth=1
	global_load_dword v1, v[2:3], off
	s_add_i32 s0, s0, -1
	s_cmp_lg_u32 s0, 0
	s_waitcnt vmcnt(0)
	v_div_scale_f32 v4, s[2:3], v0, v0, v1
	v_rcp_f32_e32 v5, v4
	v_div_scale_f32 v6, vcc, v1, v0, v1
	v_fma_f32 v7, -v4, v5, 1.0
	v_fmac_f32_e32 v5, v7, v5
	v_mul_f32_e32 v7, v6, v5
	v_fma_f32 v8, -v4, v7, v6
	v_fmac_f32_e32 v7, v8, v5
	v_fma_f32 v4, -v4, v7, v6
	v_div_fmas_f32 v4, v4, v5, v7
	v_div_fixup_f32 v1, v4, v0, v1
	global_store_dword v[2:3], v1, off
	v_add_co_u32_e32 v2, vcc, 4, v2
	v_addc_co_u32_e32 v3, vcc, 0, v3, vcc
	s_cbranch_scc1 .LBB343_37
.LBB343_38:
	s_endpgm
	.section	.rodata,"a",@progbits
	.p2align	6, 0x0
	.amdhsa_kernel _ZN4vllm3moe10topkGatingILi8ELi64ELi4ELi16ELi64Ej14__hip_bfloat16LNS0_11ScoringFuncE1EEEvPKT5_PKbPfiPT4_PiiiibPKf
		.amdhsa_group_segment_fixed_size 0
		.amdhsa_private_segment_fixed_size 0
		.amdhsa_kernarg_size 72
		.amdhsa_user_sgpr_count 6
		.amdhsa_user_sgpr_private_segment_buffer 1
		.amdhsa_user_sgpr_dispatch_ptr 0
		.amdhsa_user_sgpr_queue_ptr 0
		.amdhsa_user_sgpr_kernarg_segment_ptr 1
		.amdhsa_user_sgpr_dispatch_id 0
		.amdhsa_user_sgpr_flat_scratch_init 0
		.amdhsa_user_sgpr_kernarg_preload_length 0
		.amdhsa_user_sgpr_kernarg_preload_offset 0
		.amdhsa_user_sgpr_private_segment_size 0
		.amdhsa_uses_dynamic_stack 0
		.amdhsa_system_sgpr_private_segment_wavefront_offset 0
		.amdhsa_system_sgpr_workgroup_id_x 1
		.amdhsa_system_sgpr_workgroup_id_y 0
		.amdhsa_system_sgpr_workgroup_id_z 0
		.amdhsa_system_sgpr_workgroup_info 0
		.amdhsa_system_vgpr_workitem_id 1
		.amdhsa_next_free_vgpr 34
		.amdhsa_next_free_sgpr 26
		.amdhsa_accum_offset 36
		.amdhsa_reserve_vcc 1
		.amdhsa_reserve_flat_scratch 0
		.amdhsa_float_round_mode_32 0
		.amdhsa_float_round_mode_16_64 0
		.amdhsa_float_denorm_mode_32 3
		.amdhsa_float_denorm_mode_16_64 3
		.amdhsa_dx10_clamp 1
		.amdhsa_ieee_mode 1
		.amdhsa_fp16_overflow 0
		.amdhsa_tg_split 0
		.amdhsa_exception_fp_ieee_invalid_op 0
		.amdhsa_exception_fp_denorm_src 0
		.amdhsa_exception_fp_ieee_div_zero 0
		.amdhsa_exception_fp_ieee_overflow 0
		.amdhsa_exception_fp_ieee_underflow 0
		.amdhsa_exception_fp_ieee_inexact 0
		.amdhsa_exception_int_div_zero 0
	.end_amdhsa_kernel
	.section	.text._ZN4vllm3moe10topkGatingILi8ELi64ELi4ELi16ELi64Ej14__hip_bfloat16LNS0_11ScoringFuncE1EEEvPKT5_PKbPfiPT4_PiiiibPKf,"axG",@progbits,_ZN4vllm3moe10topkGatingILi8ELi64ELi4ELi16ELi64Ej14__hip_bfloat16LNS0_11ScoringFuncE1EEEvPKT5_PKbPfiPT4_PiiiibPKf,comdat
.Lfunc_end343:
	.size	_ZN4vllm3moe10topkGatingILi8ELi64ELi4ELi16ELi64Ej14__hip_bfloat16LNS0_11ScoringFuncE1EEEvPKT5_PKbPfiPT4_PiiiibPKf, .Lfunc_end343-_ZN4vllm3moe10topkGatingILi8ELi64ELi4ELi16ELi64Ej14__hip_bfloat16LNS0_11ScoringFuncE1EEEvPKT5_PKbPfiPT4_PiiiibPKf
                                        ; -- End function
	.section	.AMDGPU.csdata,"",@progbits
; Kernel info:
; codeLenInByte = 2872
; NumSgprs: 30
; NumVgprs: 34
; NumAgprs: 0
; TotalNumVgprs: 34
; ScratchSize: 0
; MemoryBound: 0
; FloatMode: 240
; IeeeMode: 1
; LDSByteSize: 0 bytes/workgroup (compile time only)
; SGPRBlocks: 3
; VGPRBlocks: 4
; NumSGPRsForWavesPerEU: 30
; NumVGPRsForWavesPerEU: 34
; AccumOffset: 36
; Occupancy: 8
; WaveLimiterHint : 0
; COMPUTE_PGM_RSRC2:SCRATCH_EN: 0
; COMPUTE_PGM_RSRC2:USER_SGPR: 6
; COMPUTE_PGM_RSRC2:TRAP_HANDLER: 0
; COMPUTE_PGM_RSRC2:TGID_X_EN: 1
; COMPUTE_PGM_RSRC2:TGID_Y_EN: 0
; COMPUTE_PGM_RSRC2:TGID_Z_EN: 0
; COMPUTE_PGM_RSRC2:TIDIG_COMP_CNT: 1
; COMPUTE_PGM_RSRC3_GFX90A:ACCUM_OFFSET: 8
; COMPUTE_PGM_RSRC3_GFX90A:TG_SPLIT: 0
	.section	.text._ZN4vllm3moe10topkGatingILi8ELi64ELi4ELi16ELi32Ej14__hip_bfloat16LNS0_11ScoringFuncE1EEEvPKT5_PKbPfiPT4_PiiiibPKf,"axG",@progbits,_ZN4vllm3moe10topkGatingILi8ELi64ELi4ELi16ELi32Ej14__hip_bfloat16LNS0_11ScoringFuncE1EEEvPKT5_PKbPfiPT4_PiiiibPKf,comdat
	.protected	_ZN4vllm3moe10topkGatingILi8ELi64ELi4ELi16ELi32Ej14__hip_bfloat16LNS0_11ScoringFuncE1EEEvPKT5_PKbPfiPT4_PiiiibPKf ; -- Begin function _ZN4vllm3moe10topkGatingILi8ELi64ELi4ELi16ELi32Ej14__hip_bfloat16LNS0_11ScoringFuncE1EEEvPKT5_PKbPfiPT4_PiiiibPKf
	.globl	_ZN4vllm3moe10topkGatingILi8ELi64ELi4ELi16ELi32Ej14__hip_bfloat16LNS0_11ScoringFuncE1EEEvPKT5_PKbPfiPT4_PiiiibPKf
	.p2align	8
	.type	_ZN4vllm3moe10topkGatingILi8ELi64ELi4ELi16ELi32Ej14__hip_bfloat16LNS0_11ScoringFuncE1EEEvPKT5_PKbPfiPT4_PiiiibPKf,@function
_ZN4vllm3moe10topkGatingILi8ELi64ELi4ELi16ELi32Ej14__hip_bfloat16LNS0_11ScoringFuncE1EEEvPKT5_PKbPfiPT4_PiiiibPKf: ; @_ZN4vllm3moe10topkGatingILi8ELi64ELi4ELi16ELi32Ej14__hip_bfloat16LNS0_11ScoringFuncE1EEEvPKT5_PKbPfiPT4_PiiiibPKf
; %bb.0:
	s_load_dword s24, s[4:5], 0x18
	v_bfe_u32 v1, v0, 10, 10
	v_and_b32_e32 v0, 0x3ff, v0
	s_lshl_b32 s0, s6, 4
	v_lshlrev_b32_e32 v1, 2, v1
	v_lshrrev_b32_e32 v2, 3, v0
	v_add3_u32 v16, s0, v1, v2
	s_waitcnt lgkmcnt(0)
	v_cmp_gt_i32_e32 vcc, s24, v16
	s_and_saveexec_b64 s[0:1], vcc
	s_cbranch_execz .LBB344_38
; %bb.1:
	s_load_dwordx4 s[0:3], s[4:5], 0x0
	s_load_dwordx2 s[16:17], s[4:5], 0x10
	s_mov_b64 s[8:9], -1
	s_mov_b64 s[18:19], -1
	s_waitcnt lgkmcnt(0)
	s_cmp_eq_u64 s[2:3], 0
	s_cbranch_scc1 .LBB344_3
; %bb.2:
	v_ashrrev_i32_e32 v1, 31, v16
	v_mov_b32_e32 v3, s3
	v_add_co_u32_e32 v2, vcc, s2, v16
	v_addc_co_u32_e32 v3, vcc, v3, v1, vcc
	global_load_ubyte v1, v[2:3], off
	s_waitcnt vmcnt(0)
	v_and_b32_e32 v1, 1, v1
	v_cmp_eq_u32_e32 vcc, 1, v1
	s_xor_b64 s[2:3], vcc, -1
	s_orn2_b64 s[18:19], s[2:3], exec
.LBB344_3:
	v_lshlrev_b32_e32 v2, 6, v16
	v_ashrrev_i32_e32 v3, 31, v2
	v_lshlrev_b64 v[2:3], 1, v[2:3]
	v_mov_b32_e32 v1, s1
	v_add_co_u32_e32 v2, vcc, s0, v2
	v_and_b32_e32 v17, 7, v0
	v_addc_co_u32_e32 v1, vcc, v1, v3, vcc
	v_lshlrev_b32_e32 v0, 4, v17
	v_add_co_u32_e32 v0, vcc, v2, v0
	v_addc_co_u32_e32 v1, vcc, 0, v1, vcc
	global_load_dwordx4 v[0:3], v[0:1], off
	v_mov_b32_e32 v8, 0x207
	s_load_dwordx2 s[10:11], s[4:5], 0x40
	v_lshlrev_b32_e32 v18, 3, v17
	s_waitcnt lgkmcnt(0)
	s_cmp_eq_u64 s[10:11], 0
	s_waitcnt vmcnt(0)
	v_lshlrev_b32_e32 v4, 16, v0
	v_and_b32_e32 v0, 0xffff0000, v0
	v_lshlrev_b32_e32 v5, 16, v1
	v_and_b32_e32 v1, 0xffff0000, v1
	v_mul_f32_e32 v4, 0xbfb8aa3b, v4
	v_mul_f32_e32 v9, 0xbfb8aa3b, v0
	;; [unrolled: 1-line block ×3, first 2 shown]
	v_exp_f32_e32 v0, v4
	v_exp_f32_e32 v1, v9
	v_lshlrev_b32_e32 v6, 16, v2
	v_and_b32_e32 v2, 0xffff0000, v2
	v_lshlrev_b32_e32 v7, 16, v3
	v_and_b32_e32 v3, 0xffff0000, v3
	v_mul_f32_e32 v5, 0xbfb8aa3b, v5
	v_mul_f32_e32 v11, 0xbfb8aa3b, v2
	;; [unrolled: 1-line block ×3, first 2 shown]
	v_exp_f32_e32 v2, v5
	v_exp_f32_e32 v3, v10
	v_pk_add_f32 v[0:1], v[0:1], 1.0 op_sel_hi:[1,0]
	v_div_scale_f32 v9, s[0:1], v1, v1, 1.0
	v_rcp_f32_e32 v21, v9
	v_exp_f32_e32 v5, v11
	v_div_scale_f32 v11, s[0:1], v0, v0, 1.0
	v_pk_add_f32 v[2:3], v[2:3], 1.0 op_sel_hi:[1,0]
	v_rcp_f32_e32 v22, v11
	v_div_scale_f32 v13, s[2:3], v3, v3, 1.0
	v_rcp_f32_e32 v23, v13
	v_fma_f32 v26, -v9, v21, 1.0
	v_div_scale_f32 v10, vcc, 1.0, v1, 1.0
	v_div_scale_f32 v15, s[6:7], v2, v2, 1.0
	v_fmac_f32_e32 v21, v26, v21
	v_mul_f32_e32 v6, 0xbfb8aa3b, v6
	v_mul_f32_e32 v7, 0xbfb8aa3b, v7
	v_rcp_f32_e32 v24, v15
	v_fma_f32 v27, -v11, v22, 1.0
	v_mul_f32_e32 v26, v10, v21
	v_exp_f32_e32 v4, v6
	v_exp_f32_e32 v6, v7
	;; [unrolled: 1-line block ×3, first 2 shown]
	v_div_scale_f32 v12, s[0:1], 1.0, v0, 1.0
	v_fmac_f32_e32 v22, v27, v22
	v_fma_f32 v30, -v9, v26, v10
	v_fma_f32 v28, -v13, v23, 1.0
	v_mul_f32_e32 v27, v12, v22
	v_fmac_f32_e32 v26, v30, v21
	v_div_scale_f32 v14, s[2:3], 1.0, v3, 1.0
	v_fmac_f32_e32 v23, v28, v23
	v_fma_f32 v31, -v11, v27, v12
	v_fma_f32 v9, -v9, v26, v10
	v_fma_f32 v29, -v15, v24, 1.0
	v_mul_f32_e32 v28, v14, v23
	v_fmac_f32_e32 v27, v31, v22
	v_div_fmas_f32 v9, v9, v21, v26
	v_div_scale_f32 v19, s[6:7], 1.0, v2, 1.0
	v_fmac_f32_e32 v24, v29, v24
	v_fma_f32 v32, -v13, v28, v14
	v_fma_f32 v10, -v11, v27, v12
	v_div_fixup_f32 v1, v9, v1, 1.0
	s_mov_b64 vcc, s[0:1]
	v_pk_add_f32 v[4:5], v[4:5], 1.0 op_sel_hi:[1,0]
	v_mul_f32_e32 v29, v19, v24
	v_fmac_f32_e32 v28, v32, v23
	v_div_fmas_f32 v9, v10, v22, v27
	v_cmp_class_f32_e32 vcc, v1, v8
	v_div_scale_f32 v20, s[12:13], v5, v5, 1.0
	v_fma_f32 v33, -v15, v29, v19
	v_fma_f32 v11, -v13, v28, v14
	v_div_fixup_f32 v0, v9, v0, 1.0
	v_cndmask_b32_e64 v1, v1, 0, vcc
	s_mov_b64 vcc, s[2:3]
	v_rcp_f32_e32 v25, v20
	v_fmac_f32_e32 v29, v33, v24
	v_div_fmas_f32 v9, v11, v23, v28
	v_cmp_class_f32_e32 vcc, v0, v8
	v_fma_f32 v12, -v15, v29, v19
	v_cndmask_b32_e64 v0, v0, 0, vcc
	s_mov_b64 vcc, s[6:7]
	v_div_fixup_f32 v3, v9, v3, 1.0
	v_div_fmas_f32 v9, v12, v24, v29
	v_div_fixup_f32 v2, v9, v2, 1.0
	v_cmp_class_f32_e32 vcc, v3, v8
	v_cndmask_b32_e64 v3, v3, 0, vcc
	v_cmp_class_f32_e32 vcc, v2, v8
	v_fma_f32 v9, -v20, v25, 1.0
	v_cndmask_b32_e64 v2, v2, 0, vcc
	v_fmac_f32_e32 v25, v9, v25
	v_div_scale_f32 v9, vcc, 1.0, v5, 1.0
	v_mul_f32_e32 v10, v9, v25
	v_fma_f32 v11, -v20, v10, v9
	v_fmac_f32_e32 v10, v11, v25
	v_div_scale_f32 v11, s[0:1], v4, v4, 1.0
	v_rcp_f32_e32 v12, v11
	v_fma_f32 v9, -v20, v10, v9
	v_div_fmas_f32 v9, v9, v25, v10
	v_div_fixup_f32 v5, v9, v5, 1.0
	v_fma_f32 v9, -v11, v12, 1.0
	v_fmac_f32_e32 v12, v9, v12
	v_div_scale_f32 v9, vcc, 1.0, v4, 1.0
	v_mul_f32_e32 v10, v9, v12
	v_fma_f32 v13, -v11, v10, v9
	v_fmac_f32_e32 v10, v13, v12
	v_fma_f32 v9, -v11, v10, v9
	v_div_fmas_f32 v9, v9, v12, v10
	v_pk_add_f32 v[6:7], v[6:7], 1.0 op_sel_hi:[1,0]
	v_div_fixup_f32 v4, v9, v4, 1.0
	v_div_scale_f32 v9, s[0:1], v7, v7, 1.0
	v_rcp_f32_e32 v10, v9
	v_cmp_class_f32_e32 vcc, v5, v8
	v_cndmask_b32_e64 v5, v5, 0, vcc
	v_cmp_class_f32_e32 vcc, v4, v8
	v_fma_f32 v11, -v9, v10, 1.0
	v_cndmask_b32_e64 v4, v4, 0, vcc
	v_fmac_f32_e32 v10, v11, v10
	v_div_scale_f32 v11, vcc, 1.0, v7, 1.0
	v_mul_f32_e32 v12, v11, v10
	v_fma_f32 v13, -v9, v12, v11
	v_fmac_f32_e32 v12, v13, v10
	v_fma_f32 v9, -v9, v12, v11
	v_div_scale_f32 v11, s[0:1], v6, v6, 1.0
	v_rcp_f32_e32 v13, v11
	v_div_fmas_f32 v9, v9, v10, v12
	v_div_fixup_f32 v7, v9, v7, 1.0
	v_fma_f32 v9, -v11, v13, 1.0
	v_fmac_f32_e32 v13, v9, v13
	v_div_scale_f32 v9, vcc, 1.0, v6, 1.0
	v_mul_f32_e32 v10, v9, v13
	v_fma_f32 v12, -v11, v10, v9
	v_fmac_f32_e32 v10, v12, v13
	v_fma_f32 v9, -v11, v10, v9
	v_div_fmas_f32 v9, v9, v13, v10
	v_div_fixup_f32 v6, v9, v6, 1.0
	v_cmp_class_f32_e32 vcc, v7, v8
	v_cndmask_b32_e64 v7, v7, 0, vcc
	v_cmp_class_f32_e32 vcc, v6, v8
	v_cndmask_b32_e64 v6, v6, 0, vcc
	s_cbranch_scc1 .LBB344_27
; %bb.4:
	v_lshlrev_b32_e32 v19, 2, v18
	global_load_dwordx4 v[8:11], v19, s[10:11]
	global_load_dwordx4 v[12:15], v19, s[10:11] offset:16
	s_waitcnt vmcnt(1)
	v_pk_add_f32 v[8:9], v[8:9], v[0:1]
	v_pk_add_f32 v[10:11], v[10:11], v[2:3]
	s_waitcnt vmcnt(0)
	v_pk_add_f32 v[12:13], v[12:13], v[4:5]
	v_pk_add_f32 v[14:15], v[14:15], v[6:7]
	s_cbranch_execnz .LBB344_6
.LBB344_5:
	v_pk_mov_b32 v[14:15], v[6:7], v[6:7] op_sel:[0,1]
	v_pk_mov_b32 v[12:13], v[4:5], v[4:5] op_sel:[0,1]
	;; [unrolled: 1-line block ×4, first 2 shown]
.LBB344_6:
	s_load_dwordx4 s[8:11], s[4:5], 0x30
	s_mov_b32 s25, 0
	v_cmp_eq_u32_e64 s[0:1], 0, v17
	s_waitcnt lgkmcnt(0)
	s_bitcmp1_b32 s11, 0
	s_cselect_b64 vcc, -1, 0
	s_cmp_gt_i32 s8, 0
	s_cselect_b64 s[6:7], -1, 0
	s_cmp_lt_i32 s8, 1
	s_cbranch_scc1 .LBB344_28
; %bb.7:
	v_mbcnt_lo_u32_b32 v19, -1, 0
	v_mbcnt_hi_u32_b32 v19, -1, v19
	v_and_b32_e32 v20, 0x78, v19
	v_add_u32_e32 v23, 8, v20
	v_xor_b32_e32 v21, 4, v19
	s_load_dwordx4 s[12:15], s[4:5], 0x20
	v_cmp_lt_i32_e64 s[2:3], v21, v23
	v_xor_b32_e32 v22, 2, v19
	v_cndmask_b32_e64 v21, v19, v21, s[2:3]
	v_cmp_lt_i32_e64 s[2:3], v22, v23
	v_xor_b32_e32 v24, 1, v19
	v_cndmask_b32_e64 v22, v19, v22, s[2:3]
	v_cmp_lt_i32_e64 s[2:3], v24, v23
	v_cndmask_b32_e64 v19, v19, v24, s[2:3]
	v_mul_lo_u32 v20, v16, s8
	v_lshlrev_b32_e32 v21, 2, v21
	v_lshlrev_b32_e32 v22, 2, v22
	;; [unrolled: 1-line block ×3, first 2 shown]
	v_mov_b32_e32 v19, 0
	v_mov_b32_e32 v24, 0xc61c4000
	;; [unrolled: 1-line block ×3, first 2 shown]
	s_branch .LBB344_10
.LBB344_8:                              ;   in Loop: Header=BB344_10 Depth=1
	s_or_b64 exec, exec, s[4:5]
.LBB344_9:                              ;   in Loop: Header=BB344_10 Depth=1
	s_cmp_eq_u32 s8, s25
	v_add_u32_e32 v25, s24, v25
	s_cbranch_scc1 .LBB344_29
.LBB344_10:                             ; =>This Inner Loop Header: Depth=1
	v_cmp_gt_f32_e64 s[2:3], v9, v8
	v_cndmask_b32_e64 v28, v8, v9, s[2:3]
	v_cndmask_b32_e64 v26, 0, 1, s[2:3]
	v_cndmask_b32_e64 v27, v0, v1, s[2:3]
	v_cmp_gt_f32_e64 s[2:3], v10, v28
	v_cndmask_b32_e64 v28, v28, v10, s[2:3]
	v_cndmask_b32_e64 v26, v26, 2, s[2:3]
	v_cndmask_b32_e64 v27, v27, v2, s[2:3]
	;; [unrolled: 4-line block ×6, first 2 shown]
	v_cmp_gt_f32_e64 s[2:3], v15, v28
	v_cndmask_b32_e64 v26, v26, 7, s[2:3]
	v_cndmask_b32_e64 v28, v28, v15, s[2:3]
	v_or_b32_e32 v26, v18, v26
	v_cndmask_b32_e64 v27, v27, v7, s[2:3]
	s_waitcnt lgkmcnt(0)
	ds_bpermute_b32 v29, v21, v28
	ds_bpermute_b32 v31, v21, v27
	;; [unrolled: 1-line block ×3, first 2 shown]
	s_waitcnt lgkmcnt(0)
	v_cmp_lt_f32_e64 s[20:21], v28, v29
	v_cmp_nlt_f32_e64 s[2:3], v28, v29
	s_and_saveexec_b64 s[22:23], s[2:3]
; %bb.11:                               ;   in Loop: Header=BB344_10 Depth=1
	v_cmp_eq_f32_e64 s[2:3], v28, v29
	v_cmp_lt_i32_e64 s[4:5], v30, v26
	s_and_b64 s[2:3], s[2:3], s[4:5]
	s_andn2_b64 s[4:5], s[20:21], exec
	s_and_b64 s[2:3], s[2:3], exec
	s_or_b64 s[20:21], s[4:5], s[2:3]
; %bb.12:                               ;   in Loop: Header=BB344_10 Depth=1
	s_or_b64 exec, exec, s[22:23]
	s_and_saveexec_b64 s[2:3], s[20:21]
; %bb.13:                               ;   in Loop: Header=BB344_10 Depth=1
	v_mov_b32_e32 v27, v31
	v_mov_b32_e32 v28, v29
	;; [unrolled: 1-line block ×3, first 2 shown]
; %bb.14:                               ;   in Loop: Header=BB344_10 Depth=1
	s_or_b64 exec, exec, s[2:3]
	ds_bpermute_b32 v29, v22, v28
	ds_bpermute_b32 v31, v22, v27
	;; [unrolled: 1-line block ×3, first 2 shown]
	s_waitcnt lgkmcnt(2)
	v_cmp_lt_f32_e64 s[20:21], v28, v29
	v_cmp_nlt_f32_e64 s[2:3], v28, v29
	s_and_saveexec_b64 s[22:23], s[2:3]
	s_cbranch_execz .LBB344_16
; %bb.15:                               ;   in Loop: Header=BB344_10 Depth=1
	v_cmp_eq_f32_e64 s[2:3], v28, v29
	s_waitcnt lgkmcnt(0)
	v_cmp_lt_i32_e64 s[4:5], v30, v26
	s_and_b64 s[2:3], s[2:3], s[4:5]
	s_andn2_b64 s[4:5], s[20:21], exec
	s_and_b64 s[2:3], s[2:3], exec
	s_or_b64 s[20:21], s[4:5], s[2:3]
.LBB344_16:                             ;   in Loop: Header=BB344_10 Depth=1
	s_or_b64 exec, exec, s[22:23]
	s_and_saveexec_b64 s[2:3], s[20:21]
	s_cbranch_execz .LBB344_18
; %bb.17:                               ;   in Loop: Header=BB344_10 Depth=1
	s_waitcnt lgkmcnt(1)
	v_mov_b32_e32 v27, v31
	v_mov_b32_e32 v28, v29
	s_waitcnt lgkmcnt(0)
	v_mov_b32_e32 v26, v30
.LBB344_18:                             ;   in Loop: Header=BB344_10 Depth=1
	s_or_b64 exec, exec, s[2:3]
	s_waitcnt lgkmcnt(1)
	ds_bpermute_b32 v31, v23, v28
	ds_bpermute_b32 v29, v23, v27
	s_waitcnt lgkmcnt(2)
	ds_bpermute_b32 v30, v23, v26
	s_waitcnt lgkmcnt(2)
	v_cmp_lt_f32_e64 s[20:21], v28, v31
	v_cmp_nlt_f32_e64 s[2:3], v28, v31
	s_and_saveexec_b64 s[22:23], s[2:3]
	s_cbranch_execnz .LBB344_22
; %bb.19:                               ;   in Loop: Header=BB344_10 Depth=1
	s_or_b64 exec, exec, s[22:23]
	s_and_saveexec_b64 s[2:3], s[20:21]
	s_cbranch_execnz .LBB344_23
.LBB344_20:                             ;   in Loop: Header=BB344_10 Depth=1
	s_or_b64 exec, exec, s[2:3]
	s_and_saveexec_b64 s[20:21], s[0:1]
	s_cbranch_execnz .LBB344_24
.LBB344_21:                             ;   in Loop: Header=BB344_10 Depth=1
	s_or_b64 exec, exec, s[20:21]
	s_add_i32 s25, s25, 1
	s_cmp_ge_i32 s25, s8
	s_cbranch_scc1 .LBB344_9
	s_branch .LBB344_25
.LBB344_22:                             ;   in Loop: Header=BB344_10 Depth=1
	v_cmp_eq_f32_e64 s[2:3], v28, v31
	s_waitcnt lgkmcnt(0)
	v_cmp_lt_i32_e64 s[4:5], v30, v26
	s_and_b64 s[2:3], s[2:3], s[4:5]
	s_andn2_b64 s[4:5], s[20:21], exec
	s_and_b64 s[2:3], s[2:3], exec
	s_or_b64 s[20:21], s[4:5], s[2:3]
	s_or_b64 exec, exec, s[22:23]
	s_and_saveexec_b64 s[2:3], s[20:21]
	s_cbranch_execz .LBB344_20
.LBB344_23:                             ;   in Loop: Header=BB344_10 Depth=1
	s_waitcnt lgkmcnt(0)
	v_mov_b32_e32 v26, v30
	v_mov_b32_e32 v27, v29
	s_or_b64 exec, exec, s[2:3]
	s_and_saveexec_b64 s[20:21], s[0:1]
	s_cbranch_execz .LBB344_21
.LBB344_24:                             ;   in Loop: Header=BB344_10 Depth=1
	v_add_u32_e32 v28, s25, v20
	s_waitcnt lgkmcnt(1)
	v_ashrrev_i32_e32 v29, 31, v28
	v_cmp_le_i32_e64 s[2:3], s9, v26
	v_cmp_gt_i32_e64 s[4:5], s10, v26
	v_lshlrev_b64 v[28:29], 2, v[28:29]
	s_and_b64 s[4:5], s[2:3], s[4:5]
	v_mov_b32_e32 v31, s17
	s_waitcnt lgkmcnt(0)
	v_add_co_u32_e64 v30, s[2:3], s16, v28
	v_addc_co_u32_e64 v31, s[2:3], v31, v29, s[2:3]
	global_store_dword v[30:31], v27, off
	v_subrev_u32_e32 v30, s9, v26
	s_and_b64 s[2:3], s[18:19], s[4:5]
	v_cndmask_b32_e64 v32, 64, v30, s[2:3]
	v_mov_b32_e32 v31, s13
	v_add_co_u32_e64 v30, s[2:3], s12, v28
	v_addc_co_u32_e64 v31, s[2:3], v31, v29, s[2:3]
	global_store_dword v[30:31], v32, off
	v_mov_b32_e32 v30, s15
	v_add_co_u32_e64 v28, s[2:3], s14, v28
	v_add_f32_e32 v27, v19, v27
	v_addc_co_u32_e64 v29, s[2:3], v30, v29, s[2:3]
	v_cndmask_b32_e32 v19, v19, v27, vcc
	global_store_dword v[28:29], v25, off
	s_or_b64 exec, exec, s[20:21]
	s_add_i32 s25, s25, 1
	s_cmp_ge_i32 s25, s8
	s_cbranch_scc1 .LBB344_9
.LBB344_25:                             ;   in Loop: Header=BB344_10 Depth=1
	v_ashrrev_i32_e32 v28, 31, v26
	v_lshrrev_b32_e32 v27, 29, v28
	v_add_u32_e32 v27, v26, v27
	v_ashrrev_i32_e32 v27, 3, v27
	s_waitcnt lgkmcnt(1)
	v_lshrrev_b32_e32 v29, 29, v27
	v_add_u32_e32 v29, v27, v29
	v_and_b32_e32 v29, -8, v29
	v_sub_u32_e32 v29, v27, v29
	v_cmp_eq_u32_e64 s[2:3], v17, v29
	s_and_saveexec_b64 s[4:5], s[2:3]
	s_cbranch_execz .LBB344_8
; %bb.26:                               ;   in Loop: Header=BB344_10 Depth=1
	v_lshrrev_b32_e32 v28, 26, v28
	v_add_u32_e32 v28, v26, v28
	v_lshlrev_b32_e32 v27, 3, v27
	v_ashrrev_i32_e32 v28, 6, v28
	v_sub_u32_e32 v26, v26, v27
	v_lshl_add_u32 v26, v28, 3, v26
	v_cmp_ne_u32_e64 s[2:3], 7, v26
	v_cndmask_b32_e64 v15, v24, v15, s[2:3]
	v_cmp_ne_u32_e64 s[2:3], 6, v26
	v_cndmask_b32_e64 v14, v24, v14, s[2:3]
	;; [unrolled: 2-line block ×8, first 2 shown]
	s_branch .LBB344_8
.LBB344_27:
                                        ; implicit-def: $vgpr8_vgpr9_vgpr10_vgpr11_vgpr12_vgpr13_vgpr14_vgpr15
	s_andn2_b64 vcc, exec, s[8:9]
	s_cbranch_vccz .LBB344_5
	s_branch .LBB344_6
.LBB344_28:
	v_mov_b32_e32 v19, 0
.LBB344_29:
	v_cmp_eq_u32_e64 s[0:1], 0, v17
	s_and_b64 s[0:1], s[0:1], vcc
	s_and_b64 exec, exec, s[0:1]
	s_cbranch_execz .LBB344_38
; %bb.30:
	s_andn2_b64 vcc, exec, s[6:7]
	s_cbranch_vccnz .LBB344_38
; %bb.31:
	v_cmp_lt_f32_e32 vcc, 0, v19
	s_mov_b32 s2, 0
	v_cndmask_b32_e32 v0, 1.0, v19, vcc
	v_mul_lo_u32 v4, v16, s8
	s_cmp_eq_u32 s8, 1
	s_mov_b64 s[0:1], -1
	s_cbranch_scc1 .LBB344_35
; %bb.32:
	s_and_b32 s2, s8, 0x7ffffffe
	v_mov_b32_e32 v1, v0
	v_mov_b32_e32 v5, s17
	s_mov_b32 s3, s2
	v_mov_b32_e32 v2, v4
.LBB344_33:                             ; =>This Inner Loop Header: Depth=1
	v_ashrrev_i32_e32 v3, 31, v2
	v_lshlrev_b64 v[6:7], 2, v[2:3]
	v_add_co_u32_e32 v6, vcc, s16, v6
	v_addc_co_u32_e32 v7, vcc, v5, v7, vcc
	global_load_dwordx2 v[8:9], v[6:7], off
	s_add_i32 s3, s3, -2
	s_cmp_lg_u32 s3, 0
	v_add_u32_e32 v2, 2, v2
	s_waitcnt vmcnt(0)
	v_div_scale_f32 v3, s[0:1], v1, v1, v9
	v_div_scale_f32 v11, s[0:1], v0, v0, v8
	v_rcp_f32_e32 v12, v3
	v_rcp_f32_e32 v13, v11
	v_div_scale_f32 v10, vcc, v9, v1, v9
	v_fma_f32 v15, -v3, v12, 1.0
	v_fma_f32 v16, -v11, v13, 1.0
	v_fmac_f32_e32 v12, v15, v12
	v_div_scale_f32 v14, s[0:1], v8, v0, v8
	v_fmac_f32_e32 v13, v16, v13
	v_mul_f32_e32 v15, v10, v12
	v_mul_f32_e32 v16, v14, v13
	v_fma_f32 v17, -v3, v15, v10
	v_fma_f32 v18, -v11, v16, v14
	v_fmac_f32_e32 v15, v17, v12
	v_fmac_f32_e32 v16, v18, v13
	v_fma_f32 v3, -v3, v15, v10
	v_fma_f32 v10, -v11, v16, v14
	v_div_fmas_f32 v3, v3, v12, v15
	s_mov_b64 vcc, s[0:1]
	v_div_fixup_f32 v9, v3, v1, v9
	v_div_fmas_f32 v3, v10, v13, v16
	v_div_fixup_f32 v8, v3, v0, v8
	global_store_dwordx2 v[6:7], v[8:9], off
	s_cbranch_scc1 .LBB344_33
; %bb.34:
	s_cmp_lg_u32 s2, s8
	s_cselect_b64 s[0:1], -1, 0
.LBB344_35:
	s_and_b64 vcc, exec, s[0:1]
	s_cbranch_vccz .LBB344_38
; %bb.36:
	v_ashrrev_i32_e32 v1, 31, v4
	v_add_co_u32_e32 v2, vcc, s2, v4
	v_addc_co_u32_e32 v3, vcc, 0, v1, vcc
	v_lshlrev_b64 v[2:3], 2, v[2:3]
	v_mov_b32_e32 v1, s17
	v_add_co_u32_e32 v2, vcc, s16, v2
	s_sub_i32 s0, s8, s2
	v_addc_co_u32_e32 v3, vcc, v1, v3, vcc
.LBB344_37:                             ; =>This Inner Loop Header: Depth=1
	global_load_dword v1, v[2:3], off
	s_add_i32 s0, s0, -1
	s_cmp_lg_u32 s0, 0
	s_waitcnt vmcnt(0)
	v_div_scale_f32 v4, s[2:3], v0, v0, v1
	v_rcp_f32_e32 v5, v4
	v_div_scale_f32 v6, vcc, v1, v0, v1
	v_fma_f32 v7, -v4, v5, 1.0
	v_fmac_f32_e32 v5, v7, v5
	v_mul_f32_e32 v7, v6, v5
	v_fma_f32 v8, -v4, v7, v6
	v_fmac_f32_e32 v7, v8, v5
	v_fma_f32 v4, -v4, v7, v6
	v_div_fmas_f32 v4, v4, v5, v7
	v_div_fixup_f32 v1, v4, v0, v1
	global_store_dword v[2:3], v1, off
	v_add_co_u32_e32 v2, vcc, 4, v2
	v_addc_co_u32_e32 v3, vcc, 0, v3, vcc
	s_cbranch_scc1 .LBB344_37
.LBB344_38:
	s_endpgm
	.section	.rodata,"a",@progbits
	.p2align	6, 0x0
	.amdhsa_kernel _ZN4vllm3moe10topkGatingILi8ELi64ELi4ELi16ELi32Ej14__hip_bfloat16LNS0_11ScoringFuncE1EEEvPKT5_PKbPfiPT4_PiiiibPKf
		.amdhsa_group_segment_fixed_size 0
		.amdhsa_private_segment_fixed_size 0
		.amdhsa_kernarg_size 72
		.amdhsa_user_sgpr_count 6
		.amdhsa_user_sgpr_private_segment_buffer 1
		.amdhsa_user_sgpr_dispatch_ptr 0
		.amdhsa_user_sgpr_queue_ptr 0
		.amdhsa_user_sgpr_kernarg_segment_ptr 1
		.amdhsa_user_sgpr_dispatch_id 0
		.amdhsa_user_sgpr_flat_scratch_init 0
		.amdhsa_user_sgpr_kernarg_preload_length 0
		.amdhsa_user_sgpr_kernarg_preload_offset 0
		.amdhsa_user_sgpr_private_segment_size 0
		.amdhsa_uses_dynamic_stack 0
		.amdhsa_system_sgpr_private_segment_wavefront_offset 0
		.amdhsa_system_sgpr_workgroup_id_x 1
		.amdhsa_system_sgpr_workgroup_id_y 0
		.amdhsa_system_sgpr_workgroup_id_z 0
		.amdhsa_system_sgpr_workgroup_info 0
		.amdhsa_system_vgpr_workitem_id 1
		.amdhsa_next_free_vgpr 34
		.amdhsa_next_free_sgpr 26
		.amdhsa_accum_offset 36
		.amdhsa_reserve_vcc 1
		.amdhsa_reserve_flat_scratch 0
		.amdhsa_float_round_mode_32 0
		.amdhsa_float_round_mode_16_64 0
		.amdhsa_float_denorm_mode_32 3
		.amdhsa_float_denorm_mode_16_64 3
		.amdhsa_dx10_clamp 1
		.amdhsa_ieee_mode 1
		.amdhsa_fp16_overflow 0
		.amdhsa_tg_split 0
		.amdhsa_exception_fp_ieee_invalid_op 0
		.amdhsa_exception_fp_denorm_src 0
		.amdhsa_exception_fp_ieee_div_zero 0
		.amdhsa_exception_fp_ieee_overflow 0
		.amdhsa_exception_fp_ieee_underflow 0
		.amdhsa_exception_fp_ieee_inexact 0
		.amdhsa_exception_int_div_zero 0
	.end_amdhsa_kernel
	.section	.text._ZN4vllm3moe10topkGatingILi8ELi64ELi4ELi16ELi32Ej14__hip_bfloat16LNS0_11ScoringFuncE1EEEvPKT5_PKbPfiPT4_PiiiibPKf,"axG",@progbits,_ZN4vllm3moe10topkGatingILi8ELi64ELi4ELi16ELi32Ej14__hip_bfloat16LNS0_11ScoringFuncE1EEEvPKT5_PKbPfiPT4_PiiiibPKf,comdat
.Lfunc_end344:
	.size	_ZN4vllm3moe10topkGatingILi8ELi64ELi4ELi16ELi32Ej14__hip_bfloat16LNS0_11ScoringFuncE1EEEvPKT5_PKbPfiPT4_PiiiibPKf, .Lfunc_end344-_ZN4vllm3moe10topkGatingILi8ELi64ELi4ELi16ELi32Ej14__hip_bfloat16LNS0_11ScoringFuncE1EEEvPKT5_PKbPfiPT4_PiiiibPKf
                                        ; -- End function
	.section	.AMDGPU.csdata,"",@progbits
; Kernel info:
; codeLenInByte = 2872
; NumSgprs: 30
; NumVgprs: 34
; NumAgprs: 0
; TotalNumVgprs: 34
; ScratchSize: 0
; MemoryBound: 0
; FloatMode: 240
; IeeeMode: 1
; LDSByteSize: 0 bytes/workgroup (compile time only)
; SGPRBlocks: 3
; VGPRBlocks: 4
; NumSGPRsForWavesPerEU: 30
; NumVGPRsForWavesPerEU: 34
; AccumOffset: 36
; Occupancy: 8
; WaveLimiterHint : 0
; COMPUTE_PGM_RSRC2:SCRATCH_EN: 0
; COMPUTE_PGM_RSRC2:USER_SGPR: 6
; COMPUTE_PGM_RSRC2:TRAP_HANDLER: 0
; COMPUTE_PGM_RSRC2:TGID_X_EN: 1
; COMPUTE_PGM_RSRC2:TGID_Y_EN: 0
; COMPUTE_PGM_RSRC2:TGID_Z_EN: 0
; COMPUTE_PGM_RSRC2:TIDIG_COMP_CNT: 1
; COMPUTE_PGM_RSRC3_GFX90A:ACCUM_OFFSET: 8
; COMPUTE_PGM_RSRC3_GFX90A:TG_SPLIT: 0
	.section	.text._ZN4vllm3moe10topkGatingILi8ELi128ELi4ELi16ELi64Ej14__hip_bfloat16LNS0_11ScoringFuncE1EEEvPKT5_PKbPfiPT4_PiiiibPKf,"axG",@progbits,_ZN4vllm3moe10topkGatingILi8ELi128ELi4ELi16ELi64Ej14__hip_bfloat16LNS0_11ScoringFuncE1EEEvPKT5_PKbPfiPT4_PiiiibPKf,comdat
	.protected	_ZN4vllm3moe10topkGatingILi8ELi128ELi4ELi16ELi64Ej14__hip_bfloat16LNS0_11ScoringFuncE1EEEvPKT5_PKbPfiPT4_PiiiibPKf ; -- Begin function _ZN4vllm3moe10topkGatingILi8ELi128ELi4ELi16ELi64Ej14__hip_bfloat16LNS0_11ScoringFuncE1EEEvPKT5_PKbPfiPT4_PiiiibPKf
	.globl	_ZN4vllm3moe10topkGatingILi8ELi128ELi4ELi16ELi64Ej14__hip_bfloat16LNS0_11ScoringFuncE1EEEvPKT5_PKbPfiPT4_PiiiibPKf
	.p2align	8
	.type	_ZN4vllm3moe10topkGatingILi8ELi128ELi4ELi16ELi64Ej14__hip_bfloat16LNS0_11ScoringFuncE1EEEvPKT5_PKbPfiPT4_PiiiibPKf,@function
_ZN4vllm3moe10topkGatingILi8ELi128ELi4ELi16ELi64Ej14__hip_bfloat16LNS0_11ScoringFuncE1EEEvPKT5_PKbPfiPT4_PiiiibPKf: ; @_ZN4vllm3moe10topkGatingILi8ELi128ELi4ELi16ELi64Ej14__hip_bfloat16LNS0_11ScoringFuncE1EEEvPKT5_PKbPfiPT4_PiiiibPKf
; %bb.0:
	s_load_dword s24, s[4:5], 0x18
	v_bfe_u32 v1, v0, 10, 10
	v_and_b32_e32 v0, 0x3ff, v0
	s_lshl_b32 s0, s6, 4
	v_lshlrev_b32_e32 v1, 2, v1
	v_lshrrev_b32_e32 v2, 4, v0
	v_add3_u32 v17, s0, v1, v2
	s_waitcnt lgkmcnt(0)
	v_cmp_gt_i32_e32 vcc, s24, v17
	s_and_saveexec_b64 s[0:1], vcc
	s_cbranch_execz .LBB345_38
; %bb.1:
	s_load_dwordx4 s[0:3], s[4:5], 0x0
	s_load_dwordx2 s[16:17], s[4:5], 0x10
	s_mov_b64 s[8:9], -1
	s_mov_b64 s[18:19], -1
	s_waitcnt lgkmcnt(0)
	s_cmp_eq_u64 s[2:3], 0
	s_cbranch_scc1 .LBB345_3
; %bb.2:
	v_ashrrev_i32_e32 v1, 31, v17
	v_mov_b32_e32 v3, s3
	v_add_co_u32_e32 v2, vcc, s2, v17
	v_addc_co_u32_e32 v3, vcc, v3, v1, vcc
	global_load_ubyte v1, v[2:3], off
	s_waitcnt vmcnt(0)
	v_and_b32_e32 v1, 1, v1
	v_cmp_eq_u32_e32 vcc, 1, v1
	s_xor_b64 s[2:3], vcc, -1
	s_orn2_b64 s[18:19], s[2:3], exec
.LBB345_3:
	v_lshlrev_b32_e32 v2, 7, v17
	v_ashrrev_i32_e32 v3, 31, v2
	v_lshlrev_b64 v[2:3], 1, v[2:3]
	v_mov_b32_e32 v1, s1
	v_add_co_u32_e32 v2, vcc, s0, v2
	v_and_b32_e32 v21, 15, v0
	v_addc_co_u32_e32 v1, vcc, v1, v3, vcc
	v_lshlrev_b32_e32 v0, 4, v21
	v_add_co_u32_e32 v0, vcc, v2, v0
	v_addc_co_u32_e32 v1, vcc, 0, v1, vcc
	global_load_dwordx4 v[0:3], v[0:1], off
	v_mov_b32_e32 v8, 0x207
	s_load_dwordx2 s[10:11], s[4:5], 0x40
	v_lshlrev_b32_e32 v22, 3, v21
	s_waitcnt lgkmcnt(0)
	s_cmp_eq_u64 s[10:11], 0
	s_waitcnt vmcnt(0)
	v_lshlrev_b32_e32 v4, 16, v0
	v_and_b32_e32 v0, 0xffff0000, v0
	v_lshlrev_b32_e32 v5, 16, v1
	v_and_b32_e32 v1, 0xffff0000, v1
	v_mul_f32_e32 v4, 0xbfb8aa3b, v4
	v_mul_f32_e32 v9, 0xbfb8aa3b, v0
	;; [unrolled: 1-line block ×3, first 2 shown]
	v_exp_f32_e32 v0, v4
	v_exp_f32_e32 v1, v9
	v_lshlrev_b32_e32 v6, 16, v2
	v_and_b32_e32 v2, 0xffff0000, v2
	v_lshlrev_b32_e32 v7, 16, v3
	v_and_b32_e32 v3, 0xffff0000, v3
	v_mul_f32_e32 v5, 0xbfb8aa3b, v5
	v_mul_f32_e32 v11, 0xbfb8aa3b, v2
	v_mul_f32_e32 v12, 0xbfb8aa3b, v3
	v_exp_f32_e32 v2, v5
	v_exp_f32_e32 v3, v10
	v_pk_add_f32 v[0:1], v[0:1], 1.0 op_sel_hi:[1,0]
	v_div_scale_f32 v9, s[0:1], v1, v1, 1.0
	v_rcp_f32_e32 v19, v9
	v_exp_f32_e32 v5, v11
	v_div_scale_f32 v11, s[0:1], v0, v0, 1.0
	v_pk_add_f32 v[2:3], v[2:3], 1.0 op_sel_hi:[1,0]
	v_rcp_f32_e32 v20, v11
	v_div_scale_f32 v13, s[2:3], v3, v3, 1.0
	v_rcp_f32_e32 v23, v13
	v_fma_f32 v26, -v9, v19, 1.0
	v_div_scale_f32 v10, vcc, 1.0, v1, 1.0
	v_div_scale_f32 v15, s[6:7], v2, v2, 1.0
	v_fmac_f32_e32 v19, v26, v19
	v_mul_f32_e32 v6, 0xbfb8aa3b, v6
	v_mul_f32_e32 v7, 0xbfb8aa3b, v7
	v_rcp_f32_e32 v24, v15
	v_fma_f32 v27, -v11, v20, 1.0
	v_mul_f32_e32 v26, v10, v19
	v_exp_f32_e32 v4, v6
	v_exp_f32_e32 v6, v7
	;; [unrolled: 1-line block ×3, first 2 shown]
	v_div_scale_f32 v12, s[0:1], 1.0, v0, 1.0
	v_fmac_f32_e32 v20, v27, v20
	v_fma_f32 v30, -v9, v26, v10
	v_fma_f32 v28, -v13, v23, 1.0
	v_mul_f32_e32 v27, v12, v20
	v_fmac_f32_e32 v26, v30, v19
	v_div_scale_f32 v14, s[2:3], 1.0, v3, 1.0
	v_fmac_f32_e32 v23, v28, v23
	v_fma_f32 v31, -v11, v27, v12
	v_fma_f32 v9, -v9, v26, v10
	v_fma_f32 v29, -v15, v24, 1.0
	v_mul_f32_e32 v28, v14, v23
	v_fmac_f32_e32 v27, v31, v20
	v_div_fmas_f32 v9, v9, v19, v26
	v_div_scale_f32 v16, s[6:7], 1.0, v2, 1.0
	v_fmac_f32_e32 v24, v29, v24
	v_fma_f32 v32, -v13, v28, v14
	v_fma_f32 v10, -v11, v27, v12
	v_div_fixup_f32 v1, v9, v1, 1.0
	s_mov_b64 vcc, s[0:1]
	v_pk_add_f32 v[4:5], v[4:5], 1.0 op_sel_hi:[1,0]
	v_mul_f32_e32 v29, v16, v24
	v_fmac_f32_e32 v28, v32, v23
	v_div_fmas_f32 v9, v10, v20, v27
	v_cmp_class_f32_e32 vcc, v1, v8
	v_div_scale_f32 v18, s[12:13], v5, v5, 1.0
	v_fma_f32 v33, -v15, v29, v16
	v_fma_f32 v11, -v13, v28, v14
	v_div_fixup_f32 v0, v9, v0, 1.0
	v_cndmask_b32_e64 v1, v1, 0, vcc
	s_mov_b64 vcc, s[2:3]
	v_rcp_f32_e32 v25, v18
	v_fmac_f32_e32 v29, v33, v24
	v_div_fmas_f32 v9, v11, v23, v28
	v_cmp_class_f32_e32 vcc, v0, v8
	v_fma_f32 v12, -v15, v29, v16
	v_cndmask_b32_e64 v0, v0, 0, vcc
	s_mov_b64 vcc, s[6:7]
	v_div_fixup_f32 v3, v9, v3, 1.0
	v_div_fmas_f32 v9, v12, v24, v29
	v_div_fixup_f32 v2, v9, v2, 1.0
	v_cmp_class_f32_e32 vcc, v3, v8
	v_cndmask_b32_e64 v3, v3, 0, vcc
	v_cmp_class_f32_e32 vcc, v2, v8
	v_fma_f32 v9, -v18, v25, 1.0
	v_cndmask_b32_e64 v2, v2, 0, vcc
	v_fmac_f32_e32 v25, v9, v25
	v_div_scale_f32 v9, vcc, 1.0, v5, 1.0
	v_mul_f32_e32 v10, v9, v25
	v_fma_f32 v11, -v18, v10, v9
	v_fmac_f32_e32 v10, v11, v25
	v_div_scale_f32 v11, s[0:1], v4, v4, 1.0
	v_rcp_f32_e32 v12, v11
	v_fma_f32 v9, -v18, v10, v9
	v_div_fmas_f32 v9, v9, v25, v10
	v_div_fixup_f32 v5, v9, v5, 1.0
	v_fma_f32 v9, -v11, v12, 1.0
	v_fmac_f32_e32 v12, v9, v12
	v_div_scale_f32 v9, vcc, 1.0, v4, 1.0
	v_mul_f32_e32 v10, v9, v12
	v_fma_f32 v13, -v11, v10, v9
	v_fmac_f32_e32 v10, v13, v12
	v_fma_f32 v9, -v11, v10, v9
	v_div_fmas_f32 v9, v9, v12, v10
	v_pk_add_f32 v[6:7], v[6:7], 1.0 op_sel_hi:[1,0]
	v_div_fixup_f32 v4, v9, v4, 1.0
	v_div_scale_f32 v9, s[0:1], v7, v7, 1.0
	v_rcp_f32_e32 v10, v9
	v_cmp_class_f32_e32 vcc, v5, v8
	v_cndmask_b32_e64 v5, v5, 0, vcc
	v_cmp_class_f32_e32 vcc, v4, v8
	v_fma_f32 v11, -v9, v10, 1.0
	v_cndmask_b32_e64 v4, v4, 0, vcc
	v_fmac_f32_e32 v10, v11, v10
	v_div_scale_f32 v11, vcc, 1.0, v7, 1.0
	v_mul_f32_e32 v12, v11, v10
	v_fma_f32 v13, -v9, v12, v11
	v_fmac_f32_e32 v12, v13, v10
	v_fma_f32 v9, -v9, v12, v11
	v_div_scale_f32 v11, s[0:1], v6, v6, 1.0
	v_rcp_f32_e32 v13, v11
	v_div_fmas_f32 v9, v9, v10, v12
	v_div_fixup_f32 v7, v9, v7, 1.0
	v_fma_f32 v9, -v11, v13, 1.0
	v_fmac_f32_e32 v13, v9, v13
	v_div_scale_f32 v9, vcc, 1.0, v6, 1.0
	v_mul_f32_e32 v10, v9, v13
	v_fma_f32 v12, -v11, v10, v9
	v_fmac_f32_e32 v10, v12, v13
	v_fma_f32 v9, -v11, v10, v9
	v_div_fmas_f32 v9, v9, v13, v10
	v_div_fixup_f32 v6, v9, v6, 1.0
	v_cmp_class_f32_e32 vcc, v7, v8
	v_cndmask_b32_e64 v7, v7, 0, vcc
	v_cmp_class_f32_e32 vcc, v6, v8
	v_cndmask_b32_e64 v6, v6, 0, vcc
	s_cbranch_scc1 .LBB345_27
; %bb.4:
	v_lshlrev_b32_e32 v16, 2, v22
	global_load_dwordx4 v[8:11], v16, s[10:11]
	global_load_dwordx4 v[12:15], v16, s[10:11] offset:16
	s_waitcnt vmcnt(1)
	v_pk_add_f32 v[8:9], v[8:9], v[0:1]
	v_pk_add_f32 v[10:11], v[10:11], v[2:3]
	s_waitcnt vmcnt(0)
	v_pk_add_f32 v[12:13], v[12:13], v[4:5]
	v_pk_add_f32 v[14:15], v[14:15], v[6:7]
	s_cbranch_execnz .LBB345_6
.LBB345_5:
	v_pk_mov_b32 v[14:15], v[6:7], v[6:7] op_sel:[0,1]
	v_pk_mov_b32 v[12:13], v[4:5], v[4:5] op_sel:[0,1]
	;; [unrolled: 1-line block ×4, first 2 shown]
.LBB345_6:
	s_load_dwordx4 s[8:11], s[4:5], 0x30
	s_mov_b32 s25, 0
	v_cmp_eq_u32_e64 s[0:1], 0, v21
	s_waitcnt lgkmcnt(0)
	s_bitcmp1_b32 s11, 0
	s_cselect_b64 vcc, -1, 0
	s_cmp_gt_i32 s8, 0
	s_cselect_b64 s[20:21], -1, 0
	s_cmp_lt_i32 s8, 1
	s_cbranch_scc1 .LBB345_28
; %bb.7:
	v_mbcnt_lo_u32_b32 v16, -1, 0
	v_mbcnt_hi_u32_b32 v16, -1, v16
	v_and_b32_e32 v18, 0x70, v16
	v_add_u32_e32 v18, 16, v18
	v_xor_b32_e32 v19, 8, v16
	v_cmp_lt_i32_e64 s[2:3], v19, v18
	v_cndmask_b32_e64 v19, v16, v19, s[2:3]
	v_lshlrev_b32_e32 v25, 2, v19
	v_xor_b32_e32 v19, 4, v16
	v_cmp_lt_i32_e64 s[2:3], v19, v18
	v_cndmask_b32_e64 v19, v16, v19, s[2:3]
	v_lshlrev_b32_e32 v26, 2, v19
	v_xor_b32_e32 v19, 2, v16
	v_cmp_lt_i32_e64 s[2:3], v19, v18
	s_load_dwordx4 s[12:15], s[4:5], 0x20
	v_cndmask_b32_e64 v19, v16, v19, s[2:3]
	v_lshlrev_b32_e32 v27, 2, v19
	v_xor_b32_e32 v19, 1, v16
	v_cmp_lt_i32_e64 s[2:3], v19, v18
	v_cndmask_b32_e64 v16, v16, v19, s[2:3]
	v_mul_lo_u32 v24, v17, s8
	v_lshlrev_b32_e32 v28, 2, v16
	v_mov_b32_e32 v23, 0
	v_mov_b32_e32 v29, 0x80
	;; [unrolled: 1-line block ×4, first 2 shown]
	s_branch .LBB345_10
.LBB345_8:                              ;   in Loop: Header=BB345_10 Depth=1
	s_or_b64 exec, exec, s[4:5]
.LBB345_9:                              ;   in Loop: Header=BB345_10 Depth=1
	s_cmp_eq_u32 s8, s25
	v_add_u32_e32 v31, s24, v31
	s_cbranch_scc1 .LBB345_29
.LBB345_10:                             ; =>This Inner Loop Header: Depth=1
	v_cmp_gt_f32_e64 s[2:3], v9, v8
	s_waitcnt lgkmcnt(0)
	v_cndmask_b32_e64 v19, v8, v9, s[2:3]
	v_cndmask_b32_e64 v16, 0, 1, s[2:3]
	v_cndmask_b32_e64 v18, v0, v1, s[2:3]
	v_cmp_gt_f32_e64 s[2:3], v10, v19
	v_cndmask_b32_e64 v19, v19, v10, s[2:3]
	v_cndmask_b32_e64 v16, v16, 2, s[2:3]
	v_cndmask_b32_e64 v18, v18, v2, s[2:3]
	v_cmp_gt_f32_e64 s[2:3], v11, v19
	;; [unrolled: 4-line block ×6, first 2 shown]
	v_cndmask_b32_e64 v16, v16, 7, s[2:3]
	v_cndmask_b32_e64 v32, v19, v15, s[2:3]
	v_or_b32_e32 v33, v22, v16
	v_cndmask_b32_e64 v16, v18, v7, s[2:3]
	ds_bpermute_b32 v35, v25, v32
	ds_bpermute_b32 v20, v25, v16
	;; [unrolled: 1-line block ×3, first 2 shown]
                                        ; implicit-def: $vgpr18_vgpr19
	s_waitcnt lgkmcnt(0)
	v_cmp_lt_f32_e64 s[6:7], v32, v35
	v_cmp_nlt_f32_e64 s[2:3], v32, v35
	s_and_saveexec_b64 s[22:23], s[2:3]
; %bb.11:                               ;   in Loop: Header=BB345_10 Depth=1
	v_cmp_eq_f32_e64 s[2:3], v32, v35
	v_cmp_lt_i32_e64 s[4:5], v34, v33
	s_and_b64 s[2:3], s[2:3], s[4:5]
	s_andn2_b64 s[4:5], s[6:7], exec
	s_and_b64 s[2:3], s[2:3], exec
	s_or_b64 s[6:7], s[4:5], s[2:3]
	v_pk_mov_b32 v[18:19], v[16:17], v[16:17] op_sel:[0,1]
; %bb.12:                               ;   in Loop: Header=BB345_10 Depth=1
	s_or_b64 exec, exec, s[22:23]
	s_and_saveexec_b64 s[2:3], s[6:7]
; %bb.13:                               ;   in Loop: Header=BB345_10 Depth=1
	v_mov_b32_e32 v32, v35
	v_mov_b32_e32 v16, v20
	;; [unrolled: 1-line block ×3, first 2 shown]
	v_pk_mov_b32 v[18:19], v[20:21], v[20:21] op_sel:[0,1]
; %bb.14:                               ;   in Loop: Header=BB345_10 Depth=1
	s_or_b64 exec, exec, s[2:3]
	ds_bpermute_b32 v34, v26, v32
	ds_bpermute_b32 v20, v26, v16
	;; [unrolled: 1-line block ×3, first 2 shown]
	s_waitcnt lgkmcnt(2)
	v_cmp_lt_f32_e64 s[6:7], v32, v34
	v_cmp_nlt_f32_e64 s[2:3], v32, v34
	s_and_saveexec_b64 s[22:23], s[2:3]
	s_cbranch_execz .LBB345_16
; %bb.15:                               ;   in Loop: Header=BB345_10 Depth=1
	v_cmp_eq_f32_e64 s[2:3], v32, v34
	s_waitcnt lgkmcnt(0)
	v_cmp_lt_i32_e64 s[4:5], v19, v33
	s_and_b64 s[2:3], s[2:3], s[4:5]
	s_andn2_b64 s[4:5], s[6:7], exec
	s_and_b64 s[2:3], s[2:3], exec
	s_or_b64 s[6:7], s[4:5], s[2:3]
.LBB345_16:                             ;   in Loop: Header=BB345_10 Depth=1
	s_or_b64 exec, exec, s[22:23]
	s_and_saveexec_b64 s[2:3], s[6:7]
	s_cbranch_execz .LBB345_18
; %bb.17:                               ;   in Loop: Header=BB345_10 Depth=1
	v_mov_b32_e32 v32, v34
	s_waitcnt lgkmcnt(1)
	v_mov_b32_e32 v16, v20
	s_waitcnt lgkmcnt(0)
	v_mov_b32_e32 v33, v19
	v_pk_mov_b32 v[18:19], v[20:21], v[20:21] op_sel:[0,1]
.LBB345_18:                             ;   in Loop: Header=BB345_10 Depth=1
	s_or_b64 exec, exec, s[2:3]
	ds_bpermute_b32 v34, v27, v32
	s_waitcnt lgkmcnt(2)
	ds_bpermute_b32 v20, v27, v16
	s_waitcnt lgkmcnt(2)
	;; [unrolled: 2-line block ×3, first 2 shown]
	v_cmp_lt_f32_e64 s[6:7], v32, v34
	v_cmp_nlt_f32_e64 s[2:3], v32, v34
	s_and_saveexec_b64 s[22:23], s[2:3]
	s_cbranch_execz .LBB345_20
; %bb.19:                               ;   in Loop: Header=BB345_10 Depth=1
	v_cmp_eq_f32_e64 s[2:3], v32, v34
	s_waitcnt lgkmcnt(0)
	v_cmp_lt_i32_e64 s[4:5], v19, v33
	s_and_b64 s[2:3], s[2:3], s[4:5]
	s_andn2_b64 s[4:5], s[6:7], exec
	s_and_b64 s[2:3], s[2:3], exec
	s_or_b64 s[6:7], s[4:5], s[2:3]
.LBB345_20:                             ;   in Loop: Header=BB345_10 Depth=1
	s_or_b64 exec, exec, s[22:23]
	s_and_saveexec_b64 s[2:3], s[6:7]
	s_cbranch_execz .LBB345_22
; %bb.21:                               ;   in Loop: Header=BB345_10 Depth=1
	v_mov_b32_e32 v32, v34
	s_waitcnt lgkmcnt(1)
	v_mov_b32_e32 v16, v20
	s_waitcnt lgkmcnt(0)
	v_mov_b32_e32 v33, v19
	v_pk_mov_b32 v[18:19], v[20:21], v[20:21] op_sel:[0,1]
.LBB345_22:                             ;   in Loop: Header=BB345_10 Depth=1
	s_or_b64 exec, exec, s[2:3]
	s_waitcnt lgkmcnt(1)
	ds_bpermute_b32 v20, v28, v32
	ds_bpermute_b32 v34, v28, v33
	s_waitcnt lgkmcnt(2)
	ds_bpermute_b32 v19, v28, v16
	s_waitcnt lgkmcnt(2)
	v_cmp_eq_f32_e64 s[4:5], v32, v20
	s_waitcnt lgkmcnt(1)
	v_cmp_lt_i32_e64 s[6:7], v34, v33
	v_cmp_lt_f32_e64 s[2:3], v32, v20
	s_and_b64 s[4:5], s[4:5], s[6:7]
	s_or_b64 s[2:3], s[2:3], s[4:5]
	v_cndmask_b32_e64 v16, v33, v34, s[2:3]
	s_and_saveexec_b64 s[6:7], s[0:1]
	s_cbranch_execnz .LBB345_24
; %bb.23:                               ;   in Loop: Header=BB345_10 Depth=1
	s_or_b64 exec, exec, s[6:7]
	s_add_i32 s25, s25, 1
	s_cmp_ge_i32 s25, s8
	s_cbranch_scc1 .LBB345_9
	s_branch .LBB345_25
.LBB345_24:                             ;   in Loop: Header=BB345_10 Depth=1
	s_waitcnt lgkmcnt(0)
	v_cndmask_b32_e64 v20, v18, v19, s[2:3]
	v_add_u32_e32 v18, s25, v24
	v_ashrrev_i32_e32 v19, 31, v18
	v_cmp_le_i32_e64 s[2:3], s9, v16
	v_cmp_gt_i32_e64 s[4:5], s10, v16
	v_lshlrev_b64 v[18:19], 2, v[18:19]
	s_and_b64 s[4:5], s[2:3], s[4:5]
	v_mov_b32_e32 v33, s17
	v_add_co_u32_e64 v32, s[2:3], s16, v18
	v_addc_co_u32_e64 v33, s[2:3], v33, v19, s[2:3]
	global_store_dword v[32:33], v20, off
	v_subrev_u32_e32 v32, s9, v16
	s_and_b64 s[2:3], s[18:19], s[4:5]
	v_cndmask_b32_e64 v34, v29, v32, s[2:3]
	v_mov_b32_e32 v33, s13
	v_add_co_u32_e64 v32, s[2:3], s12, v18
	v_addc_co_u32_e64 v33, s[2:3], v33, v19, s[2:3]
	global_store_dword v[32:33], v34, off
	v_mov_b32_e32 v32, s15
	v_add_co_u32_e64 v18, s[2:3], s14, v18
	v_addc_co_u32_e64 v19, s[2:3], v32, v19, s[2:3]
	global_store_dword v[18:19], v31, off
	v_add_f32_e32 v18, v23, v20
	v_cndmask_b32_e32 v23, v23, v18, vcc
	s_or_b64 exec, exec, s[6:7]
	s_add_i32 s25, s25, 1
	s_cmp_ge_i32 s25, s8
	s_cbranch_scc1 .LBB345_9
.LBB345_25:                             ;   in Loop: Header=BB345_10 Depth=1
	s_waitcnt lgkmcnt(0)
	v_ashrrev_i32_e32 v19, 31, v16
	v_lshrrev_b32_e32 v18, 29, v19
	v_add_u32_e32 v18, v16, v18
	v_ashrrev_i32_e32 v18, 3, v18
	v_lshrrev_b32_e32 v20, 28, v18
	v_add_u32_e32 v20, v18, v20
	v_and_b32_e32 v20, -16, v20
	v_sub_u32_e32 v20, v18, v20
	v_cmp_eq_u32_e64 s[2:3], v21, v20
	s_and_saveexec_b64 s[4:5], s[2:3]
	s_cbranch_execz .LBB345_8
; %bb.26:                               ;   in Loop: Header=BB345_10 Depth=1
	v_lshrrev_b32_e32 v19, 25, v19
	v_add_u32_e32 v19, v16, v19
	v_lshlrev_b32_e32 v18, 3, v18
	v_ashrrev_i32_e32 v19, 7, v19
	v_sub_u32_e32 v16, v16, v18
	v_lshl_add_u32 v16, v19, 3, v16
	v_cmp_ne_u32_e64 s[2:3], 7, v16
	v_cndmask_b32_e64 v15, v30, v15, s[2:3]
	v_cmp_ne_u32_e64 s[2:3], 6, v16
	v_cndmask_b32_e64 v14, v30, v14, s[2:3]
	;; [unrolled: 2-line block ×8, first 2 shown]
	s_branch .LBB345_8
.LBB345_27:
                                        ; implicit-def: $vgpr8_vgpr9_vgpr10_vgpr11_vgpr12_vgpr13_vgpr14_vgpr15
	s_andn2_b64 vcc, exec, s[8:9]
	s_cbranch_vccz .LBB345_5
	s_branch .LBB345_6
.LBB345_28:
	v_mov_b32_e32 v23, 0
.LBB345_29:
	v_cmp_eq_u32_e64 s[0:1], 0, v21
	s_and_b64 s[0:1], s[0:1], vcc
	s_and_b64 exec, exec, s[0:1]
	s_cbranch_execz .LBB345_38
; %bb.30:
	s_andn2_b64 vcc, exec, s[20:21]
	s_cbranch_vccnz .LBB345_38
; %bb.31:
	v_cmp_lt_f32_e32 vcc, 0, v23
	s_mov_b32 s2, 0
	v_cndmask_b32_e32 v0, 1.0, v23, vcc
	v_mul_lo_u32 v4, v17, s8
	s_cmp_eq_u32 s8, 1
	s_mov_b64 s[0:1], -1
	s_cbranch_scc1 .LBB345_35
; %bb.32:
	s_and_b32 s2, s8, 0x7ffffffe
	v_mov_b32_e32 v1, v0
	v_mov_b32_e32 v5, s17
	s_mov_b32 s3, s2
	v_mov_b32_e32 v2, v4
.LBB345_33:                             ; =>This Inner Loop Header: Depth=1
	v_ashrrev_i32_e32 v3, 31, v2
	v_lshlrev_b64 v[6:7], 2, v[2:3]
	v_add_co_u32_e32 v6, vcc, s16, v6
	v_addc_co_u32_e32 v7, vcc, v5, v7, vcc
	global_load_dwordx2 v[8:9], v[6:7], off
	s_add_i32 s3, s3, -2
	s_cmp_lg_u32 s3, 0
	v_add_u32_e32 v2, 2, v2
	s_waitcnt vmcnt(0)
	v_div_scale_f32 v3, s[0:1], v1, v1, v9
	v_div_scale_f32 v11, s[0:1], v0, v0, v8
	v_rcp_f32_e32 v12, v3
	v_rcp_f32_e32 v13, v11
	v_div_scale_f32 v10, vcc, v9, v1, v9
	v_fma_f32 v15, -v3, v12, 1.0
	v_fma_f32 v16, -v11, v13, 1.0
	v_fmac_f32_e32 v12, v15, v12
	v_div_scale_f32 v14, s[0:1], v8, v0, v8
	v_fmac_f32_e32 v13, v16, v13
	v_mul_f32_e32 v15, v10, v12
	v_mul_f32_e32 v16, v14, v13
	v_fma_f32 v17, -v3, v15, v10
	v_fma_f32 v18, -v11, v16, v14
	v_fmac_f32_e32 v15, v17, v12
	v_fmac_f32_e32 v16, v18, v13
	v_fma_f32 v3, -v3, v15, v10
	v_fma_f32 v10, -v11, v16, v14
	v_div_fmas_f32 v3, v3, v12, v15
	s_mov_b64 vcc, s[0:1]
	v_div_fixup_f32 v9, v3, v1, v9
	v_div_fmas_f32 v3, v10, v13, v16
	v_div_fixup_f32 v8, v3, v0, v8
	global_store_dwordx2 v[6:7], v[8:9], off
	s_cbranch_scc1 .LBB345_33
; %bb.34:
	s_cmp_lg_u32 s2, s8
	s_cselect_b64 s[0:1], -1, 0
.LBB345_35:
	s_and_b64 vcc, exec, s[0:1]
	s_cbranch_vccz .LBB345_38
; %bb.36:
	v_ashrrev_i32_e32 v1, 31, v4
	v_add_co_u32_e32 v2, vcc, s2, v4
	v_addc_co_u32_e32 v3, vcc, 0, v1, vcc
	v_lshlrev_b64 v[2:3], 2, v[2:3]
	v_mov_b32_e32 v1, s17
	v_add_co_u32_e32 v2, vcc, s16, v2
	s_sub_i32 s0, s8, s2
	v_addc_co_u32_e32 v3, vcc, v1, v3, vcc
.LBB345_37:                             ; =>This Inner Loop Header: Depth=1
	global_load_dword v1, v[2:3], off
	s_add_i32 s0, s0, -1
	s_cmp_lg_u32 s0, 0
	s_waitcnt vmcnt(0)
	v_div_scale_f32 v4, s[2:3], v0, v0, v1
	v_rcp_f32_e32 v5, v4
	v_div_scale_f32 v6, vcc, v1, v0, v1
	v_fma_f32 v7, -v4, v5, 1.0
	v_fmac_f32_e32 v5, v7, v5
	v_mul_f32_e32 v7, v6, v5
	v_fma_f32 v8, -v4, v7, v6
	v_fmac_f32_e32 v7, v8, v5
	v_fma_f32 v4, -v4, v7, v6
	v_div_fmas_f32 v4, v4, v5, v7
	v_div_fixup_f32 v1, v4, v0, v1
	global_store_dword v[2:3], v1, off
	v_add_co_u32_e32 v2, vcc, 4, v2
	v_addc_co_u32_e32 v3, vcc, 0, v3, vcc
	s_cbranch_scc1 .LBB345_37
.LBB345_38:
	s_endpgm
	.section	.rodata,"a",@progbits
	.p2align	6, 0x0
	.amdhsa_kernel _ZN4vllm3moe10topkGatingILi8ELi128ELi4ELi16ELi64Ej14__hip_bfloat16LNS0_11ScoringFuncE1EEEvPKT5_PKbPfiPT4_PiiiibPKf
		.amdhsa_group_segment_fixed_size 0
		.amdhsa_private_segment_fixed_size 0
		.amdhsa_kernarg_size 72
		.amdhsa_user_sgpr_count 6
		.amdhsa_user_sgpr_private_segment_buffer 1
		.amdhsa_user_sgpr_dispatch_ptr 0
		.amdhsa_user_sgpr_queue_ptr 0
		.amdhsa_user_sgpr_kernarg_segment_ptr 1
		.amdhsa_user_sgpr_dispatch_id 0
		.amdhsa_user_sgpr_flat_scratch_init 0
		.amdhsa_user_sgpr_kernarg_preload_length 0
		.amdhsa_user_sgpr_kernarg_preload_offset 0
		.amdhsa_user_sgpr_private_segment_size 0
		.amdhsa_uses_dynamic_stack 0
		.amdhsa_system_sgpr_private_segment_wavefront_offset 0
		.amdhsa_system_sgpr_workgroup_id_x 1
		.amdhsa_system_sgpr_workgroup_id_y 0
		.amdhsa_system_sgpr_workgroup_id_z 0
		.amdhsa_system_sgpr_workgroup_info 0
		.amdhsa_system_vgpr_workitem_id 1
		.amdhsa_next_free_vgpr 36
		.amdhsa_next_free_sgpr 26
		.amdhsa_accum_offset 36
		.amdhsa_reserve_vcc 1
		.amdhsa_reserve_flat_scratch 0
		.amdhsa_float_round_mode_32 0
		.amdhsa_float_round_mode_16_64 0
		.amdhsa_float_denorm_mode_32 3
		.amdhsa_float_denorm_mode_16_64 3
		.amdhsa_dx10_clamp 1
		.amdhsa_ieee_mode 1
		.amdhsa_fp16_overflow 0
		.amdhsa_tg_split 0
		.amdhsa_exception_fp_ieee_invalid_op 0
		.amdhsa_exception_fp_denorm_src 0
		.amdhsa_exception_fp_ieee_div_zero 0
		.amdhsa_exception_fp_ieee_overflow 0
		.amdhsa_exception_fp_ieee_underflow 0
		.amdhsa_exception_fp_ieee_inexact 0
		.amdhsa_exception_int_div_zero 0
	.end_amdhsa_kernel
	.section	.text._ZN4vllm3moe10topkGatingILi8ELi128ELi4ELi16ELi64Ej14__hip_bfloat16LNS0_11ScoringFuncE1EEEvPKT5_PKbPfiPT4_PiiiibPKf,"axG",@progbits,_ZN4vllm3moe10topkGatingILi8ELi128ELi4ELi16ELi64Ej14__hip_bfloat16LNS0_11ScoringFuncE1EEEvPKT5_PKbPfiPT4_PiiiibPKf,comdat
.Lfunc_end345:
	.size	_ZN4vllm3moe10topkGatingILi8ELi128ELi4ELi16ELi64Ej14__hip_bfloat16LNS0_11ScoringFuncE1EEEvPKT5_PKbPfiPT4_PiiiibPKf, .Lfunc_end345-_ZN4vllm3moe10topkGatingILi8ELi128ELi4ELi16ELi64Ej14__hip_bfloat16LNS0_11ScoringFuncE1EEEvPKT5_PKbPfiPT4_PiiiibPKf
                                        ; -- End function
	.section	.AMDGPU.csdata,"",@progbits
; Kernel info:
; codeLenInByte = 3004
; NumSgprs: 30
; NumVgprs: 36
; NumAgprs: 0
; TotalNumVgprs: 36
; ScratchSize: 0
; MemoryBound: 0
; FloatMode: 240
; IeeeMode: 1
; LDSByteSize: 0 bytes/workgroup (compile time only)
; SGPRBlocks: 3
; VGPRBlocks: 4
; NumSGPRsForWavesPerEU: 30
; NumVGPRsForWavesPerEU: 36
; AccumOffset: 36
; Occupancy: 8
; WaveLimiterHint : 0
; COMPUTE_PGM_RSRC2:SCRATCH_EN: 0
; COMPUTE_PGM_RSRC2:USER_SGPR: 6
; COMPUTE_PGM_RSRC2:TRAP_HANDLER: 0
; COMPUTE_PGM_RSRC2:TGID_X_EN: 1
; COMPUTE_PGM_RSRC2:TGID_Y_EN: 0
; COMPUTE_PGM_RSRC2:TGID_Z_EN: 0
; COMPUTE_PGM_RSRC2:TIDIG_COMP_CNT: 1
; COMPUTE_PGM_RSRC3_GFX90A:ACCUM_OFFSET: 8
; COMPUTE_PGM_RSRC3_GFX90A:TG_SPLIT: 0
	.section	.text._ZN4vllm3moe10topkGatingILi8ELi128ELi4ELi16ELi32Ej14__hip_bfloat16LNS0_11ScoringFuncE1EEEvPKT5_PKbPfiPT4_PiiiibPKf,"axG",@progbits,_ZN4vllm3moe10topkGatingILi8ELi128ELi4ELi16ELi32Ej14__hip_bfloat16LNS0_11ScoringFuncE1EEEvPKT5_PKbPfiPT4_PiiiibPKf,comdat
	.protected	_ZN4vllm3moe10topkGatingILi8ELi128ELi4ELi16ELi32Ej14__hip_bfloat16LNS0_11ScoringFuncE1EEEvPKT5_PKbPfiPT4_PiiiibPKf ; -- Begin function _ZN4vllm3moe10topkGatingILi8ELi128ELi4ELi16ELi32Ej14__hip_bfloat16LNS0_11ScoringFuncE1EEEvPKT5_PKbPfiPT4_PiiiibPKf
	.globl	_ZN4vllm3moe10topkGatingILi8ELi128ELi4ELi16ELi32Ej14__hip_bfloat16LNS0_11ScoringFuncE1EEEvPKT5_PKbPfiPT4_PiiiibPKf
	.p2align	8
	.type	_ZN4vllm3moe10topkGatingILi8ELi128ELi4ELi16ELi32Ej14__hip_bfloat16LNS0_11ScoringFuncE1EEEvPKT5_PKbPfiPT4_PiiiibPKf,@function
_ZN4vllm3moe10topkGatingILi8ELi128ELi4ELi16ELi32Ej14__hip_bfloat16LNS0_11ScoringFuncE1EEEvPKT5_PKbPfiPT4_PiiiibPKf: ; @_ZN4vllm3moe10topkGatingILi8ELi128ELi4ELi16ELi32Ej14__hip_bfloat16LNS0_11ScoringFuncE1EEEvPKT5_PKbPfiPT4_PiiiibPKf
; %bb.0:
	s_load_dword s24, s[4:5], 0x18
	v_bfe_u32 v1, v0, 10, 10
	v_and_b32_e32 v0, 0x3ff, v0
	s_lshl_b32 s0, s6, 3
	v_lshlrev_b32_e32 v1, 1, v1
	v_lshrrev_b32_e32 v2, 4, v0
	v_add3_u32 v17, s0, v1, v2
	s_waitcnt lgkmcnt(0)
	v_cmp_gt_i32_e32 vcc, s24, v17
	s_and_saveexec_b64 s[0:1], vcc
	s_cbranch_execz .LBB346_38
; %bb.1:
	s_load_dwordx4 s[0:3], s[4:5], 0x0
	s_load_dwordx2 s[16:17], s[4:5], 0x10
	s_mov_b64 s[8:9], -1
	s_mov_b64 s[18:19], -1
	s_waitcnt lgkmcnt(0)
	s_cmp_eq_u64 s[2:3], 0
	s_cbranch_scc1 .LBB346_3
; %bb.2:
	v_ashrrev_i32_e32 v1, 31, v17
	v_mov_b32_e32 v3, s3
	v_add_co_u32_e32 v2, vcc, s2, v17
	v_addc_co_u32_e32 v3, vcc, v3, v1, vcc
	global_load_ubyte v1, v[2:3], off
	s_waitcnt vmcnt(0)
	v_and_b32_e32 v1, 1, v1
	v_cmp_eq_u32_e32 vcc, 1, v1
	s_xor_b64 s[2:3], vcc, -1
	s_orn2_b64 s[18:19], s[2:3], exec
.LBB346_3:
	v_lshlrev_b32_e32 v2, 7, v17
	v_ashrrev_i32_e32 v3, 31, v2
	v_lshlrev_b64 v[2:3], 1, v[2:3]
	v_mov_b32_e32 v1, s1
	v_add_co_u32_e32 v2, vcc, s0, v2
	v_and_b32_e32 v21, 15, v0
	v_addc_co_u32_e32 v1, vcc, v1, v3, vcc
	v_lshlrev_b32_e32 v0, 4, v21
	v_add_co_u32_e32 v0, vcc, v2, v0
	v_addc_co_u32_e32 v1, vcc, 0, v1, vcc
	global_load_dwordx4 v[0:3], v[0:1], off
	v_mov_b32_e32 v8, 0x207
	s_load_dwordx2 s[10:11], s[4:5], 0x40
	v_lshlrev_b32_e32 v22, 3, v21
	s_waitcnt lgkmcnt(0)
	s_cmp_eq_u64 s[10:11], 0
	s_waitcnt vmcnt(0)
	v_lshlrev_b32_e32 v4, 16, v0
	v_and_b32_e32 v0, 0xffff0000, v0
	v_lshlrev_b32_e32 v5, 16, v1
	v_and_b32_e32 v1, 0xffff0000, v1
	v_mul_f32_e32 v4, 0xbfb8aa3b, v4
	v_mul_f32_e32 v9, 0xbfb8aa3b, v0
	;; [unrolled: 1-line block ×3, first 2 shown]
	v_exp_f32_e32 v0, v4
	v_exp_f32_e32 v1, v9
	v_lshlrev_b32_e32 v6, 16, v2
	v_and_b32_e32 v2, 0xffff0000, v2
	v_lshlrev_b32_e32 v7, 16, v3
	v_and_b32_e32 v3, 0xffff0000, v3
	v_mul_f32_e32 v5, 0xbfb8aa3b, v5
	v_mul_f32_e32 v11, 0xbfb8aa3b, v2
	;; [unrolled: 1-line block ×3, first 2 shown]
	v_exp_f32_e32 v2, v5
	v_exp_f32_e32 v3, v10
	v_pk_add_f32 v[0:1], v[0:1], 1.0 op_sel_hi:[1,0]
	v_div_scale_f32 v9, s[0:1], v1, v1, 1.0
	v_rcp_f32_e32 v19, v9
	v_exp_f32_e32 v5, v11
	v_div_scale_f32 v11, s[0:1], v0, v0, 1.0
	v_pk_add_f32 v[2:3], v[2:3], 1.0 op_sel_hi:[1,0]
	v_rcp_f32_e32 v20, v11
	v_div_scale_f32 v13, s[2:3], v3, v3, 1.0
	v_rcp_f32_e32 v23, v13
	v_fma_f32 v26, -v9, v19, 1.0
	v_div_scale_f32 v10, vcc, 1.0, v1, 1.0
	v_div_scale_f32 v15, s[6:7], v2, v2, 1.0
	v_fmac_f32_e32 v19, v26, v19
	v_mul_f32_e32 v6, 0xbfb8aa3b, v6
	v_mul_f32_e32 v7, 0xbfb8aa3b, v7
	v_rcp_f32_e32 v24, v15
	v_fma_f32 v27, -v11, v20, 1.0
	v_mul_f32_e32 v26, v10, v19
	v_exp_f32_e32 v4, v6
	v_exp_f32_e32 v6, v7
	;; [unrolled: 1-line block ×3, first 2 shown]
	v_div_scale_f32 v12, s[0:1], 1.0, v0, 1.0
	v_fmac_f32_e32 v20, v27, v20
	v_fma_f32 v30, -v9, v26, v10
	v_fma_f32 v28, -v13, v23, 1.0
	v_mul_f32_e32 v27, v12, v20
	v_fmac_f32_e32 v26, v30, v19
	v_div_scale_f32 v14, s[2:3], 1.0, v3, 1.0
	v_fmac_f32_e32 v23, v28, v23
	v_fma_f32 v31, -v11, v27, v12
	v_fma_f32 v9, -v9, v26, v10
	v_fma_f32 v29, -v15, v24, 1.0
	v_mul_f32_e32 v28, v14, v23
	v_fmac_f32_e32 v27, v31, v20
	v_div_fmas_f32 v9, v9, v19, v26
	v_div_scale_f32 v16, s[6:7], 1.0, v2, 1.0
	v_fmac_f32_e32 v24, v29, v24
	v_fma_f32 v32, -v13, v28, v14
	v_fma_f32 v10, -v11, v27, v12
	v_div_fixup_f32 v1, v9, v1, 1.0
	s_mov_b64 vcc, s[0:1]
	v_pk_add_f32 v[4:5], v[4:5], 1.0 op_sel_hi:[1,0]
	v_mul_f32_e32 v29, v16, v24
	v_fmac_f32_e32 v28, v32, v23
	v_div_fmas_f32 v9, v10, v20, v27
	v_cmp_class_f32_e32 vcc, v1, v8
	v_div_scale_f32 v18, s[12:13], v5, v5, 1.0
	v_fma_f32 v33, -v15, v29, v16
	v_fma_f32 v11, -v13, v28, v14
	v_div_fixup_f32 v0, v9, v0, 1.0
	v_cndmask_b32_e64 v1, v1, 0, vcc
	s_mov_b64 vcc, s[2:3]
	v_rcp_f32_e32 v25, v18
	v_fmac_f32_e32 v29, v33, v24
	v_div_fmas_f32 v9, v11, v23, v28
	v_cmp_class_f32_e32 vcc, v0, v8
	v_fma_f32 v12, -v15, v29, v16
	v_cndmask_b32_e64 v0, v0, 0, vcc
	s_mov_b64 vcc, s[6:7]
	v_div_fixup_f32 v3, v9, v3, 1.0
	v_div_fmas_f32 v9, v12, v24, v29
	v_div_fixup_f32 v2, v9, v2, 1.0
	v_cmp_class_f32_e32 vcc, v3, v8
	v_cndmask_b32_e64 v3, v3, 0, vcc
	v_cmp_class_f32_e32 vcc, v2, v8
	v_fma_f32 v9, -v18, v25, 1.0
	v_cndmask_b32_e64 v2, v2, 0, vcc
	v_fmac_f32_e32 v25, v9, v25
	v_div_scale_f32 v9, vcc, 1.0, v5, 1.0
	v_mul_f32_e32 v10, v9, v25
	v_fma_f32 v11, -v18, v10, v9
	v_fmac_f32_e32 v10, v11, v25
	v_div_scale_f32 v11, s[0:1], v4, v4, 1.0
	v_rcp_f32_e32 v12, v11
	v_fma_f32 v9, -v18, v10, v9
	v_div_fmas_f32 v9, v9, v25, v10
	v_div_fixup_f32 v5, v9, v5, 1.0
	v_fma_f32 v9, -v11, v12, 1.0
	v_fmac_f32_e32 v12, v9, v12
	v_div_scale_f32 v9, vcc, 1.0, v4, 1.0
	v_mul_f32_e32 v10, v9, v12
	v_fma_f32 v13, -v11, v10, v9
	v_fmac_f32_e32 v10, v13, v12
	v_fma_f32 v9, -v11, v10, v9
	v_div_fmas_f32 v9, v9, v12, v10
	v_pk_add_f32 v[6:7], v[6:7], 1.0 op_sel_hi:[1,0]
	v_div_fixup_f32 v4, v9, v4, 1.0
	v_div_scale_f32 v9, s[0:1], v7, v7, 1.0
	v_rcp_f32_e32 v10, v9
	v_cmp_class_f32_e32 vcc, v5, v8
	v_cndmask_b32_e64 v5, v5, 0, vcc
	v_cmp_class_f32_e32 vcc, v4, v8
	v_fma_f32 v11, -v9, v10, 1.0
	v_cndmask_b32_e64 v4, v4, 0, vcc
	v_fmac_f32_e32 v10, v11, v10
	v_div_scale_f32 v11, vcc, 1.0, v7, 1.0
	v_mul_f32_e32 v12, v11, v10
	v_fma_f32 v13, -v9, v12, v11
	v_fmac_f32_e32 v12, v13, v10
	v_fma_f32 v9, -v9, v12, v11
	v_div_scale_f32 v11, s[0:1], v6, v6, 1.0
	v_rcp_f32_e32 v13, v11
	v_div_fmas_f32 v9, v9, v10, v12
	v_div_fixup_f32 v7, v9, v7, 1.0
	v_fma_f32 v9, -v11, v13, 1.0
	v_fmac_f32_e32 v13, v9, v13
	v_div_scale_f32 v9, vcc, 1.0, v6, 1.0
	v_mul_f32_e32 v10, v9, v13
	v_fma_f32 v12, -v11, v10, v9
	v_fmac_f32_e32 v10, v12, v13
	v_fma_f32 v9, -v11, v10, v9
	v_div_fmas_f32 v9, v9, v13, v10
	v_div_fixup_f32 v6, v9, v6, 1.0
	v_cmp_class_f32_e32 vcc, v7, v8
	v_cndmask_b32_e64 v7, v7, 0, vcc
	v_cmp_class_f32_e32 vcc, v6, v8
	v_cndmask_b32_e64 v6, v6, 0, vcc
	s_cbranch_scc1 .LBB346_27
; %bb.4:
	v_lshlrev_b32_e32 v16, 2, v22
	global_load_dwordx4 v[8:11], v16, s[10:11]
	global_load_dwordx4 v[12:15], v16, s[10:11] offset:16
	s_waitcnt vmcnt(1)
	v_pk_add_f32 v[8:9], v[8:9], v[0:1]
	v_pk_add_f32 v[10:11], v[10:11], v[2:3]
	s_waitcnt vmcnt(0)
	v_pk_add_f32 v[12:13], v[12:13], v[4:5]
	v_pk_add_f32 v[14:15], v[14:15], v[6:7]
	s_cbranch_execnz .LBB346_6
.LBB346_5:
	v_pk_mov_b32 v[14:15], v[6:7], v[6:7] op_sel:[0,1]
	v_pk_mov_b32 v[12:13], v[4:5], v[4:5] op_sel:[0,1]
	;; [unrolled: 1-line block ×4, first 2 shown]
.LBB346_6:
	s_load_dwordx4 s[8:11], s[4:5], 0x30
	s_mov_b32 s25, 0
	v_cmp_eq_u32_e64 s[0:1], 0, v21
	s_waitcnt lgkmcnt(0)
	s_bitcmp1_b32 s11, 0
	s_cselect_b64 vcc, -1, 0
	s_cmp_gt_i32 s8, 0
	s_cselect_b64 s[20:21], -1, 0
	s_cmp_lt_i32 s8, 1
	s_cbranch_scc1 .LBB346_28
; %bb.7:
	v_mbcnt_lo_u32_b32 v16, -1, 0
	v_mbcnt_hi_u32_b32 v16, -1, v16
	v_and_b32_e32 v18, 0x70, v16
	v_add_u32_e32 v18, 16, v18
	v_xor_b32_e32 v19, 8, v16
	v_cmp_lt_i32_e64 s[2:3], v19, v18
	v_cndmask_b32_e64 v19, v16, v19, s[2:3]
	v_lshlrev_b32_e32 v25, 2, v19
	v_xor_b32_e32 v19, 4, v16
	v_cmp_lt_i32_e64 s[2:3], v19, v18
	v_cndmask_b32_e64 v19, v16, v19, s[2:3]
	v_lshlrev_b32_e32 v26, 2, v19
	v_xor_b32_e32 v19, 2, v16
	v_cmp_lt_i32_e64 s[2:3], v19, v18
	s_load_dwordx4 s[12:15], s[4:5], 0x20
	v_cndmask_b32_e64 v19, v16, v19, s[2:3]
	v_lshlrev_b32_e32 v27, 2, v19
	v_xor_b32_e32 v19, 1, v16
	v_cmp_lt_i32_e64 s[2:3], v19, v18
	v_cndmask_b32_e64 v16, v16, v19, s[2:3]
	v_mul_lo_u32 v24, v17, s8
	v_lshlrev_b32_e32 v28, 2, v16
	v_mov_b32_e32 v23, 0
	v_mov_b32_e32 v29, 0x80
	;; [unrolled: 1-line block ×4, first 2 shown]
	s_branch .LBB346_10
.LBB346_8:                              ;   in Loop: Header=BB346_10 Depth=1
	s_or_b64 exec, exec, s[4:5]
.LBB346_9:                              ;   in Loop: Header=BB346_10 Depth=1
	s_cmp_eq_u32 s8, s25
	v_add_u32_e32 v31, s24, v31
	s_cbranch_scc1 .LBB346_29
.LBB346_10:                             ; =>This Inner Loop Header: Depth=1
	v_cmp_gt_f32_e64 s[2:3], v9, v8
	s_waitcnt lgkmcnt(0)
	v_cndmask_b32_e64 v19, v8, v9, s[2:3]
	v_cndmask_b32_e64 v16, 0, 1, s[2:3]
	v_cndmask_b32_e64 v18, v0, v1, s[2:3]
	v_cmp_gt_f32_e64 s[2:3], v10, v19
	v_cndmask_b32_e64 v19, v19, v10, s[2:3]
	v_cndmask_b32_e64 v16, v16, 2, s[2:3]
	v_cndmask_b32_e64 v18, v18, v2, s[2:3]
	v_cmp_gt_f32_e64 s[2:3], v11, v19
	;; [unrolled: 4-line block ×6, first 2 shown]
	v_cndmask_b32_e64 v16, v16, 7, s[2:3]
	v_cndmask_b32_e64 v32, v19, v15, s[2:3]
	v_or_b32_e32 v33, v22, v16
	v_cndmask_b32_e64 v16, v18, v7, s[2:3]
	ds_bpermute_b32 v35, v25, v32
	ds_bpermute_b32 v20, v25, v16
	;; [unrolled: 1-line block ×3, first 2 shown]
                                        ; implicit-def: $vgpr18_vgpr19
	s_waitcnt lgkmcnt(0)
	v_cmp_lt_f32_e64 s[6:7], v32, v35
	v_cmp_nlt_f32_e64 s[2:3], v32, v35
	s_and_saveexec_b64 s[22:23], s[2:3]
; %bb.11:                               ;   in Loop: Header=BB346_10 Depth=1
	v_cmp_eq_f32_e64 s[2:3], v32, v35
	v_cmp_lt_i32_e64 s[4:5], v34, v33
	s_and_b64 s[2:3], s[2:3], s[4:5]
	s_andn2_b64 s[4:5], s[6:7], exec
	s_and_b64 s[2:3], s[2:3], exec
	s_or_b64 s[6:7], s[4:5], s[2:3]
	v_pk_mov_b32 v[18:19], v[16:17], v[16:17] op_sel:[0,1]
; %bb.12:                               ;   in Loop: Header=BB346_10 Depth=1
	s_or_b64 exec, exec, s[22:23]
	s_and_saveexec_b64 s[2:3], s[6:7]
; %bb.13:                               ;   in Loop: Header=BB346_10 Depth=1
	v_mov_b32_e32 v32, v35
	v_mov_b32_e32 v16, v20
	;; [unrolled: 1-line block ×3, first 2 shown]
	v_pk_mov_b32 v[18:19], v[20:21], v[20:21] op_sel:[0,1]
; %bb.14:                               ;   in Loop: Header=BB346_10 Depth=1
	s_or_b64 exec, exec, s[2:3]
	ds_bpermute_b32 v34, v26, v32
	ds_bpermute_b32 v20, v26, v16
	;; [unrolled: 1-line block ×3, first 2 shown]
	s_waitcnt lgkmcnt(2)
	v_cmp_lt_f32_e64 s[6:7], v32, v34
	v_cmp_nlt_f32_e64 s[2:3], v32, v34
	s_and_saveexec_b64 s[22:23], s[2:3]
	s_cbranch_execz .LBB346_16
; %bb.15:                               ;   in Loop: Header=BB346_10 Depth=1
	v_cmp_eq_f32_e64 s[2:3], v32, v34
	s_waitcnt lgkmcnt(0)
	v_cmp_lt_i32_e64 s[4:5], v19, v33
	s_and_b64 s[2:3], s[2:3], s[4:5]
	s_andn2_b64 s[4:5], s[6:7], exec
	s_and_b64 s[2:3], s[2:3], exec
	s_or_b64 s[6:7], s[4:5], s[2:3]
.LBB346_16:                             ;   in Loop: Header=BB346_10 Depth=1
	s_or_b64 exec, exec, s[22:23]
	s_and_saveexec_b64 s[2:3], s[6:7]
	s_cbranch_execz .LBB346_18
; %bb.17:                               ;   in Loop: Header=BB346_10 Depth=1
	v_mov_b32_e32 v32, v34
	s_waitcnt lgkmcnt(1)
	v_mov_b32_e32 v16, v20
	s_waitcnt lgkmcnt(0)
	v_mov_b32_e32 v33, v19
	v_pk_mov_b32 v[18:19], v[20:21], v[20:21] op_sel:[0,1]
.LBB346_18:                             ;   in Loop: Header=BB346_10 Depth=1
	s_or_b64 exec, exec, s[2:3]
	ds_bpermute_b32 v34, v27, v32
	s_waitcnt lgkmcnt(2)
	ds_bpermute_b32 v20, v27, v16
	s_waitcnt lgkmcnt(2)
	;; [unrolled: 2-line block ×3, first 2 shown]
	v_cmp_lt_f32_e64 s[6:7], v32, v34
	v_cmp_nlt_f32_e64 s[2:3], v32, v34
	s_and_saveexec_b64 s[22:23], s[2:3]
	s_cbranch_execz .LBB346_20
; %bb.19:                               ;   in Loop: Header=BB346_10 Depth=1
	v_cmp_eq_f32_e64 s[2:3], v32, v34
	s_waitcnt lgkmcnt(0)
	v_cmp_lt_i32_e64 s[4:5], v19, v33
	s_and_b64 s[2:3], s[2:3], s[4:5]
	s_andn2_b64 s[4:5], s[6:7], exec
	s_and_b64 s[2:3], s[2:3], exec
	s_or_b64 s[6:7], s[4:5], s[2:3]
.LBB346_20:                             ;   in Loop: Header=BB346_10 Depth=1
	s_or_b64 exec, exec, s[22:23]
	s_and_saveexec_b64 s[2:3], s[6:7]
	s_cbranch_execz .LBB346_22
; %bb.21:                               ;   in Loop: Header=BB346_10 Depth=1
	v_mov_b32_e32 v32, v34
	s_waitcnt lgkmcnt(1)
	v_mov_b32_e32 v16, v20
	s_waitcnt lgkmcnt(0)
	v_mov_b32_e32 v33, v19
	v_pk_mov_b32 v[18:19], v[20:21], v[20:21] op_sel:[0,1]
.LBB346_22:                             ;   in Loop: Header=BB346_10 Depth=1
	s_or_b64 exec, exec, s[2:3]
	s_waitcnt lgkmcnt(1)
	ds_bpermute_b32 v20, v28, v32
	ds_bpermute_b32 v34, v28, v33
	s_waitcnt lgkmcnt(2)
	ds_bpermute_b32 v19, v28, v16
	s_waitcnt lgkmcnt(2)
	v_cmp_eq_f32_e64 s[4:5], v32, v20
	s_waitcnt lgkmcnt(1)
	v_cmp_lt_i32_e64 s[6:7], v34, v33
	v_cmp_lt_f32_e64 s[2:3], v32, v20
	s_and_b64 s[4:5], s[4:5], s[6:7]
	s_or_b64 s[2:3], s[2:3], s[4:5]
	v_cndmask_b32_e64 v16, v33, v34, s[2:3]
	s_and_saveexec_b64 s[6:7], s[0:1]
	s_cbranch_execnz .LBB346_24
; %bb.23:                               ;   in Loop: Header=BB346_10 Depth=1
	s_or_b64 exec, exec, s[6:7]
	s_add_i32 s25, s25, 1
	s_cmp_ge_i32 s25, s8
	s_cbranch_scc1 .LBB346_9
	s_branch .LBB346_25
.LBB346_24:                             ;   in Loop: Header=BB346_10 Depth=1
	s_waitcnt lgkmcnt(0)
	v_cndmask_b32_e64 v20, v18, v19, s[2:3]
	v_add_u32_e32 v18, s25, v24
	v_ashrrev_i32_e32 v19, 31, v18
	v_cmp_le_i32_e64 s[2:3], s9, v16
	v_cmp_gt_i32_e64 s[4:5], s10, v16
	v_lshlrev_b64 v[18:19], 2, v[18:19]
	s_and_b64 s[4:5], s[2:3], s[4:5]
	v_mov_b32_e32 v33, s17
	v_add_co_u32_e64 v32, s[2:3], s16, v18
	v_addc_co_u32_e64 v33, s[2:3], v33, v19, s[2:3]
	global_store_dword v[32:33], v20, off
	v_subrev_u32_e32 v32, s9, v16
	s_and_b64 s[2:3], s[18:19], s[4:5]
	v_cndmask_b32_e64 v34, v29, v32, s[2:3]
	v_mov_b32_e32 v33, s13
	v_add_co_u32_e64 v32, s[2:3], s12, v18
	v_addc_co_u32_e64 v33, s[2:3], v33, v19, s[2:3]
	global_store_dword v[32:33], v34, off
	v_mov_b32_e32 v32, s15
	v_add_co_u32_e64 v18, s[2:3], s14, v18
	v_addc_co_u32_e64 v19, s[2:3], v32, v19, s[2:3]
	global_store_dword v[18:19], v31, off
	v_add_f32_e32 v18, v23, v20
	v_cndmask_b32_e32 v23, v23, v18, vcc
	s_or_b64 exec, exec, s[6:7]
	s_add_i32 s25, s25, 1
	s_cmp_ge_i32 s25, s8
	s_cbranch_scc1 .LBB346_9
.LBB346_25:                             ;   in Loop: Header=BB346_10 Depth=1
	s_waitcnt lgkmcnt(0)
	v_ashrrev_i32_e32 v19, 31, v16
	v_lshrrev_b32_e32 v18, 29, v19
	v_add_u32_e32 v18, v16, v18
	v_ashrrev_i32_e32 v18, 3, v18
	v_lshrrev_b32_e32 v20, 28, v18
	v_add_u32_e32 v20, v18, v20
	v_and_b32_e32 v20, -16, v20
	v_sub_u32_e32 v20, v18, v20
	v_cmp_eq_u32_e64 s[2:3], v21, v20
	s_and_saveexec_b64 s[4:5], s[2:3]
	s_cbranch_execz .LBB346_8
; %bb.26:                               ;   in Loop: Header=BB346_10 Depth=1
	v_lshrrev_b32_e32 v19, 25, v19
	v_add_u32_e32 v19, v16, v19
	v_lshlrev_b32_e32 v18, 3, v18
	v_ashrrev_i32_e32 v19, 7, v19
	v_sub_u32_e32 v16, v16, v18
	v_lshl_add_u32 v16, v19, 3, v16
	v_cmp_ne_u32_e64 s[2:3], 7, v16
	v_cndmask_b32_e64 v15, v30, v15, s[2:3]
	v_cmp_ne_u32_e64 s[2:3], 6, v16
	v_cndmask_b32_e64 v14, v30, v14, s[2:3]
	;; [unrolled: 2-line block ×8, first 2 shown]
	s_branch .LBB346_8
.LBB346_27:
                                        ; implicit-def: $vgpr8_vgpr9_vgpr10_vgpr11_vgpr12_vgpr13_vgpr14_vgpr15
	s_andn2_b64 vcc, exec, s[8:9]
	s_cbranch_vccz .LBB346_5
	s_branch .LBB346_6
.LBB346_28:
	v_mov_b32_e32 v23, 0
.LBB346_29:
	v_cmp_eq_u32_e64 s[0:1], 0, v21
	s_and_b64 s[0:1], s[0:1], vcc
	s_and_b64 exec, exec, s[0:1]
	s_cbranch_execz .LBB346_38
; %bb.30:
	s_andn2_b64 vcc, exec, s[20:21]
	s_cbranch_vccnz .LBB346_38
; %bb.31:
	v_cmp_lt_f32_e32 vcc, 0, v23
	s_mov_b32 s2, 0
	v_cndmask_b32_e32 v0, 1.0, v23, vcc
	v_mul_lo_u32 v4, v17, s8
	s_cmp_eq_u32 s8, 1
	s_mov_b64 s[0:1], -1
	s_cbranch_scc1 .LBB346_35
; %bb.32:
	s_and_b32 s2, s8, 0x7ffffffe
	v_mov_b32_e32 v1, v0
	v_mov_b32_e32 v5, s17
	s_mov_b32 s3, s2
	v_mov_b32_e32 v2, v4
.LBB346_33:                             ; =>This Inner Loop Header: Depth=1
	v_ashrrev_i32_e32 v3, 31, v2
	v_lshlrev_b64 v[6:7], 2, v[2:3]
	v_add_co_u32_e32 v6, vcc, s16, v6
	v_addc_co_u32_e32 v7, vcc, v5, v7, vcc
	global_load_dwordx2 v[8:9], v[6:7], off
	s_add_i32 s3, s3, -2
	s_cmp_lg_u32 s3, 0
	v_add_u32_e32 v2, 2, v2
	s_waitcnt vmcnt(0)
	v_div_scale_f32 v3, s[0:1], v1, v1, v9
	v_div_scale_f32 v11, s[0:1], v0, v0, v8
	v_rcp_f32_e32 v12, v3
	v_rcp_f32_e32 v13, v11
	v_div_scale_f32 v10, vcc, v9, v1, v9
	v_fma_f32 v15, -v3, v12, 1.0
	v_fma_f32 v16, -v11, v13, 1.0
	v_fmac_f32_e32 v12, v15, v12
	v_div_scale_f32 v14, s[0:1], v8, v0, v8
	v_fmac_f32_e32 v13, v16, v13
	v_mul_f32_e32 v15, v10, v12
	v_mul_f32_e32 v16, v14, v13
	v_fma_f32 v17, -v3, v15, v10
	v_fma_f32 v18, -v11, v16, v14
	v_fmac_f32_e32 v15, v17, v12
	v_fmac_f32_e32 v16, v18, v13
	v_fma_f32 v3, -v3, v15, v10
	v_fma_f32 v10, -v11, v16, v14
	v_div_fmas_f32 v3, v3, v12, v15
	s_mov_b64 vcc, s[0:1]
	v_div_fixup_f32 v9, v3, v1, v9
	v_div_fmas_f32 v3, v10, v13, v16
	v_div_fixup_f32 v8, v3, v0, v8
	global_store_dwordx2 v[6:7], v[8:9], off
	s_cbranch_scc1 .LBB346_33
; %bb.34:
	s_cmp_lg_u32 s2, s8
	s_cselect_b64 s[0:1], -1, 0
.LBB346_35:
	s_and_b64 vcc, exec, s[0:1]
	s_cbranch_vccz .LBB346_38
; %bb.36:
	v_ashrrev_i32_e32 v1, 31, v4
	v_add_co_u32_e32 v2, vcc, s2, v4
	v_addc_co_u32_e32 v3, vcc, 0, v1, vcc
	v_lshlrev_b64 v[2:3], 2, v[2:3]
	v_mov_b32_e32 v1, s17
	v_add_co_u32_e32 v2, vcc, s16, v2
	s_sub_i32 s0, s8, s2
	v_addc_co_u32_e32 v3, vcc, v1, v3, vcc
.LBB346_37:                             ; =>This Inner Loop Header: Depth=1
	global_load_dword v1, v[2:3], off
	s_add_i32 s0, s0, -1
	s_cmp_lg_u32 s0, 0
	s_waitcnt vmcnt(0)
	v_div_scale_f32 v4, s[2:3], v0, v0, v1
	v_rcp_f32_e32 v5, v4
	v_div_scale_f32 v6, vcc, v1, v0, v1
	v_fma_f32 v7, -v4, v5, 1.0
	v_fmac_f32_e32 v5, v7, v5
	v_mul_f32_e32 v7, v6, v5
	v_fma_f32 v8, -v4, v7, v6
	v_fmac_f32_e32 v7, v8, v5
	v_fma_f32 v4, -v4, v7, v6
	v_div_fmas_f32 v4, v4, v5, v7
	v_div_fixup_f32 v1, v4, v0, v1
	global_store_dword v[2:3], v1, off
	v_add_co_u32_e32 v2, vcc, 4, v2
	v_addc_co_u32_e32 v3, vcc, 0, v3, vcc
	s_cbranch_scc1 .LBB346_37
.LBB346_38:
	s_endpgm
	.section	.rodata,"a",@progbits
	.p2align	6, 0x0
	.amdhsa_kernel _ZN4vllm3moe10topkGatingILi8ELi128ELi4ELi16ELi32Ej14__hip_bfloat16LNS0_11ScoringFuncE1EEEvPKT5_PKbPfiPT4_PiiiibPKf
		.amdhsa_group_segment_fixed_size 0
		.amdhsa_private_segment_fixed_size 0
		.amdhsa_kernarg_size 72
		.amdhsa_user_sgpr_count 6
		.amdhsa_user_sgpr_private_segment_buffer 1
		.amdhsa_user_sgpr_dispatch_ptr 0
		.amdhsa_user_sgpr_queue_ptr 0
		.amdhsa_user_sgpr_kernarg_segment_ptr 1
		.amdhsa_user_sgpr_dispatch_id 0
		.amdhsa_user_sgpr_flat_scratch_init 0
		.amdhsa_user_sgpr_kernarg_preload_length 0
		.amdhsa_user_sgpr_kernarg_preload_offset 0
		.amdhsa_user_sgpr_private_segment_size 0
		.amdhsa_uses_dynamic_stack 0
		.amdhsa_system_sgpr_private_segment_wavefront_offset 0
		.amdhsa_system_sgpr_workgroup_id_x 1
		.amdhsa_system_sgpr_workgroup_id_y 0
		.amdhsa_system_sgpr_workgroup_id_z 0
		.amdhsa_system_sgpr_workgroup_info 0
		.amdhsa_system_vgpr_workitem_id 1
		.amdhsa_next_free_vgpr 36
		.amdhsa_next_free_sgpr 26
		.amdhsa_accum_offset 36
		.amdhsa_reserve_vcc 1
		.amdhsa_reserve_flat_scratch 0
		.amdhsa_float_round_mode_32 0
		.amdhsa_float_round_mode_16_64 0
		.amdhsa_float_denorm_mode_32 3
		.amdhsa_float_denorm_mode_16_64 3
		.amdhsa_dx10_clamp 1
		.amdhsa_ieee_mode 1
		.amdhsa_fp16_overflow 0
		.amdhsa_tg_split 0
		.amdhsa_exception_fp_ieee_invalid_op 0
		.amdhsa_exception_fp_denorm_src 0
		.amdhsa_exception_fp_ieee_div_zero 0
		.amdhsa_exception_fp_ieee_overflow 0
		.amdhsa_exception_fp_ieee_underflow 0
		.amdhsa_exception_fp_ieee_inexact 0
		.amdhsa_exception_int_div_zero 0
	.end_amdhsa_kernel
	.section	.text._ZN4vllm3moe10topkGatingILi8ELi128ELi4ELi16ELi32Ej14__hip_bfloat16LNS0_11ScoringFuncE1EEEvPKT5_PKbPfiPT4_PiiiibPKf,"axG",@progbits,_ZN4vllm3moe10topkGatingILi8ELi128ELi4ELi16ELi32Ej14__hip_bfloat16LNS0_11ScoringFuncE1EEEvPKT5_PKbPfiPT4_PiiiibPKf,comdat
.Lfunc_end346:
	.size	_ZN4vllm3moe10topkGatingILi8ELi128ELi4ELi16ELi32Ej14__hip_bfloat16LNS0_11ScoringFuncE1EEEvPKT5_PKbPfiPT4_PiiiibPKf, .Lfunc_end346-_ZN4vllm3moe10topkGatingILi8ELi128ELi4ELi16ELi32Ej14__hip_bfloat16LNS0_11ScoringFuncE1EEEvPKT5_PKbPfiPT4_PiiiibPKf
                                        ; -- End function
	.section	.AMDGPU.csdata,"",@progbits
; Kernel info:
; codeLenInByte = 3004
; NumSgprs: 30
; NumVgprs: 36
; NumAgprs: 0
; TotalNumVgprs: 36
; ScratchSize: 0
; MemoryBound: 0
; FloatMode: 240
; IeeeMode: 1
; LDSByteSize: 0 bytes/workgroup (compile time only)
; SGPRBlocks: 3
; VGPRBlocks: 4
; NumSGPRsForWavesPerEU: 30
; NumVGPRsForWavesPerEU: 36
; AccumOffset: 36
; Occupancy: 8
; WaveLimiterHint : 0
; COMPUTE_PGM_RSRC2:SCRATCH_EN: 0
; COMPUTE_PGM_RSRC2:USER_SGPR: 6
; COMPUTE_PGM_RSRC2:TRAP_HANDLER: 0
; COMPUTE_PGM_RSRC2:TGID_X_EN: 1
; COMPUTE_PGM_RSRC2:TGID_Y_EN: 0
; COMPUTE_PGM_RSRC2:TGID_Z_EN: 0
; COMPUTE_PGM_RSRC2:TIDIG_COMP_CNT: 1
; COMPUTE_PGM_RSRC3_GFX90A:ACCUM_OFFSET: 8
; COMPUTE_PGM_RSRC3_GFX90A:TG_SPLIT: 0
	.section	.text._ZN4vllm3moe10topkGatingILi8ELi256ELi4ELi16ELi64Ej14__hip_bfloat16LNS0_11ScoringFuncE1EEEvPKT5_PKbPfiPT4_PiiiibPKf,"axG",@progbits,_ZN4vllm3moe10topkGatingILi8ELi256ELi4ELi16ELi64Ej14__hip_bfloat16LNS0_11ScoringFuncE1EEEvPKT5_PKbPfiPT4_PiiiibPKf,comdat
	.protected	_ZN4vllm3moe10topkGatingILi8ELi256ELi4ELi16ELi64Ej14__hip_bfloat16LNS0_11ScoringFuncE1EEEvPKT5_PKbPfiPT4_PiiiibPKf ; -- Begin function _ZN4vllm3moe10topkGatingILi8ELi256ELi4ELi16ELi64Ej14__hip_bfloat16LNS0_11ScoringFuncE1EEEvPKT5_PKbPfiPT4_PiiiibPKf
	.globl	_ZN4vllm3moe10topkGatingILi8ELi256ELi4ELi16ELi64Ej14__hip_bfloat16LNS0_11ScoringFuncE1EEEvPKT5_PKbPfiPT4_PiiiibPKf
	.p2align	8
	.type	_ZN4vllm3moe10topkGatingILi8ELi256ELi4ELi16ELi64Ej14__hip_bfloat16LNS0_11ScoringFuncE1EEEvPKT5_PKbPfiPT4_PiiiibPKf,@function
_ZN4vllm3moe10topkGatingILi8ELi256ELi4ELi16ELi64Ej14__hip_bfloat16LNS0_11ScoringFuncE1EEEvPKT5_PKbPfiPT4_PiiiibPKf: ; @_ZN4vllm3moe10topkGatingILi8ELi256ELi4ELi16ELi64Ej14__hip_bfloat16LNS0_11ScoringFuncE1EEEvPKT5_PKbPfiPT4_PiiiibPKf
; %bb.0:
	s_load_dword s24, s[4:5], 0x18
	v_bfe_u32 v1, v0, 10, 10
	v_and_b32_e32 v0, 0x3ff, v0
	s_lshl_b32 s0, s6, 3
	v_lshlrev_b32_e32 v1, 1, v1
	v_lshrrev_b32_e32 v2, 5, v0
	v_add3_u32 v17, s0, v1, v2
	s_waitcnt lgkmcnt(0)
	v_cmp_gt_i32_e32 vcc, s24, v17
	s_and_saveexec_b64 s[0:1], vcc
	s_cbranch_execz .LBB347_42
; %bb.1:
	s_load_dwordx4 s[0:3], s[4:5], 0x0
	s_load_dwordx2 s[16:17], s[4:5], 0x10
	s_mov_b64 s[8:9], -1
	s_mov_b64 s[18:19], -1
	s_waitcnt lgkmcnt(0)
	s_cmp_eq_u64 s[2:3], 0
	s_cbranch_scc1 .LBB347_3
; %bb.2:
	v_ashrrev_i32_e32 v1, 31, v17
	v_mov_b32_e32 v3, s3
	v_add_co_u32_e32 v2, vcc, s2, v17
	v_addc_co_u32_e32 v3, vcc, v3, v1, vcc
	global_load_ubyte v1, v[2:3], off
	s_waitcnt vmcnt(0)
	v_and_b32_e32 v1, 1, v1
	v_cmp_eq_u32_e32 vcc, 1, v1
	s_xor_b64 s[2:3], vcc, -1
	s_orn2_b64 s[18:19], s[2:3], exec
.LBB347_3:
	v_lshlrev_b32_e32 v2, 8, v17
	v_ashrrev_i32_e32 v3, 31, v2
	v_lshlrev_b64 v[2:3], 1, v[2:3]
	v_mov_b32_e32 v1, s1
	v_add_co_u32_e32 v2, vcc, s0, v2
	v_and_b32_e32 v21, 31, v0
	v_addc_co_u32_e32 v1, vcc, v1, v3, vcc
	v_lshlrev_b32_e32 v0, 4, v21
	v_add_co_u32_e32 v0, vcc, v2, v0
	v_addc_co_u32_e32 v1, vcc, 0, v1, vcc
	global_load_dwordx4 v[0:3], v[0:1], off
	v_mov_b32_e32 v8, 0x207
	s_load_dwordx2 s[10:11], s[4:5], 0x40
	v_lshlrev_b32_e32 v22, 3, v21
	s_waitcnt lgkmcnt(0)
	s_cmp_eq_u64 s[10:11], 0
	s_waitcnt vmcnt(0)
	v_lshlrev_b32_e32 v4, 16, v0
	v_and_b32_e32 v0, 0xffff0000, v0
	v_lshlrev_b32_e32 v5, 16, v1
	v_and_b32_e32 v1, 0xffff0000, v1
	v_mul_f32_e32 v4, 0xbfb8aa3b, v4
	v_mul_f32_e32 v9, 0xbfb8aa3b, v0
	;; [unrolled: 1-line block ×3, first 2 shown]
	v_exp_f32_e32 v0, v4
	v_exp_f32_e32 v1, v9
	v_lshlrev_b32_e32 v6, 16, v2
	v_and_b32_e32 v2, 0xffff0000, v2
	v_lshlrev_b32_e32 v7, 16, v3
	v_and_b32_e32 v3, 0xffff0000, v3
	v_mul_f32_e32 v5, 0xbfb8aa3b, v5
	v_mul_f32_e32 v11, 0xbfb8aa3b, v2
	;; [unrolled: 1-line block ×3, first 2 shown]
	v_exp_f32_e32 v2, v5
	v_exp_f32_e32 v3, v10
	v_pk_add_f32 v[0:1], v[0:1], 1.0 op_sel_hi:[1,0]
	v_div_scale_f32 v9, s[0:1], v1, v1, 1.0
	v_rcp_f32_e32 v19, v9
	v_exp_f32_e32 v5, v11
	v_div_scale_f32 v11, s[0:1], v0, v0, 1.0
	v_pk_add_f32 v[2:3], v[2:3], 1.0 op_sel_hi:[1,0]
	v_rcp_f32_e32 v20, v11
	v_div_scale_f32 v13, s[2:3], v3, v3, 1.0
	v_rcp_f32_e32 v23, v13
	v_fma_f32 v26, -v9, v19, 1.0
	v_div_scale_f32 v10, vcc, 1.0, v1, 1.0
	v_div_scale_f32 v15, s[6:7], v2, v2, 1.0
	v_fmac_f32_e32 v19, v26, v19
	v_mul_f32_e32 v6, 0xbfb8aa3b, v6
	v_mul_f32_e32 v7, 0xbfb8aa3b, v7
	v_rcp_f32_e32 v24, v15
	v_fma_f32 v27, -v11, v20, 1.0
	v_mul_f32_e32 v26, v10, v19
	v_exp_f32_e32 v4, v6
	v_exp_f32_e32 v6, v7
	;; [unrolled: 1-line block ×3, first 2 shown]
	v_div_scale_f32 v12, s[0:1], 1.0, v0, 1.0
	v_fmac_f32_e32 v20, v27, v20
	v_fma_f32 v30, -v9, v26, v10
	v_fma_f32 v28, -v13, v23, 1.0
	v_mul_f32_e32 v27, v12, v20
	v_fmac_f32_e32 v26, v30, v19
	v_div_scale_f32 v14, s[2:3], 1.0, v3, 1.0
	v_fmac_f32_e32 v23, v28, v23
	v_fma_f32 v31, -v11, v27, v12
	v_fma_f32 v9, -v9, v26, v10
	v_fma_f32 v29, -v15, v24, 1.0
	v_mul_f32_e32 v28, v14, v23
	v_fmac_f32_e32 v27, v31, v20
	v_div_fmas_f32 v9, v9, v19, v26
	v_div_scale_f32 v16, s[6:7], 1.0, v2, 1.0
	v_fmac_f32_e32 v24, v29, v24
	v_fma_f32 v32, -v13, v28, v14
	v_fma_f32 v10, -v11, v27, v12
	v_div_fixup_f32 v1, v9, v1, 1.0
	s_mov_b64 vcc, s[0:1]
	v_pk_add_f32 v[4:5], v[4:5], 1.0 op_sel_hi:[1,0]
	v_mul_f32_e32 v29, v16, v24
	v_fmac_f32_e32 v28, v32, v23
	v_div_fmas_f32 v9, v10, v20, v27
	v_cmp_class_f32_e32 vcc, v1, v8
	v_div_scale_f32 v18, s[12:13], v5, v5, 1.0
	v_fma_f32 v33, -v15, v29, v16
	v_fma_f32 v11, -v13, v28, v14
	v_div_fixup_f32 v0, v9, v0, 1.0
	v_cndmask_b32_e64 v1, v1, 0, vcc
	s_mov_b64 vcc, s[2:3]
	v_rcp_f32_e32 v25, v18
	v_fmac_f32_e32 v29, v33, v24
	v_div_fmas_f32 v9, v11, v23, v28
	v_cmp_class_f32_e32 vcc, v0, v8
	v_fma_f32 v12, -v15, v29, v16
	v_cndmask_b32_e64 v0, v0, 0, vcc
	s_mov_b64 vcc, s[6:7]
	v_div_fixup_f32 v3, v9, v3, 1.0
	v_div_fmas_f32 v9, v12, v24, v29
	v_div_fixup_f32 v2, v9, v2, 1.0
	v_cmp_class_f32_e32 vcc, v3, v8
	v_cndmask_b32_e64 v3, v3, 0, vcc
	v_cmp_class_f32_e32 vcc, v2, v8
	v_fma_f32 v9, -v18, v25, 1.0
	v_cndmask_b32_e64 v2, v2, 0, vcc
	v_fmac_f32_e32 v25, v9, v25
	v_div_scale_f32 v9, vcc, 1.0, v5, 1.0
	v_mul_f32_e32 v10, v9, v25
	v_fma_f32 v11, -v18, v10, v9
	v_fmac_f32_e32 v10, v11, v25
	v_div_scale_f32 v11, s[0:1], v4, v4, 1.0
	v_rcp_f32_e32 v12, v11
	v_fma_f32 v9, -v18, v10, v9
	v_div_fmas_f32 v9, v9, v25, v10
	v_div_fixup_f32 v5, v9, v5, 1.0
	v_fma_f32 v9, -v11, v12, 1.0
	v_fmac_f32_e32 v12, v9, v12
	v_div_scale_f32 v9, vcc, 1.0, v4, 1.0
	v_mul_f32_e32 v10, v9, v12
	v_fma_f32 v13, -v11, v10, v9
	v_fmac_f32_e32 v10, v13, v12
	v_fma_f32 v9, -v11, v10, v9
	v_div_fmas_f32 v9, v9, v12, v10
	v_pk_add_f32 v[6:7], v[6:7], 1.0 op_sel_hi:[1,0]
	v_div_fixup_f32 v4, v9, v4, 1.0
	v_div_scale_f32 v9, s[0:1], v7, v7, 1.0
	v_rcp_f32_e32 v10, v9
	v_cmp_class_f32_e32 vcc, v5, v8
	v_cndmask_b32_e64 v5, v5, 0, vcc
	v_cmp_class_f32_e32 vcc, v4, v8
	v_fma_f32 v11, -v9, v10, 1.0
	v_cndmask_b32_e64 v4, v4, 0, vcc
	v_fmac_f32_e32 v10, v11, v10
	v_div_scale_f32 v11, vcc, 1.0, v7, 1.0
	v_mul_f32_e32 v12, v11, v10
	v_fma_f32 v13, -v9, v12, v11
	v_fmac_f32_e32 v12, v13, v10
	v_fma_f32 v9, -v9, v12, v11
	v_div_scale_f32 v11, s[0:1], v6, v6, 1.0
	v_rcp_f32_e32 v13, v11
	v_div_fmas_f32 v9, v9, v10, v12
	v_div_fixup_f32 v7, v9, v7, 1.0
	v_fma_f32 v9, -v11, v13, 1.0
	v_fmac_f32_e32 v13, v9, v13
	v_div_scale_f32 v9, vcc, 1.0, v6, 1.0
	v_mul_f32_e32 v10, v9, v13
	v_fma_f32 v12, -v11, v10, v9
	v_fmac_f32_e32 v10, v12, v13
	v_fma_f32 v9, -v11, v10, v9
	v_div_fmas_f32 v9, v9, v13, v10
	v_div_fixup_f32 v6, v9, v6, 1.0
	v_cmp_class_f32_e32 vcc, v7, v8
	v_cndmask_b32_e64 v7, v7, 0, vcc
	v_cmp_class_f32_e32 vcc, v6, v8
	v_cndmask_b32_e64 v6, v6, 0, vcc
	s_cbranch_scc1 .LBB347_31
; %bb.4:
	v_lshlrev_b32_e32 v16, 2, v22
	global_load_dwordx4 v[8:11], v16, s[10:11]
	global_load_dwordx4 v[12:15], v16, s[10:11] offset:16
	s_waitcnt vmcnt(1)
	v_pk_add_f32 v[8:9], v[8:9], v[0:1]
	v_pk_add_f32 v[10:11], v[10:11], v[2:3]
	s_waitcnt vmcnt(0)
	v_pk_add_f32 v[12:13], v[12:13], v[4:5]
	v_pk_add_f32 v[14:15], v[14:15], v[6:7]
	s_cbranch_execnz .LBB347_6
.LBB347_5:
	v_pk_mov_b32 v[14:15], v[6:7], v[6:7] op_sel:[0,1]
	v_pk_mov_b32 v[12:13], v[4:5], v[4:5] op_sel:[0,1]
	;; [unrolled: 1-line block ×4, first 2 shown]
.LBB347_6:
	s_load_dwordx4 s[8:11], s[4:5], 0x30
	s_mov_b32 s25, 0
	v_cmp_eq_u32_e64 s[0:1], 0, v21
	s_waitcnt lgkmcnt(0)
	s_bitcmp1_b32 s11, 0
	s_cselect_b64 vcc, -1, 0
	s_cmp_gt_i32 s8, 0
	s_cselect_b64 s[20:21], -1, 0
	s_cmp_lt_i32 s8, 1
	s_cbranch_scc1 .LBB347_32
; %bb.7:
	v_mbcnt_lo_u32_b32 v16, -1, 0
	v_mbcnt_hi_u32_b32 v16, -1, v16
	v_and_b32_e32 v18, 0x60, v16
	v_add_u32_e32 v18, 32, v18
	v_xor_b32_e32 v19, 16, v16
	v_cmp_lt_i32_e64 s[2:3], v19, v18
	v_cndmask_b32_e64 v19, v16, v19, s[2:3]
	v_lshlrev_b32_e32 v25, 2, v19
	v_xor_b32_e32 v19, 8, v16
	v_cmp_lt_i32_e64 s[2:3], v19, v18
	v_cndmask_b32_e64 v19, v16, v19, s[2:3]
	v_lshlrev_b32_e32 v26, 2, v19
	;; [unrolled: 4-line block ×3, first 2 shown]
	v_xor_b32_e32 v19, 2, v16
	v_cmp_lt_i32_e64 s[2:3], v19, v18
	s_load_dwordx4 s[12:15], s[4:5], 0x20
	v_cndmask_b32_e64 v19, v16, v19, s[2:3]
	v_lshlrev_b32_e32 v28, 2, v19
	v_xor_b32_e32 v19, 1, v16
	v_cmp_lt_i32_e64 s[2:3], v19, v18
	v_cndmask_b32_e64 v16, v16, v19, s[2:3]
	v_mul_lo_u32 v24, v17, s8
	v_lshlrev_b32_e32 v29, 2, v16
	v_mov_b32_e32 v23, 0
	v_mov_b32_e32 v30, 0x100
	;; [unrolled: 1-line block ×4, first 2 shown]
	s_branch .LBB347_10
.LBB347_8:                              ;   in Loop: Header=BB347_10 Depth=1
	s_or_b64 exec, exec, s[4:5]
.LBB347_9:                              ;   in Loop: Header=BB347_10 Depth=1
	s_cmp_eq_u32 s8, s25
	v_add_u32_e32 v32, s24, v32
	s_cbranch_scc1 .LBB347_33
.LBB347_10:                             ; =>This Inner Loop Header: Depth=1
	v_cmp_gt_f32_e64 s[2:3], v9, v8
	s_waitcnt lgkmcnt(0)
	v_cndmask_b32_e64 v19, v8, v9, s[2:3]
	v_cndmask_b32_e64 v16, 0, 1, s[2:3]
	v_cndmask_b32_e64 v18, v0, v1, s[2:3]
	v_cmp_gt_f32_e64 s[2:3], v10, v19
	v_cndmask_b32_e64 v19, v19, v10, s[2:3]
	v_cndmask_b32_e64 v16, v16, 2, s[2:3]
	v_cndmask_b32_e64 v18, v18, v2, s[2:3]
	v_cmp_gt_f32_e64 s[2:3], v11, v19
	;; [unrolled: 4-line block ×6, first 2 shown]
	v_cndmask_b32_e64 v16, v16, 7, s[2:3]
	v_cndmask_b32_e64 v33, v19, v15, s[2:3]
	v_or_b32_e32 v34, v22, v16
	v_cndmask_b32_e64 v16, v18, v7, s[2:3]
	ds_bpermute_b32 v36, v25, v33
	ds_bpermute_b32 v20, v25, v16
	;; [unrolled: 1-line block ×3, first 2 shown]
                                        ; implicit-def: $vgpr18_vgpr19
	s_waitcnt lgkmcnt(0)
	v_cmp_lt_f32_e64 s[6:7], v33, v36
	v_cmp_nlt_f32_e64 s[2:3], v33, v36
	s_and_saveexec_b64 s[22:23], s[2:3]
; %bb.11:                               ;   in Loop: Header=BB347_10 Depth=1
	v_cmp_eq_f32_e64 s[2:3], v33, v36
	v_cmp_lt_i32_e64 s[4:5], v35, v34
	s_and_b64 s[2:3], s[2:3], s[4:5]
	s_andn2_b64 s[4:5], s[6:7], exec
	s_and_b64 s[2:3], s[2:3], exec
	s_or_b64 s[6:7], s[4:5], s[2:3]
	v_pk_mov_b32 v[18:19], v[16:17], v[16:17] op_sel:[0,1]
; %bb.12:                               ;   in Loop: Header=BB347_10 Depth=1
	s_or_b64 exec, exec, s[22:23]
	s_and_saveexec_b64 s[2:3], s[6:7]
; %bb.13:                               ;   in Loop: Header=BB347_10 Depth=1
	v_mov_b32_e32 v33, v36
	v_mov_b32_e32 v16, v20
	;; [unrolled: 1-line block ×3, first 2 shown]
	v_pk_mov_b32 v[18:19], v[20:21], v[20:21] op_sel:[0,1]
; %bb.14:                               ;   in Loop: Header=BB347_10 Depth=1
	s_or_b64 exec, exec, s[2:3]
	ds_bpermute_b32 v35, v26, v33
	ds_bpermute_b32 v20, v26, v16
	;; [unrolled: 1-line block ×3, first 2 shown]
	s_waitcnt lgkmcnt(2)
	v_cmp_lt_f32_e64 s[6:7], v33, v35
	v_cmp_nlt_f32_e64 s[2:3], v33, v35
	s_and_saveexec_b64 s[22:23], s[2:3]
	s_cbranch_execz .LBB347_16
; %bb.15:                               ;   in Loop: Header=BB347_10 Depth=1
	v_cmp_eq_f32_e64 s[2:3], v33, v35
	s_waitcnt lgkmcnt(0)
	v_cmp_lt_i32_e64 s[4:5], v19, v34
	s_and_b64 s[2:3], s[2:3], s[4:5]
	s_andn2_b64 s[4:5], s[6:7], exec
	s_and_b64 s[2:3], s[2:3], exec
	s_or_b64 s[6:7], s[4:5], s[2:3]
.LBB347_16:                             ;   in Loop: Header=BB347_10 Depth=1
	s_or_b64 exec, exec, s[22:23]
	s_and_saveexec_b64 s[2:3], s[6:7]
	s_cbranch_execz .LBB347_18
; %bb.17:                               ;   in Loop: Header=BB347_10 Depth=1
	v_mov_b32_e32 v33, v35
	s_waitcnt lgkmcnt(1)
	v_mov_b32_e32 v16, v20
	s_waitcnt lgkmcnt(0)
	v_mov_b32_e32 v34, v19
	v_pk_mov_b32 v[18:19], v[20:21], v[20:21] op_sel:[0,1]
.LBB347_18:                             ;   in Loop: Header=BB347_10 Depth=1
	s_or_b64 exec, exec, s[2:3]
	ds_bpermute_b32 v35, v27, v33
	s_waitcnt lgkmcnt(2)
	ds_bpermute_b32 v20, v27, v16
	s_waitcnt lgkmcnt(2)
	;; [unrolled: 2-line block ×3, first 2 shown]
	v_cmp_lt_f32_e64 s[6:7], v33, v35
	v_cmp_nlt_f32_e64 s[2:3], v33, v35
	s_and_saveexec_b64 s[22:23], s[2:3]
	s_cbranch_execz .LBB347_20
; %bb.19:                               ;   in Loop: Header=BB347_10 Depth=1
	v_cmp_eq_f32_e64 s[2:3], v33, v35
	s_waitcnt lgkmcnt(0)
	v_cmp_lt_i32_e64 s[4:5], v19, v34
	s_and_b64 s[2:3], s[2:3], s[4:5]
	s_andn2_b64 s[4:5], s[6:7], exec
	s_and_b64 s[2:3], s[2:3], exec
	s_or_b64 s[6:7], s[4:5], s[2:3]
.LBB347_20:                             ;   in Loop: Header=BB347_10 Depth=1
	s_or_b64 exec, exec, s[22:23]
	s_and_saveexec_b64 s[2:3], s[6:7]
	s_cbranch_execz .LBB347_22
; %bb.21:                               ;   in Loop: Header=BB347_10 Depth=1
	v_mov_b32_e32 v33, v35
	s_waitcnt lgkmcnt(1)
	v_mov_b32_e32 v16, v20
	s_waitcnt lgkmcnt(0)
	v_mov_b32_e32 v34, v19
	v_pk_mov_b32 v[18:19], v[20:21], v[20:21] op_sel:[0,1]
.LBB347_22:                             ;   in Loop: Header=BB347_10 Depth=1
	s_or_b64 exec, exec, s[2:3]
	ds_bpermute_b32 v35, v28, v33
	s_waitcnt lgkmcnt(2)
	ds_bpermute_b32 v20, v28, v16
	s_waitcnt lgkmcnt(2)
	;; [unrolled: 2-line block ×3, first 2 shown]
	v_cmp_lt_f32_e64 s[6:7], v33, v35
	v_cmp_nlt_f32_e64 s[2:3], v33, v35
	s_and_saveexec_b64 s[22:23], s[2:3]
	s_cbranch_execz .LBB347_24
; %bb.23:                               ;   in Loop: Header=BB347_10 Depth=1
	v_cmp_eq_f32_e64 s[2:3], v33, v35
	s_waitcnt lgkmcnt(0)
	v_cmp_lt_i32_e64 s[4:5], v19, v34
	s_and_b64 s[2:3], s[2:3], s[4:5]
	s_andn2_b64 s[4:5], s[6:7], exec
	s_and_b64 s[2:3], s[2:3], exec
	s_or_b64 s[6:7], s[4:5], s[2:3]
.LBB347_24:                             ;   in Loop: Header=BB347_10 Depth=1
	s_or_b64 exec, exec, s[22:23]
	s_and_saveexec_b64 s[2:3], s[6:7]
	s_cbranch_execz .LBB347_26
; %bb.25:                               ;   in Loop: Header=BB347_10 Depth=1
	v_mov_b32_e32 v33, v35
	s_waitcnt lgkmcnt(1)
	v_mov_b32_e32 v16, v20
	s_waitcnt lgkmcnt(0)
	v_mov_b32_e32 v34, v19
	v_pk_mov_b32 v[18:19], v[20:21], v[20:21] op_sel:[0,1]
.LBB347_26:                             ;   in Loop: Header=BB347_10 Depth=1
	s_or_b64 exec, exec, s[2:3]
	s_waitcnt lgkmcnt(1)
	ds_bpermute_b32 v20, v29, v33
	ds_bpermute_b32 v35, v29, v34
	s_waitcnt lgkmcnt(2)
	ds_bpermute_b32 v19, v29, v16
	s_waitcnt lgkmcnt(2)
	v_cmp_eq_f32_e64 s[4:5], v33, v20
	s_waitcnt lgkmcnt(1)
	v_cmp_lt_i32_e64 s[6:7], v35, v34
	v_cmp_lt_f32_e64 s[2:3], v33, v20
	s_and_b64 s[4:5], s[4:5], s[6:7]
	s_or_b64 s[2:3], s[2:3], s[4:5]
	v_cndmask_b32_e64 v16, v34, v35, s[2:3]
	s_and_saveexec_b64 s[6:7], s[0:1]
	s_cbranch_execnz .LBB347_28
; %bb.27:                               ;   in Loop: Header=BB347_10 Depth=1
	s_or_b64 exec, exec, s[6:7]
	s_add_i32 s25, s25, 1
	s_cmp_ge_i32 s25, s8
	s_cbranch_scc1 .LBB347_9
	s_branch .LBB347_29
.LBB347_28:                             ;   in Loop: Header=BB347_10 Depth=1
	s_waitcnt lgkmcnt(0)
	v_cndmask_b32_e64 v20, v18, v19, s[2:3]
	v_add_u32_e32 v18, s25, v24
	v_ashrrev_i32_e32 v19, 31, v18
	v_cmp_le_i32_e64 s[2:3], s9, v16
	v_cmp_gt_i32_e64 s[4:5], s10, v16
	v_lshlrev_b64 v[18:19], 2, v[18:19]
	s_and_b64 s[4:5], s[2:3], s[4:5]
	v_mov_b32_e32 v33, s17
	v_add_co_u32_e64 v34, s[2:3], s16, v18
	v_addc_co_u32_e64 v35, s[2:3], v33, v19, s[2:3]
	v_subrev_u32_e32 v33, s9, v16
	s_and_b64 s[2:3], s[18:19], s[4:5]
	global_store_dword v[34:35], v20, off
	v_cndmask_b32_e64 v33, v30, v33, s[2:3]
	v_mov_b32_e32 v35, s13
	v_add_co_u32_e64 v34, s[2:3], s12, v18
	v_addc_co_u32_e64 v35, s[2:3], v35, v19, s[2:3]
	global_store_dword v[34:35], v33, off
	v_mov_b32_e32 v33, s15
	v_add_co_u32_e64 v18, s[2:3], s14, v18
	v_addc_co_u32_e64 v19, s[2:3], v33, v19, s[2:3]
	global_store_dword v[18:19], v32, off
	v_add_f32_e32 v18, v23, v20
	v_cndmask_b32_e32 v23, v23, v18, vcc
	s_or_b64 exec, exec, s[6:7]
	s_add_i32 s25, s25, 1
	s_cmp_ge_i32 s25, s8
	s_cbranch_scc1 .LBB347_9
.LBB347_29:                             ;   in Loop: Header=BB347_10 Depth=1
	v_ashrrev_i32_e32 v18, 31, v16
	s_waitcnt lgkmcnt(0)
	v_lshrrev_b32_e32 v19, 29, v18
	v_add_u32_e32 v20, v16, v19
	v_ashrrev_i32_e32 v19, 3, v20
	v_ashrrev_i32_e32 v20, 31, v20
	v_lshrrev_b32_e32 v20, 27, v20
	v_add_u32_e32 v20, v19, v20
	v_and_b32_e32 v20, 0xffffffe0, v20
	v_sub_u32_e32 v20, v19, v20
	v_cmp_eq_u32_e64 s[2:3], v21, v20
	s_and_saveexec_b64 s[4:5], s[2:3]
	s_cbranch_execz .LBB347_8
; %bb.30:                               ;   in Loop: Header=BB347_10 Depth=1
	v_add_u32_sdwa v18, v16, v18 dst_sel:DWORD dst_unused:UNUSED_PAD src0_sel:DWORD src1_sel:BYTE_3
	v_lshlrev_b32_e32 v19, 3, v19
	v_ashrrev_i32_e32 v18, 8, v18
	v_sub_u32_e32 v16, v16, v19
	v_lshl_add_u32 v16, v18, 3, v16
	v_cmp_ne_u32_e64 s[2:3], 7, v16
	v_cndmask_b32_e64 v15, v31, v15, s[2:3]
	v_cmp_ne_u32_e64 s[2:3], 6, v16
	v_cndmask_b32_e64 v14, v31, v14, s[2:3]
	;; [unrolled: 2-line block ×8, first 2 shown]
	s_branch .LBB347_8
.LBB347_31:
                                        ; implicit-def: $vgpr8_vgpr9_vgpr10_vgpr11_vgpr12_vgpr13_vgpr14_vgpr15
	s_andn2_b64 vcc, exec, s[8:9]
	s_cbranch_vccz .LBB347_5
	s_branch .LBB347_6
.LBB347_32:
	v_mov_b32_e32 v23, 0
.LBB347_33:
	v_cmp_eq_u32_e64 s[0:1], 0, v21
	s_and_b64 s[0:1], s[0:1], vcc
	s_and_b64 exec, exec, s[0:1]
	s_cbranch_execz .LBB347_42
; %bb.34:
	s_andn2_b64 vcc, exec, s[20:21]
	s_cbranch_vccnz .LBB347_42
; %bb.35:
	v_cmp_lt_f32_e32 vcc, 0, v23
	s_mov_b32 s2, 0
	v_cndmask_b32_e32 v0, 1.0, v23, vcc
	v_mul_lo_u32 v4, v17, s8
	s_cmp_eq_u32 s8, 1
	s_mov_b64 s[0:1], -1
	s_cbranch_scc1 .LBB347_39
; %bb.36:
	s_and_b32 s2, s8, 0x7ffffffe
	v_mov_b32_e32 v1, v0
	v_mov_b32_e32 v5, s17
	s_mov_b32 s3, s2
	v_mov_b32_e32 v2, v4
.LBB347_37:                             ; =>This Inner Loop Header: Depth=1
	v_ashrrev_i32_e32 v3, 31, v2
	v_lshlrev_b64 v[6:7], 2, v[2:3]
	v_add_co_u32_e32 v6, vcc, s16, v6
	v_addc_co_u32_e32 v7, vcc, v5, v7, vcc
	global_load_dwordx2 v[8:9], v[6:7], off
	s_add_i32 s3, s3, -2
	s_cmp_lg_u32 s3, 0
	v_add_u32_e32 v2, 2, v2
	s_waitcnt vmcnt(0)
	v_div_scale_f32 v3, s[0:1], v1, v1, v9
	v_div_scale_f32 v11, s[0:1], v0, v0, v8
	v_rcp_f32_e32 v12, v3
	v_rcp_f32_e32 v13, v11
	v_div_scale_f32 v10, vcc, v9, v1, v9
	v_fma_f32 v15, -v3, v12, 1.0
	v_fma_f32 v16, -v11, v13, 1.0
	v_fmac_f32_e32 v12, v15, v12
	v_div_scale_f32 v14, s[0:1], v8, v0, v8
	v_fmac_f32_e32 v13, v16, v13
	v_mul_f32_e32 v15, v10, v12
	v_mul_f32_e32 v16, v14, v13
	v_fma_f32 v17, -v3, v15, v10
	v_fma_f32 v18, -v11, v16, v14
	v_fmac_f32_e32 v15, v17, v12
	v_fmac_f32_e32 v16, v18, v13
	v_fma_f32 v3, -v3, v15, v10
	v_fma_f32 v10, -v11, v16, v14
	v_div_fmas_f32 v3, v3, v12, v15
	s_mov_b64 vcc, s[0:1]
	v_div_fixup_f32 v9, v3, v1, v9
	v_div_fmas_f32 v3, v10, v13, v16
	v_div_fixup_f32 v8, v3, v0, v8
	global_store_dwordx2 v[6:7], v[8:9], off
	s_cbranch_scc1 .LBB347_37
; %bb.38:
	s_cmp_lg_u32 s2, s8
	s_cselect_b64 s[0:1], -1, 0
.LBB347_39:
	s_and_b64 vcc, exec, s[0:1]
	s_cbranch_vccz .LBB347_42
; %bb.40:
	v_ashrrev_i32_e32 v1, 31, v4
	v_add_co_u32_e32 v2, vcc, s2, v4
	v_addc_co_u32_e32 v3, vcc, 0, v1, vcc
	v_lshlrev_b64 v[2:3], 2, v[2:3]
	v_mov_b32_e32 v1, s17
	v_add_co_u32_e32 v2, vcc, s16, v2
	s_sub_i32 s0, s8, s2
	v_addc_co_u32_e32 v3, vcc, v1, v3, vcc
.LBB347_41:                             ; =>This Inner Loop Header: Depth=1
	global_load_dword v1, v[2:3], off
	s_add_i32 s0, s0, -1
	s_cmp_lg_u32 s0, 0
	s_waitcnt vmcnt(0)
	v_div_scale_f32 v4, s[2:3], v0, v0, v1
	v_rcp_f32_e32 v5, v4
	v_div_scale_f32 v6, vcc, v1, v0, v1
	v_fma_f32 v7, -v4, v5, 1.0
	v_fmac_f32_e32 v5, v7, v5
	v_mul_f32_e32 v7, v6, v5
	v_fma_f32 v8, -v4, v7, v6
	v_fmac_f32_e32 v7, v8, v5
	v_fma_f32 v4, -v4, v7, v6
	v_div_fmas_f32 v4, v4, v5, v7
	v_div_fixup_f32 v1, v4, v0, v1
	global_store_dword v[2:3], v1, off
	v_add_co_u32_e32 v2, vcc, 4, v2
	v_addc_co_u32_e32 v3, vcc, 0, v3, vcc
	s_cbranch_scc1 .LBB347_41
.LBB347_42:
	s_endpgm
	.section	.rodata,"a",@progbits
	.p2align	6, 0x0
	.amdhsa_kernel _ZN4vllm3moe10topkGatingILi8ELi256ELi4ELi16ELi64Ej14__hip_bfloat16LNS0_11ScoringFuncE1EEEvPKT5_PKbPfiPT4_PiiiibPKf
		.amdhsa_group_segment_fixed_size 0
		.amdhsa_private_segment_fixed_size 0
		.amdhsa_kernarg_size 72
		.amdhsa_user_sgpr_count 6
		.amdhsa_user_sgpr_private_segment_buffer 1
		.amdhsa_user_sgpr_dispatch_ptr 0
		.amdhsa_user_sgpr_queue_ptr 0
		.amdhsa_user_sgpr_kernarg_segment_ptr 1
		.amdhsa_user_sgpr_dispatch_id 0
		.amdhsa_user_sgpr_flat_scratch_init 0
		.amdhsa_user_sgpr_kernarg_preload_length 0
		.amdhsa_user_sgpr_kernarg_preload_offset 0
		.amdhsa_user_sgpr_private_segment_size 0
		.amdhsa_uses_dynamic_stack 0
		.amdhsa_system_sgpr_private_segment_wavefront_offset 0
		.amdhsa_system_sgpr_workgroup_id_x 1
		.amdhsa_system_sgpr_workgroup_id_y 0
		.amdhsa_system_sgpr_workgroup_id_z 0
		.amdhsa_system_sgpr_workgroup_info 0
		.amdhsa_system_vgpr_workitem_id 1
		.amdhsa_next_free_vgpr 37
		.amdhsa_next_free_sgpr 26
		.amdhsa_accum_offset 40
		.amdhsa_reserve_vcc 1
		.amdhsa_reserve_flat_scratch 0
		.amdhsa_float_round_mode_32 0
		.amdhsa_float_round_mode_16_64 0
		.amdhsa_float_denorm_mode_32 3
		.amdhsa_float_denorm_mode_16_64 3
		.amdhsa_dx10_clamp 1
		.amdhsa_ieee_mode 1
		.amdhsa_fp16_overflow 0
		.amdhsa_tg_split 0
		.amdhsa_exception_fp_ieee_invalid_op 0
		.amdhsa_exception_fp_denorm_src 0
		.amdhsa_exception_fp_ieee_div_zero 0
		.amdhsa_exception_fp_ieee_overflow 0
		.amdhsa_exception_fp_ieee_underflow 0
		.amdhsa_exception_fp_ieee_inexact 0
		.amdhsa_exception_int_div_zero 0
	.end_amdhsa_kernel
	.section	.text._ZN4vllm3moe10topkGatingILi8ELi256ELi4ELi16ELi64Ej14__hip_bfloat16LNS0_11ScoringFuncE1EEEvPKT5_PKbPfiPT4_PiiiibPKf,"axG",@progbits,_ZN4vllm3moe10topkGatingILi8ELi256ELi4ELi16ELi64Ej14__hip_bfloat16LNS0_11ScoringFuncE1EEEvPKT5_PKbPfiPT4_PiiiibPKf,comdat
.Lfunc_end347:
	.size	_ZN4vllm3moe10topkGatingILi8ELi256ELi4ELi16ELi64Ej14__hip_bfloat16LNS0_11ScoringFuncE1EEEvPKT5_PKbPfiPT4_PiiiibPKf, .Lfunc_end347-_ZN4vllm3moe10topkGatingILi8ELi256ELi4ELi16ELi64Ej14__hip_bfloat16LNS0_11ScoringFuncE1EEEvPKT5_PKbPfiPT4_PiiiibPKf
                                        ; -- End function
	.section	.AMDGPU.csdata,"",@progbits
; Kernel info:
; codeLenInByte = 3176
; NumSgprs: 30
; NumVgprs: 37
; NumAgprs: 0
; TotalNumVgprs: 37
; ScratchSize: 0
; MemoryBound: 0
; FloatMode: 240
; IeeeMode: 1
; LDSByteSize: 0 bytes/workgroup (compile time only)
; SGPRBlocks: 3
; VGPRBlocks: 4
; NumSGPRsForWavesPerEU: 30
; NumVGPRsForWavesPerEU: 37
; AccumOffset: 40
; Occupancy: 8
; WaveLimiterHint : 0
; COMPUTE_PGM_RSRC2:SCRATCH_EN: 0
; COMPUTE_PGM_RSRC2:USER_SGPR: 6
; COMPUTE_PGM_RSRC2:TRAP_HANDLER: 0
; COMPUTE_PGM_RSRC2:TGID_X_EN: 1
; COMPUTE_PGM_RSRC2:TGID_Y_EN: 0
; COMPUTE_PGM_RSRC2:TGID_Z_EN: 0
; COMPUTE_PGM_RSRC2:TIDIG_COMP_CNT: 1
; COMPUTE_PGM_RSRC3_GFX90A:ACCUM_OFFSET: 9
; COMPUTE_PGM_RSRC3_GFX90A:TG_SPLIT: 0
	.section	.text._ZN4vllm3moe10topkGatingILi8ELi256ELi4ELi16ELi32Ej14__hip_bfloat16LNS0_11ScoringFuncE1EEEvPKT5_PKbPfiPT4_PiiiibPKf,"axG",@progbits,_ZN4vllm3moe10topkGatingILi8ELi256ELi4ELi16ELi32Ej14__hip_bfloat16LNS0_11ScoringFuncE1EEEvPKT5_PKbPfiPT4_PiiiibPKf,comdat
	.protected	_ZN4vllm3moe10topkGatingILi8ELi256ELi4ELi16ELi32Ej14__hip_bfloat16LNS0_11ScoringFuncE1EEEvPKT5_PKbPfiPT4_PiiiibPKf ; -- Begin function _ZN4vllm3moe10topkGatingILi8ELi256ELi4ELi16ELi32Ej14__hip_bfloat16LNS0_11ScoringFuncE1EEEvPKT5_PKbPfiPT4_PiiiibPKf
	.globl	_ZN4vllm3moe10topkGatingILi8ELi256ELi4ELi16ELi32Ej14__hip_bfloat16LNS0_11ScoringFuncE1EEEvPKT5_PKbPfiPT4_PiiiibPKf
	.p2align	8
	.type	_ZN4vllm3moe10topkGatingILi8ELi256ELi4ELi16ELi32Ej14__hip_bfloat16LNS0_11ScoringFuncE1EEEvPKT5_PKbPfiPT4_PiiiibPKf,@function
_ZN4vllm3moe10topkGatingILi8ELi256ELi4ELi16ELi32Ej14__hip_bfloat16LNS0_11ScoringFuncE1EEEvPKT5_PKbPfiPT4_PiiiibPKf: ; @_ZN4vllm3moe10topkGatingILi8ELi256ELi4ELi16ELi32Ej14__hip_bfloat16LNS0_11ScoringFuncE1EEEvPKT5_PKbPfiPT4_PiiiibPKf
; %bb.0:
	s_load_dword s24, s[4:5], 0x18
	v_and_b32_e32 v1, 0x3ff, v0
	s_lshl_b32 s0, s6, 2
	v_lshrrev_b32_e32 v2, 5, v1
	v_bfe_u32 v0, v0, 10, 10
	v_add3_u32 v17, s0, v0, v2
	s_waitcnt lgkmcnt(0)
	v_cmp_gt_i32_e32 vcc, s24, v17
	s_and_saveexec_b64 s[0:1], vcc
	s_cbranch_execz .LBB348_42
; %bb.1:
	s_load_dwordx4 s[0:3], s[4:5], 0x0
	s_load_dwordx2 s[16:17], s[4:5], 0x10
	s_mov_b64 s[8:9], -1
	s_mov_b64 s[18:19], -1
	s_waitcnt lgkmcnt(0)
	s_cmp_eq_u64 s[2:3], 0
	s_cbranch_scc1 .LBB348_3
; %bb.2:
	v_ashrrev_i32_e32 v0, 31, v17
	v_mov_b32_e32 v3, s3
	v_add_co_u32_e32 v2, vcc, s2, v17
	v_addc_co_u32_e32 v3, vcc, v3, v0, vcc
	global_load_ubyte v0, v[2:3], off
	s_waitcnt vmcnt(0)
	v_and_b32_e32 v0, 1, v0
	v_cmp_eq_u32_e32 vcc, 1, v0
	s_xor_b64 s[2:3], vcc, -1
	s_orn2_b64 s[18:19], s[2:3], exec
.LBB348_3:
	v_lshlrev_b32_e32 v2, 8, v17
	v_ashrrev_i32_e32 v3, 31, v2
	v_lshlrev_b64 v[2:3], 1, v[2:3]
	v_mov_b32_e32 v0, s1
	v_add_co_u32_e32 v2, vcc, s0, v2
	v_and_b32_e32 v21, 31, v1
	v_addc_co_u32_e32 v3, vcc, v0, v3, vcc
	v_lshlrev_b32_e32 v0, 4, v21
	v_add_co_u32_e32 v0, vcc, v2, v0
	v_addc_co_u32_e32 v1, vcc, 0, v3, vcc
	global_load_dwordx4 v[0:3], v[0:1], off
	v_mov_b32_e32 v8, 0x207
	s_load_dwordx2 s[10:11], s[4:5], 0x40
	v_lshlrev_b32_e32 v22, 3, v21
	s_waitcnt lgkmcnt(0)
	s_cmp_eq_u64 s[10:11], 0
	s_waitcnt vmcnt(0)
	v_lshlrev_b32_e32 v4, 16, v0
	v_and_b32_e32 v0, 0xffff0000, v0
	v_lshlrev_b32_e32 v5, 16, v1
	v_and_b32_e32 v1, 0xffff0000, v1
	v_mul_f32_e32 v4, 0xbfb8aa3b, v4
	v_mul_f32_e32 v9, 0xbfb8aa3b, v0
	;; [unrolled: 1-line block ×3, first 2 shown]
	v_exp_f32_e32 v0, v4
	v_exp_f32_e32 v1, v9
	v_lshlrev_b32_e32 v6, 16, v2
	v_and_b32_e32 v2, 0xffff0000, v2
	v_lshlrev_b32_e32 v7, 16, v3
	v_and_b32_e32 v3, 0xffff0000, v3
	v_mul_f32_e32 v5, 0xbfb8aa3b, v5
	v_mul_f32_e32 v11, 0xbfb8aa3b, v2
	;; [unrolled: 1-line block ×3, first 2 shown]
	v_exp_f32_e32 v2, v5
	v_exp_f32_e32 v3, v10
	v_pk_add_f32 v[0:1], v[0:1], 1.0 op_sel_hi:[1,0]
	v_div_scale_f32 v9, s[0:1], v1, v1, 1.0
	v_rcp_f32_e32 v19, v9
	v_exp_f32_e32 v5, v11
	v_div_scale_f32 v11, s[0:1], v0, v0, 1.0
	v_pk_add_f32 v[2:3], v[2:3], 1.0 op_sel_hi:[1,0]
	v_rcp_f32_e32 v20, v11
	v_div_scale_f32 v13, s[2:3], v3, v3, 1.0
	v_rcp_f32_e32 v23, v13
	v_fma_f32 v26, -v9, v19, 1.0
	v_div_scale_f32 v10, vcc, 1.0, v1, 1.0
	v_div_scale_f32 v15, s[6:7], v2, v2, 1.0
	v_fmac_f32_e32 v19, v26, v19
	v_mul_f32_e32 v6, 0xbfb8aa3b, v6
	v_mul_f32_e32 v7, 0xbfb8aa3b, v7
	v_rcp_f32_e32 v24, v15
	v_fma_f32 v27, -v11, v20, 1.0
	v_mul_f32_e32 v26, v10, v19
	v_exp_f32_e32 v4, v6
	v_exp_f32_e32 v6, v7
	;; [unrolled: 1-line block ×3, first 2 shown]
	v_div_scale_f32 v12, s[0:1], 1.0, v0, 1.0
	v_fmac_f32_e32 v20, v27, v20
	v_fma_f32 v30, -v9, v26, v10
	v_fma_f32 v28, -v13, v23, 1.0
	v_mul_f32_e32 v27, v12, v20
	v_fmac_f32_e32 v26, v30, v19
	v_div_scale_f32 v14, s[2:3], 1.0, v3, 1.0
	v_fmac_f32_e32 v23, v28, v23
	v_fma_f32 v31, -v11, v27, v12
	v_fma_f32 v9, -v9, v26, v10
	v_fma_f32 v29, -v15, v24, 1.0
	v_mul_f32_e32 v28, v14, v23
	v_fmac_f32_e32 v27, v31, v20
	v_div_fmas_f32 v9, v9, v19, v26
	v_div_scale_f32 v16, s[6:7], 1.0, v2, 1.0
	v_fmac_f32_e32 v24, v29, v24
	v_fma_f32 v32, -v13, v28, v14
	v_fma_f32 v10, -v11, v27, v12
	v_div_fixup_f32 v1, v9, v1, 1.0
	s_mov_b64 vcc, s[0:1]
	v_pk_add_f32 v[4:5], v[4:5], 1.0 op_sel_hi:[1,0]
	v_mul_f32_e32 v29, v16, v24
	v_fmac_f32_e32 v28, v32, v23
	v_div_fmas_f32 v9, v10, v20, v27
	v_cmp_class_f32_e32 vcc, v1, v8
	v_div_scale_f32 v18, s[12:13], v5, v5, 1.0
	v_fma_f32 v33, -v15, v29, v16
	v_fma_f32 v11, -v13, v28, v14
	v_div_fixup_f32 v0, v9, v0, 1.0
	v_cndmask_b32_e64 v1, v1, 0, vcc
	s_mov_b64 vcc, s[2:3]
	v_rcp_f32_e32 v25, v18
	v_fmac_f32_e32 v29, v33, v24
	v_div_fmas_f32 v9, v11, v23, v28
	v_cmp_class_f32_e32 vcc, v0, v8
	v_fma_f32 v12, -v15, v29, v16
	v_cndmask_b32_e64 v0, v0, 0, vcc
	s_mov_b64 vcc, s[6:7]
	v_div_fixup_f32 v3, v9, v3, 1.0
	v_div_fmas_f32 v9, v12, v24, v29
	v_div_fixup_f32 v2, v9, v2, 1.0
	v_cmp_class_f32_e32 vcc, v3, v8
	v_cndmask_b32_e64 v3, v3, 0, vcc
	v_cmp_class_f32_e32 vcc, v2, v8
	v_fma_f32 v9, -v18, v25, 1.0
	v_cndmask_b32_e64 v2, v2, 0, vcc
	v_fmac_f32_e32 v25, v9, v25
	v_div_scale_f32 v9, vcc, 1.0, v5, 1.0
	v_mul_f32_e32 v10, v9, v25
	v_fma_f32 v11, -v18, v10, v9
	v_fmac_f32_e32 v10, v11, v25
	v_div_scale_f32 v11, s[0:1], v4, v4, 1.0
	v_rcp_f32_e32 v12, v11
	v_fma_f32 v9, -v18, v10, v9
	v_div_fmas_f32 v9, v9, v25, v10
	v_div_fixup_f32 v5, v9, v5, 1.0
	v_fma_f32 v9, -v11, v12, 1.0
	v_fmac_f32_e32 v12, v9, v12
	v_div_scale_f32 v9, vcc, 1.0, v4, 1.0
	v_mul_f32_e32 v10, v9, v12
	v_fma_f32 v13, -v11, v10, v9
	v_fmac_f32_e32 v10, v13, v12
	v_fma_f32 v9, -v11, v10, v9
	v_div_fmas_f32 v9, v9, v12, v10
	v_pk_add_f32 v[6:7], v[6:7], 1.0 op_sel_hi:[1,0]
	v_div_fixup_f32 v4, v9, v4, 1.0
	v_div_scale_f32 v9, s[0:1], v7, v7, 1.0
	v_rcp_f32_e32 v10, v9
	v_cmp_class_f32_e32 vcc, v5, v8
	v_cndmask_b32_e64 v5, v5, 0, vcc
	v_cmp_class_f32_e32 vcc, v4, v8
	v_fma_f32 v11, -v9, v10, 1.0
	v_cndmask_b32_e64 v4, v4, 0, vcc
	v_fmac_f32_e32 v10, v11, v10
	v_div_scale_f32 v11, vcc, 1.0, v7, 1.0
	v_mul_f32_e32 v12, v11, v10
	v_fma_f32 v13, -v9, v12, v11
	v_fmac_f32_e32 v12, v13, v10
	v_fma_f32 v9, -v9, v12, v11
	v_div_scale_f32 v11, s[0:1], v6, v6, 1.0
	v_rcp_f32_e32 v13, v11
	v_div_fmas_f32 v9, v9, v10, v12
	v_div_fixup_f32 v7, v9, v7, 1.0
	v_fma_f32 v9, -v11, v13, 1.0
	v_fmac_f32_e32 v13, v9, v13
	v_div_scale_f32 v9, vcc, 1.0, v6, 1.0
	v_mul_f32_e32 v10, v9, v13
	v_fma_f32 v12, -v11, v10, v9
	v_fmac_f32_e32 v10, v12, v13
	v_fma_f32 v9, -v11, v10, v9
	v_div_fmas_f32 v9, v9, v13, v10
	v_div_fixup_f32 v6, v9, v6, 1.0
	v_cmp_class_f32_e32 vcc, v7, v8
	v_cndmask_b32_e64 v7, v7, 0, vcc
	v_cmp_class_f32_e32 vcc, v6, v8
	v_cndmask_b32_e64 v6, v6, 0, vcc
	s_cbranch_scc1 .LBB348_31
; %bb.4:
	v_lshlrev_b32_e32 v16, 2, v22
	global_load_dwordx4 v[8:11], v16, s[10:11]
	global_load_dwordx4 v[12:15], v16, s[10:11] offset:16
	s_waitcnt vmcnt(1)
	v_pk_add_f32 v[8:9], v[8:9], v[0:1]
	v_pk_add_f32 v[10:11], v[10:11], v[2:3]
	s_waitcnt vmcnt(0)
	v_pk_add_f32 v[12:13], v[12:13], v[4:5]
	v_pk_add_f32 v[14:15], v[14:15], v[6:7]
	s_cbranch_execnz .LBB348_6
.LBB348_5:
	v_pk_mov_b32 v[14:15], v[6:7], v[6:7] op_sel:[0,1]
	v_pk_mov_b32 v[12:13], v[4:5], v[4:5] op_sel:[0,1]
	;; [unrolled: 1-line block ×4, first 2 shown]
.LBB348_6:
	s_load_dwordx4 s[8:11], s[4:5], 0x30
	s_mov_b32 s25, 0
	v_cmp_eq_u32_e64 s[0:1], 0, v21
	s_waitcnt lgkmcnt(0)
	s_bitcmp1_b32 s11, 0
	s_cselect_b64 vcc, -1, 0
	s_cmp_gt_i32 s8, 0
	s_cselect_b64 s[20:21], -1, 0
	s_cmp_lt_i32 s8, 1
	s_cbranch_scc1 .LBB348_32
; %bb.7:
	v_mbcnt_lo_u32_b32 v16, -1, 0
	v_mbcnt_hi_u32_b32 v16, -1, v16
	v_and_b32_e32 v18, 0x60, v16
	v_add_u32_e32 v18, 32, v18
	v_xor_b32_e32 v19, 16, v16
	v_cmp_lt_i32_e64 s[2:3], v19, v18
	v_cndmask_b32_e64 v19, v16, v19, s[2:3]
	v_lshlrev_b32_e32 v25, 2, v19
	v_xor_b32_e32 v19, 8, v16
	v_cmp_lt_i32_e64 s[2:3], v19, v18
	v_cndmask_b32_e64 v19, v16, v19, s[2:3]
	v_lshlrev_b32_e32 v26, 2, v19
	;; [unrolled: 4-line block ×3, first 2 shown]
	v_xor_b32_e32 v19, 2, v16
	v_cmp_lt_i32_e64 s[2:3], v19, v18
	s_load_dwordx4 s[12:15], s[4:5], 0x20
	v_cndmask_b32_e64 v19, v16, v19, s[2:3]
	v_lshlrev_b32_e32 v28, 2, v19
	v_xor_b32_e32 v19, 1, v16
	v_cmp_lt_i32_e64 s[2:3], v19, v18
	v_cndmask_b32_e64 v16, v16, v19, s[2:3]
	v_mul_lo_u32 v24, v17, s8
	v_lshlrev_b32_e32 v29, 2, v16
	v_mov_b32_e32 v23, 0
	v_mov_b32_e32 v30, 0x100
	;; [unrolled: 1-line block ×4, first 2 shown]
	s_branch .LBB348_10
.LBB348_8:                              ;   in Loop: Header=BB348_10 Depth=1
	s_or_b64 exec, exec, s[4:5]
.LBB348_9:                              ;   in Loop: Header=BB348_10 Depth=1
	s_cmp_eq_u32 s8, s25
	v_add_u32_e32 v32, s24, v32
	s_cbranch_scc1 .LBB348_33
.LBB348_10:                             ; =>This Inner Loop Header: Depth=1
	v_cmp_gt_f32_e64 s[2:3], v9, v8
	s_waitcnt lgkmcnt(0)
	v_cndmask_b32_e64 v19, v8, v9, s[2:3]
	v_cndmask_b32_e64 v16, 0, 1, s[2:3]
	v_cndmask_b32_e64 v18, v0, v1, s[2:3]
	v_cmp_gt_f32_e64 s[2:3], v10, v19
	v_cndmask_b32_e64 v19, v19, v10, s[2:3]
	v_cndmask_b32_e64 v16, v16, 2, s[2:3]
	v_cndmask_b32_e64 v18, v18, v2, s[2:3]
	v_cmp_gt_f32_e64 s[2:3], v11, v19
	;; [unrolled: 4-line block ×6, first 2 shown]
	v_cndmask_b32_e64 v16, v16, 7, s[2:3]
	v_cndmask_b32_e64 v33, v19, v15, s[2:3]
	v_or_b32_e32 v34, v22, v16
	v_cndmask_b32_e64 v16, v18, v7, s[2:3]
	ds_bpermute_b32 v36, v25, v33
	ds_bpermute_b32 v20, v25, v16
	;; [unrolled: 1-line block ×3, first 2 shown]
                                        ; implicit-def: $vgpr18_vgpr19
	s_waitcnt lgkmcnt(0)
	v_cmp_lt_f32_e64 s[6:7], v33, v36
	v_cmp_nlt_f32_e64 s[2:3], v33, v36
	s_and_saveexec_b64 s[22:23], s[2:3]
; %bb.11:                               ;   in Loop: Header=BB348_10 Depth=1
	v_cmp_eq_f32_e64 s[2:3], v33, v36
	v_cmp_lt_i32_e64 s[4:5], v35, v34
	s_and_b64 s[2:3], s[2:3], s[4:5]
	s_andn2_b64 s[4:5], s[6:7], exec
	s_and_b64 s[2:3], s[2:3], exec
	s_or_b64 s[6:7], s[4:5], s[2:3]
	v_pk_mov_b32 v[18:19], v[16:17], v[16:17] op_sel:[0,1]
; %bb.12:                               ;   in Loop: Header=BB348_10 Depth=1
	s_or_b64 exec, exec, s[22:23]
	s_and_saveexec_b64 s[2:3], s[6:7]
; %bb.13:                               ;   in Loop: Header=BB348_10 Depth=1
	v_mov_b32_e32 v33, v36
	v_mov_b32_e32 v16, v20
	;; [unrolled: 1-line block ×3, first 2 shown]
	v_pk_mov_b32 v[18:19], v[20:21], v[20:21] op_sel:[0,1]
; %bb.14:                               ;   in Loop: Header=BB348_10 Depth=1
	s_or_b64 exec, exec, s[2:3]
	ds_bpermute_b32 v35, v26, v33
	ds_bpermute_b32 v20, v26, v16
	;; [unrolled: 1-line block ×3, first 2 shown]
	s_waitcnt lgkmcnt(2)
	v_cmp_lt_f32_e64 s[6:7], v33, v35
	v_cmp_nlt_f32_e64 s[2:3], v33, v35
	s_and_saveexec_b64 s[22:23], s[2:3]
	s_cbranch_execz .LBB348_16
; %bb.15:                               ;   in Loop: Header=BB348_10 Depth=1
	v_cmp_eq_f32_e64 s[2:3], v33, v35
	s_waitcnt lgkmcnt(0)
	v_cmp_lt_i32_e64 s[4:5], v19, v34
	s_and_b64 s[2:3], s[2:3], s[4:5]
	s_andn2_b64 s[4:5], s[6:7], exec
	s_and_b64 s[2:3], s[2:3], exec
	s_or_b64 s[6:7], s[4:5], s[2:3]
.LBB348_16:                             ;   in Loop: Header=BB348_10 Depth=1
	s_or_b64 exec, exec, s[22:23]
	s_and_saveexec_b64 s[2:3], s[6:7]
	s_cbranch_execz .LBB348_18
; %bb.17:                               ;   in Loop: Header=BB348_10 Depth=1
	v_mov_b32_e32 v33, v35
	s_waitcnt lgkmcnt(1)
	v_mov_b32_e32 v16, v20
	s_waitcnt lgkmcnt(0)
	v_mov_b32_e32 v34, v19
	v_pk_mov_b32 v[18:19], v[20:21], v[20:21] op_sel:[0,1]
.LBB348_18:                             ;   in Loop: Header=BB348_10 Depth=1
	s_or_b64 exec, exec, s[2:3]
	ds_bpermute_b32 v35, v27, v33
	s_waitcnt lgkmcnt(2)
	ds_bpermute_b32 v20, v27, v16
	s_waitcnt lgkmcnt(2)
	;; [unrolled: 2-line block ×3, first 2 shown]
	v_cmp_lt_f32_e64 s[6:7], v33, v35
	v_cmp_nlt_f32_e64 s[2:3], v33, v35
	s_and_saveexec_b64 s[22:23], s[2:3]
	s_cbranch_execz .LBB348_20
; %bb.19:                               ;   in Loop: Header=BB348_10 Depth=1
	v_cmp_eq_f32_e64 s[2:3], v33, v35
	s_waitcnt lgkmcnt(0)
	v_cmp_lt_i32_e64 s[4:5], v19, v34
	s_and_b64 s[2:3], s[2:3], s[4:5]
	s_andn2_b64 s[4:5], s[6:7], exec
	s_and_b64 s[2:3], s[2:3], exec
	s_or_b64 s[6:7], s[4:5], s[2:3]
.LBB348_20:                             ;   in Loop: Header=BB348_10 Depth=1
	s_or_b64 exec, exec, s[22:23]
	s_and_saveexec_b64 s[2:3], s[6:7]
	s_cbranch_execz .LBB348_22
; %bb.21:                               ;   in Loop: Header=BB348_10 Depth=1
	v_mov_b32_e32 v33, v35
	s_waitcnt lgkmcnt(1)
	v_mov_b32_e32 v16, v20
	s_waitcnt lgkmcnt(0)
	v_mov_b32_e32 v34, v19
	v_pk_mov_b32 v[18:19], v[20:21], v[20:21] op_sel:[0,1]
.LBB348_22:                             ;   in Loop: Header=BB348_10 Depth=1
	s_or_b64 exec, exec, s[2:3]
	ds_bpermute_b32 v35, v28, v33
	s_waitcnt lgkmcnt(2)
	ds_bpermute_b32 v20, v28, v16
	s_waitcnt lgkmcnt(2)
	;; [unrolled: 2-line block ×3, first 2 shown]
	v_cmp_lt_f32_e64 s[6:7], v33, v35
	v_cmp_nlt_f32_e64 s[2:3], v33, v35
	s_and_saveexec_b64 s[22:23], s[2:3]
	s_cbranch_execz .LBB348_24
; %bb.23:                               ;   in Loop: Header=BB348_10 Depth=1
	v_cmp_eq_f32_e64 s[2:3], v33, v35
	s_waitcnt lgkmcnt(0)
	v_cmp_lt_i32_e64 s[4:5], v19, v34
	s_and_b64 s[2:3], s[2:3], s[4:5]
	s_andn2_b64 s[4:5], s[6:7], exec
	s_and_b64 s[2:3], s[2:3], exec
	s_or_b64 s[6:7], s[4:5], s[2:3]
.LBB348_24:                             ;   in Loop: Header=BB348_10 Depth=1
	s_or_b64 exec, exec, s[22:23]
	s_and_saveexec_b64 s[2:3], s[6:7]
	s_cbranch_execz .LBB348_26
; %bb.25:                               ;   in Loop: Header=BB348_10 Depth=1
	v_mov_b32_e32 v33, v35
	s_waitcnt lgkmcnt(1)
	v_mov_b32_e32 v16, v20
	s_waitcnt lgkmcnt(0)
	v_mov_b32_e32 v34, v19
	v_pk_mov_b32 v[18:19], v[20:21], v[20:21] op_sel:[0,1]
.LBB348_26:                             ;   in Loop: Header=BB348_10 Depth=1
	s_or_b64 exec, exec, s[2:3]
	s_waitcnt lgkmcnt(1)
	ds_bpermute_b32 v20, v29, v33
	ds_bpermute_b32 v35, v29, v34
	s_waitcnt lgkmcnt(2)
	ds_bpermute_b32 v19, v29, v16
	s_waitcnt lgkmcnt(2)
	v_cmp_eq_f32_e64 s[4:5], v33, v20
	s_waitcnt lgkmcnt(1)
	v_cmp_lt_i32_e64 s[6:7], v35, v34
	v_cmp_lt_f32_e64 s[2:3], v33, v20
	s_and_b64 s[4:5], s[4:5], s[6:7]
	s_or_b64 s[2:3], s[2:3], s[4:5]
	v_cndmask_b32_e64 v16, v34, v35, s[2:3]
	s_and_saveexec_b64 s[6:7], s[0:1]
	s_cbranch_execnz .LBB348_28
; %bb.27:                               ;   in Loop: Header=BB348_10 Depth=1
	s_or_b64 exec, exec, s[6:7]
	s_add_i32 s25, s25, 1
	s_cmp_ge_i32 s25, s8
	s_cbranch_scc1 .LBB348_9
	s_branch .LBB348_29
.LBB348_28:                             ;   in Loop: Header=BB348_10 Depth=1
	s_waitcnt lgkmcnt(0)
	v_cndmask_b32_e64 v20, v18, v19, s[2:3]
	v_add_u32_e32 v18, s25, v24
	v_ashrrev_i32_e32 v19, 31, v18
	v_cmp_le_i32_e64 s[2:3], s9, v16
	v_cmp_gt_i32_e64 s[4:5], s10, v16
	v_lshlrev_b64 v[18:19], 2, v[18:19]
	s_and_b64 s[4:5], s[2:3], s[4:5]
	v_mov_b32_e32 v33, s17
	v_add_co_u32_e64 v34, s[2:3], s16, v18
	v_addc_co_u32_e64 v35, s[2:3], v33, v19, s[2:3]
	v_subrev_u32_e32 v33, s9, v16
	s_and_b64 s[2:3], s[18:19], s[4:5]
	global_store_dword v[34:35], v20, off
	v_cndmask_b32_e64 v33, v30, v33, s[2:3]
	v_mov_b32_e32 v35, s13
	v_add_co_u32_e64 v34, s[2:3], s12, v18
	v_addc_co_u32_e64 v35, s[2:3], v35, v19, s[2:3]
	global_store_dword v[34:35], v33, off
	v_mov_b32_e32 v33, s15
	v_add_co_u32_e64 v18, s[2:3], s14, v18
	v_addc_co_u32_e64 v19, s[2:3], v33, v19, s[2:3]
	global_store_dword v[18:19], v32, off
	v_add_f32_e32 v18, v23, v20
	v_cndmask_b32_e32 v23, v23, v18, vcc
	s_or_b64 exec, exec, s[6:7]
	s_add_i32 s25, s25, 1
	s_cmp_ge_i32 s25, s8
	s_cbranch_scc1 .LBB348_9
.LBB348_29:                             ;   in Loop: Header=BB348_10 Depth=1
	v_ashrrev_i32_e32 v18, 31, v16
	s_waitcnt lgkmcnt(0)
	v_lshrrev_b32_e32 v19, 29, v18
	v_add_u32_e32 v20, v16, v19
	v_ashrrev_i32_e32 v19, 3, v20
	v_ashrrev_i32_e32 v20, 31, v20
	v_lshrrev_b32_e32 v20, 27, v20
	v_add_u32_e32 v20, v19, v20
	v_and_b32_e32 v20, 0xffffffe0, v20
	v_sub_u32_e32 v20, v19, v20
	v_cmp_eq_u32_e64 s[2:3], v21, v20
	s_and_saveexec_b64 s[4:5], s[2:3]
	s_cbranch_execz .LBB348_8
; %bb.30:                               ;   in Loop: Header=BB348_10 Depth=1
	v_add_u32_sdwa v18, v16, v18 dst_sel:DWORD dst_unused:UNUSED_PAD src0_sel:DWORD src1_sel:BYTE_3
	v_lshlrev_b32_e32 v19, 3, v19
	v_ashrrev_i32_e32 v18, 8, v18
	v_sub_u32_e32 v16, v16, v19
	v_lshl_add_u32 v16, v18, 3, v16
	v_cmp_ne_u32_e64 s[2:3], 7, v16
	v_cndmask_b32_e64 v15, v31, v15, s[2:3]
	v_cmp_ne_u32_e64 s[2:3], 6, v16
	v_cndmask_b32_e64 v14, v31, v14, s[2:3]
	;; [unrolled: 2-line block ×8, first 2 shown]
	s_branch .LBB348_8
.LBB348_31:
                                        ; implicit-def: $vgpr8_vgpr9_vgpr10_vgpr11_vgpr12_vgpr13_vgpr14_vgpr15
	s_andn2_b64 vcc, exec, s[8:9]
	s_cbranch_vccz .LBB348_5
	s_branch .LBB348_6
.LBB348_32:
	v_mov_b32_e32 v23, 0
.LBB348_33:
	v_cmp_eq_u32_e64 s[0:1], 0, v21
	s_and_b64 s[0:1], s[0:1], vcc
	s_and_b64 exec, exec, s[0:1]
	s_cbranch_execz .LBB348_42
; %bb.34:
	s_andn2_b64 vcc, exec, s[20:21]
	s_cbranch_vccnz .LBB348_42
; %bb.35:
	v_cmp_lt_f32_e32 vcc, 0, v23
	s_mov_b32 s2, 0
	v_cndmask_b32_e32 v0, 1.0, v23, vcc
	v_mul_lo_u32 v4, v17, s8
	s_cmp_eq_u32 s8, 1
	s_mov_b64 s[0:1], -1
	s_cbranch_scc1 .LBB348_39
; %bb.36:
	s_and_b32 s2, s8, 0x7ffffffe
	v_mov_b32_e32 v1, v0
	v_mov_b32_e32 v5, s17
	s_mov_b32 s3, s2
	v_mov_b32_e32 v2, v4
.LBB348_37:                             ; =>This Inner Loop Header: Depth=1
	v_ashrrev_i32_e32 v3, 31, v2
	v_lshlrev_b64 v[6:7], 2, v[2:3]
	v_add_co_u32_e32 v6, vcc, s16, v6
	v_addc_co_u32_e32 v7, vcc, v5, v7, vcc
	global_load_dwordx2 v[8:9], v[6:7], off
	s_add_i32 s3, s3, -2
	s_cmp_lg_u32 s3, 0
	v_add_u32_e32 v2, 2, v2
	s_waitcnt vmcnt(0)
	v_div_scale_f32 v3, s[0:1], v1, v1, v9
	v_div_scale_f32 v11, s[0:1], v0, v0, v8
	v_rcp_f32_e32 v12, v3
	v_rcp_f32_e32 v13, v11
	v_div_scale_f32 v10, vcc, v9, v1, v9
	v_fma_f32 v15, -v3, v12, 1.0
	v_fma_f32 v16, -v11, v13, 1.0
	v_fmac_f32_e32 v12, v15, v12
	v_div_scale_f32 v14, s[0:1], v8, v0, v8
	v_fmac_f32_e32 v13, v16, v13
	v_mul_f32_e32 v15, v10, v12
	v_mul_f32_e32 v16, v14, v13
	v_fma_f32 v17, -v3, v15, v10
	v_fma_f32 v18, -v11, v16, v14
	v_fmac_f32_e32 v15, v17, v12
	v_fmac_f32_e32 v16, v18, v13
	v_fma_f32 v3, -v3, v15, v10
	v_fma_f32 v10, -v11, v16, v14
	v_div_fmas_f32 v3, v3, v12, v15
	s_mov_b64 vcc, s[0:1]
	v_div_fixup_f32 v9, v3, v1, v9
	v_div_fmas_f32 v3, v10, v13, v16
	v_div_fixup_f32 v8, v3, v0, v8
	global_store_dwordx2 v[6:7], v[8:9], off
	s_cbranch_scc1 .LBB348_37
; %bb.38:
	s_cmp_lg_u32 s2, s8
	s_cselect_b64 s[0:1], -1, 0
.LBB348_39:
	s_and_b64 vcc, exec, s[0:1]
	s_cbranch_vccz .LBB348_42
; %bb.40:
	v_ashrrev_i32_e32 v1, 31, v4
	v_add_co_u32_e32 v2, vcc, s2, v4
	v_addc_co_u32_e32 v3, vcc, 0, v1, vcc
	v_lshlrev_b64 v[2:3], 2, v[2:3]
	v_mov_b32_e32 v1, s17
	v_add_co_u32_e32 v2, vcc, s16, v2
	s_sub_i32 s0, s8, s2
	v_addc_co_u32_e32 v3, vcc, v1, v3, vcc
.LBB348_41:                             ; =>This Inner Loop Header: Depth=1
	global_load_dword v1, v[2:3], off
	s_add_i32 s0, s0, -1
	s_cmp_lg_u32 s0, 0
	s_waitcnt vmcnt(0)
	v_div_scale_f32 v4, s[2:3], v0, v0, v1
	v_rcp_f32_e32 v5, v4
	v_div_scale_f32 v6, vcc, v1, v0, v1
	v_fma_f32 v7, -v4, v5, 1.0
	v_fmac_f32_e32 v5, v7, v5
	v_mul_f32_e32 v7, v6, v5
	v_fma_f32 v8, -v4, v7, v6
	v_fmac_f32_e32 v7, v8, v5
	v_fma_f32 v4, -v4, v7, v6
	v_div_fmas_f32 v4, v4, v5, v7
	v_div_fixup_f32 v1, v4, v0, v1
	global_store_dword v[2:3], v1, off
	v_add_co_u32_e32 v2, vcc, 4, v2
	v_addc_co_u32_e32 v3, vcc, 0, v3, vcc
	s_cbranch_scc1 .LBB348_41
.LBB348_42:
	s_endpgm
	.section	.rodata,"a",@progbits
	.p2align	6, 0x0
	.amdhsa_kernel _ZN4vllm3moe10topkGatingILi8ELi256ELi4ELi16ELi32Ej14__hip_bfloat16LNS0_11ScoringFuncE1EEEvPKT5_PKbPfiPT4_PiiiibPKf
		.amdhsa_group_segment_fixed_size 0
		.amdhsa_private_segment_fixed_size 0
		.amdhsa_kernarg_size 72
		.amdhsa_user_sgpr_count 6
		.amdhsa_user_sgpr_private_segment_buffer 1
		.amdhsa_user_sgpr_dispatch_ptr 0
		.amdhsa_user_sgpr_queue_ptr 0
		.amdhsa_user_sgpr_kernarg_segment_ptr 1
		.amdhsa_user_sgpr_dispatch_id 0
		.amdhsa_user_sgpr_flat_scratch_init 0
		.amdhsa_user_sgpr_kernarg_preload_length 0
		.amdhsa_user_sgpr_kernarg_preload_offset 0
		.amdhsa_user_sgpr_private_segment_size 0
		.amdhsa_uses_dynamic_stack 0
		.amdhsa_system_sgpr_private_segment_wavefront_offset 0
		.amdhsa_system_sgpr_workgroup_id_x 1
		.amdhsa_system_sgpr_workgroup_id_y 0
		.amdhsa_system_sgpr_workgroup_id_z 0
		.amdhsa_system_sgpr_workgroup_info 0
		.amdhsa_system_vgpr_workitem_id 1
		.amdhsa_next_free_vgpr 37
		.amdhsa_next_free_sgpr 26
		.amdhsa_accum_offset 40
		.amdhsa_reserve_vcc 1
		.amdhsa_reserve_flat_scratch 0
		.amdhsa_float_round_mode_32 0
		.amdhsa_float_round_mode_16_64 0
		.amdhsa_float_denorm_mode_32 3
		.amdhsa_float_denorm_mode_16_64 3
		.amdhsa_dx10_clamp 1
		.amdhsa_ieee_mode 1
		.amdhsa_fp16_overflow 0
		.amdhsa_tg_split 0
		.amdhsa_exception_fp_ieee_invalid_op 0
		.amdhsa_exception_fp_denorm_src 0
		.amdhsa_exception_fp_ieee_div_zero 0
		.amdhsa_exception_fp_ieee_overflow 0
		.amdhsa_exception_fp_ieee_underflow 0
		.amdhsa_exception_fp_ieee_inexact 0
		.amdhsa_exception_int_div_zero 0
	.end_amdhsa_kernel
	.section	.text._ZN4vllm3moe10topkGatingILi8ELi256ELi4ELi16ELi32Ej14__hip_bfloat16LNS0_11ScoringFuncE1EEEvPKT5_PKbPfiPT4_PiiiibPKf,"axG",@progbits,_ZN4vllm3moe10topkGatingILi8ELi256ELi4ELi16ELi32Ej14__hip_bfloat16LNS0_11ScoringFuncE1EEEvPKT5_PKbPfiPT4_PiiiibPKf,comdat
.Lfunc_end348:
	.size	_ZN4vllm3moe10topkGatingILi8ELi256ELi4ELi16ELi32Ej14__hip_bfloat16LNS0_11ScoringFuncE1EEEvPKT5_PKbPfiPT4_PiiiibPKf, .Lfunc_end348-_ZN4vllm3moe10topkGatingILi8ELi256ELi4ELi16ELi32Ej14__hip_bfloat16LNS0_11ScoringFuncE1EEEvPKT5_PKbPfiPT4_PiiiibPKf
                                        ; -- End function
	.section	.AMDGPU.csdata,"",@progbits
; Kernel info:
; codeLenInByte = 3172
; NumSgprs: 30
; NumVgprs: 37
; NumAgprs: 0
; TotalNumVgprs: 37
; ScratchSize: 0
; MemoryBound: 0
; FloatMode: 240
; IeeeMode: 1
; LDSByteSize: 0 bytes/workgroup (compile time only)
; SGPRBlocks: 3
; VGPRBlocks: 4
; NumSGPRsForWavesPerEU: 30
; NumVGPRsForWavesPerEU: 37
; AccumOffset: 40
; Occupancy: 8
; WaveLimiterHint : 0
; COMPUTE_PGM_RSRC2:SCRATCH_EN: 0
; COMPUTE_PGM_RSRC2:USER_SGPR: 6
; COMPUTE_PGM_RSRC2:TRAP_HANDLER: 0
; COMPUTE_PGM_RSRC2:TGID_X_EN: 1
; COMPUTE_PGM_RSRC2:TGID_Y_EN: 0
; COMPUTE_PGM_RSRC2:TGID_Z_EN: 0
; COMPUTE_PGM_RSRC2:TIDIG_COMP_CNT: 1
; COMPUTE_PGM_RSRC3_GFX90A:ACCUM_OFFSET: 9
; COMPUTE_PGM_RSRC3_GFX90A:TG_SPLIT: 0
	.section	.text._ZN4vllm3moe10topkGatingILi8ELi512ELi4ELi16ELi64Ej14__hip_bfloat16LNS0_11ScoringFuncE1EEEvPKT5_PKbPfiPT4_PiiiibPKf,"axG",@progbits,_ZN4vllm3moe10topkGatingILi8ELi512ELi4ELi16ELi64Ej14__hip_bfloat16LNS0_11ScoringFuncE1EEEvPKT5_PKbPfiPT4_PiiiibPKf,comdat
	.protected	_ZN4vllm3moe10topkGatingILi8ELi512ELi4ELi16ELi64Ej14__hip_bfloat16LNS0_11ScoringFuncE1EEEvPKT5_PKbPfiPT4_PiiiibPKf ; -- Begin function _ZN4vllm3moe10topkGatingILi8ELi512ELi4ELi16ELi64Ej14__hip_bfloat16LNS0_11ScoringFuncE1EEEvPKT5_PKbPfiPT4_PiiiibPKf
	.globl	_ZN4vllm3moe10topkGatingILi8ELi512ELi4ELi16ELi64Ej14__hip_bfloat16LNS0_11ScoringFuncE1EEEvPKT5_PKbPfiPT4_PiiiibPKf
	.p2align	8
	.type	_ZN4vllm3moe10topkGatingILi8ELi512ELi4ELi16ELi64Ej14__hip_bfloat16LNS0_11ScoringFuncE1EEEvPKT5_PKbPfiPT4_PiiiibPKf,@function
_ZN4vllm3moe10topkGatingILi8ELi512ELi4ELi16ELi64Ej14__hip_bfloat16LNS0_11ScoringFuncE1EEEvPKT5_PKbPfiPT4_PiiiibPKf: ; @_ZN4vllm3moe10topkGatingILi8ELi512ELi4ELi16ELi64Ej14__hip_bfloat16LNS0_11ScoringFuncE1EEEvPKT5_PKbPfiPT4_PiiiibPKf
; %bb.0:
	s_load_dword s24, s[4:5], 0x18
	v_and_b32_e32 v1, 0x3ff, v0
	s_lshl_b32 s0, s6, 2
	v_lshrrev_b32_e32 v2, 6, v1
	v_bfe_u32 v0, v0, 10, 10
	v_add3_u32 v17, s0, v0, v2
	s_waitcnt lgkmcnt(0)
	v_cmp_gt_i32_e32 vcc, s24, v17
	s_and_saveexec_b64 s[0:1], vcc
	s_cbranch_execz .LBB349_46
; %bb.1:
	s_load_dwordx4 s[0:3], s[4:5], 0x0
	s_load_dwordx2 s[16:17], s[4:5], 0x10
	s_mov_b64 s[8:9], -1
	s_mov_b64 s[18:19], -1
	s_waitcnt lgkmcnt(0)
	s_cmp_eq_u64 s[2:3], 0
	s_cbranch_scc1 .LBB349_3
; %bb.2:
	v_ashrrev_i32_e32 v0, 31, v17
	v_mov_b32_e32 v3, s3
	v_add_co_u32_e32 v2, vcc, s2, v17
	v_addc_co_u32_e32 v3, vcc, v3, v0, vcc
	global_load_ubyte v0, v[2:3], off
	s_waitcnt vmcnt(0)
	v_and_b32_e32 v0, 1, v0
	v_cmp_eq_u32_e32 vcc, 1, v0
	s_xor_b64 s[2:3], vcc, -1
	s_orn2_b64 s[18:19], s[2:3], exec
.LBB349_3:
	v_lshlrev_b32_e32 v2, 9, v17
	v_ashrrev_i32_e32 v3, 31, v2
	v_lshlrev_b64 v[2:3], 1, v[2:3]
	v_mov_b32_e32 v0, s1
	v_add_co_u32_e32 v2, vcc, s0, v2
	v_and_b32_e32 v21, 63, v1
	v_addc_co_u32_e32 v3, vcc, v0, v3, vcc
	v_lshlrev_b32_e32 v0, 4, v21
	v_add_co_u32_e32 v0, vcc, v2, v0
	v_addc_co_u32_e32 v1, vcc, 0, v3, vcc
	global_load_dwordx4 v[0:3], v[0:1], off
	v_mov_b32_e32 v8, 0x207
	s_load_dwordx2 s[10:11], s[4:5], 0x40
	v_lshlrev_b32_e32 v22, 3, v21
	s_waitcnt lgkmcnt(0)
	s_cmp_eq_u64 s[10:11], 0
	s_waitcnt vmcnt(0)
	v_lshlrev_b32_e32 v4, 16, v0
	v_and_b32_e32 v0, 0xffff0000, v0
	v_lshlrev_b32_e32 v5, 16, v1
	v_and_b32_e32 v1, 0xffff0000, v1
	v_mul_f32_e32 v4, 0xbfb8aa3b, v4
	v_mul_f32_e32 v9, 0xbfb8aa3b, v0
	;; [unrolled: 1-line block ×3, first 2 shown]
	v_exp_f32_e32 v0, v4
	v_exp_f32_e32 v1, v9
	v_lshlrev_b32_e32 v6, 16, v2
	v_and_b32_e32 v2, 0xffff0000, v2
	v_lshlrev_b32_e32 v7, 16, v3
	v_and_b32_e32 v3, 0xffff0000, v3
	v_mul_f32_e32 v5, 0xbfb8aa3b, v5
	v_mul_f32_e32 v11, 0xbfb8aa3b, v2
	;; [unrolled: 1-line block ×3, first 2 shown]
	v_exp_f32_e32 v2, v5
	v_exp_f32_e32 v3, v10
	v_pk_add_f32 v[0:1], v[0:1], 1.0 op_sel_hi:[1,0]
	v_div_scale_f32 v9, s[0:1], v1, v1, 1.0
	v_rcp_f32_e32 v19, v9
	v_exp_f32_e32 v5, v11
	v_div_scale_f32 v11, s[0:1], v0, v0, 1.0
	v_pk_add_f32 v[2:3], v[2:3], 1.0 op_sel_hi:[1,0]
	v_rcp_f32_e32 v20, v11
	v_div_scale_f32 v13, s[2:3], v3, v3, 1.0
	v_rcp_f32_e32 v23, v13
	v_fma_f32 v26, -v9, v19, 1.0
	v_div_scale_f32 v10, vcc, 1.0, v1, 1.0
	v_div_scale_f32 v15, s[6:7], v2, v2, 1.0
	v_fmac_f32_e32 v19, v26, v19
	v_mul_f32_e32 v6, 0xbfb8aa3b, v6
	v_mul_f32_e32 v7, 0xbfb8aa3b, v7
	v_rcp_f32_e32 v24, v15
	v_fma_f32 v27, -v11, v20, 1.0
	v_mul_f32_e32 v26, v10, v19
	v_exp_f32_e32 v4, v6
	v_exp_f32_e32 v6, v7
	;; [unrolled: 1-line block ×3, first 2 shown]
	v_div_scale_f32 v12, s[0:1], 1.0, v0, 1.0
	v_fmac_f32_e32 v20, v27, v20
	v_fma_f32 v30, -v9, v26, v10
	v_fma_f32 v28, -v13, v23, 1.0
	v_mul_f32_e32 v27, v12, v20
	v_fmac_f32_e32 v26, v30, v19
	v_div_scale_f32 v14, s[2:3], 1.0, v3, 1.0
	v_fmac_f32_e32 v23, v28, v23
	v_fma_f32 v31, -v11, v27, v12
	v_fma_f32 v9, -v9, v26, v10
	v_fma_f32 v29, -v15, v24, 1.0
	v_mul_f32_e32 v28, v14, v23
	v_fmac_f32_e32 v27, v31, v20
	v_div_fmas_f32 v9, v9, v19, v26
	v_div_scale_f32 v16, s[6:7], 1.0, v2, 1.0
	v_fmac_f32_e32 v24, v29, v24
	v_fma_f32 v32, -v13, v28, v14
	v_fma_f32 v10, -v11, v27, v12
	v_div_fixup_f32 v1, v9, v1, 1.0
	s_mov_b64 vcc, s[0:1]
	v_pk_add_f32 v[4:5], v[4:5], 1.0 op_sel_hi:[1,0]
	v_mul_f32_e32 v29, v16, v24
	v_fmac_f32_e32 v28, v32, v23
	v_div_fmas_f32 v9, v10, v20, v27
	v_cmp_class_f32_e32 vcc, v1, v8
	v_div_scale_f32 v18, s[12:13], v5, v5, 1.0
	v_fma_f32 v33, -v15, v29, v16
	v_fma_f32 v11, -v13, v28, v14
	v_div_fixup_f32 v0, v9, v0, 1.0
	v_cndmask_b32_e64 v1, v1, 0, vcc
	s_mov_b64 vcc, s[2:3]
	v_rcp_f32_e32 v25, v18
	v_fmac_f32_e32 v29, v33, v24
	v_div_fmas_f32 v9, v11, v23, v28
	v_cmp_class_f32_e32 vcc, v0, v8
	v_fma_f32 v12, -v15, v29, v16
	v_cndmask_b32_e64 v0, v0, 0, vcc
	s_mov_b64 vcc, s[6:7]
	v_div_fixup_f32 v3, v9, v3, 1.0
	v_div_fmas_f32 v9, v12, v24, v29
	v_div_fixup_f32 v2, v9, v2, 1.0
	v_cmp_class_f32_e32 vcc, v3, v8
	v_cndmask_b32_e64 v3, v3, 0, vcc
	v_cmp_class_f32_e32 vcc, v2, v8
	v_fma_f32 v9, -v18, v25, 1.0
	v_cndmask_b32_e64 v2, v2, 0, vcc
	v_fmac_f32_e32 v25, v9, v25
	v_div_scale_f32 v9, vcc, 1.0, v5, 1.0
	v_mul_f32_e32 v10, v9, v25
	v_fma_f32 v11, -v18, v10, v9
	v_fmac_f32_e32 v10, v11, v25
	v_div_scale_f32 v11, s[0:1], v4, v4, 1.0
	v_rcp_f32_e32 v12, v11
	v_fma_f32 v9, -v18, v10, v9
	v_div_fmas_f32 v9, v9, v25, v10
	v_div_fixup_f32 v5, v9, v5, 1.0
	v_fma_f32 v9, -v11, v12, 1.0
	v_fmac_f32_e32 v12, v9, v12
	v_div_scale_f32 v9, vcc, 1.0, v4, 1.0
	v_mul_f32_e32 v10, v9, v12
	v_fma_f32 v13, -v11, v10, v9
	v_fmac_f32_e32 v10, v13, v12
	v_fma_f32 v9, -v11, v10, v9
	v_div_fmas_f32 v9, v9, v12, v10
	v_pk_add_f32 v[6:7], v[6:7], 1.0 op_sel_hi:[1,0]
	v_div_fixup_f32 v4, v9, v4, 1.0
	v_div_scale_f32 v9, s[0:1], v7, v7, 1.0
	v_rcp_f32_e32 v10, v9
	v_cmp_class_f32_e32 vcc, v5, v8
	v_cndmask_b32_e64 v5, v5, 0, vcc
	v_cmp_class_f32_e32 vcc, v4, v8
	v_fma_f32 v11, -v9, v10, 1.0
	v_cndmask_b32_e64 v4, v4, 0, vcc
	v_fmac_f32_e32 v10, v11, v10
	v_div_scale_f32 v11, vcc, 1.0, v7, 1.0
	v_mul_f32_e32 v12, v11, v10
	v_fma_f32 v13, -v9, v12, v11
	v_fmac_f32_e32 v12, v13, v10
	v_fma_f32 v9, -v9, v12, v11
	v_div_scale_f32 v11, s[0:1], v6, v6, 1.0
	v_rcp_f32_e32 v13, v11
	v_div_fmas_f32 v9, v9, v10, v12
	v_div_fixup_f32 v7, v9, v7, 1.0
	v_fma_f32 v9, -v11, v13, 1.0
	v_fmac_f32_e32 v13, v9, v13
	v_div_scale_f32 v9, vcc, 1.0, v6, 1.0
	v_mul_f32_e32 v10, v9, v13
	v_fma_f32 v12, -v11, v10, v9
	v_fmac_f32_e32 v10, v12, v13
	v_fma_f32 v9, -v11, v10, v9
	v_div_fmas_f32 v9, v9, v13, v10
	v_div_fixup_f32 v6, v9, v6, 1.0
	v_cmp_class_f32_e32 vcc, v7, v8
	v_cndmask_b32_e64 v7, v7, 0, vcc
	v_cmp_class_f32_e32 vcc, v6, v8
	v_cndmask_b32_e64 v6, v6, 0, vcc
	s_cbranch_scc1 .LBB349_35
; %bb.4:
	v_lshlrev_b32_e32 v16, 2, v22
	global_load_dwordx4 v[8:11], v16, s[10:11]
	global_load_dwordx4 v[12:15], v16, s[10:11] offset:16
	s_waitcnt vmcnt(1)
	v_pk_add_f32 v[8:9], v[8:9], v[0:1]
	v_pk_add_f32 v[10:11], v[10:11], v[2:3]
	s_waitcnt vmcnt(0)
	v_pk_add_f32 v[12:13], v[12:13], v[4:5]
	v_pk_add_f32 v[14:15], v[14:15], v[6:7]
	s_cbranch_execnz .LBB349_6
.LBB349_5:
	v_pk_mov_b32 v[14:15], v[6:7], v[6:7] op_sel:[0,1]
	v_pk_mov_b32 v[12:13], v[4:5], v[4:5] op_sel:[0,1]
	;; [unrolled: 1-line block ×4, first 2 shown]
.LBB349_6:
	s_load_dwordx4 s[8:11], s[4:5], 0x30
	s_mov_b32 s25, 0
	v_cmp_eq_u32_e64 s[0:1], 0, v21
	s_waitcnt lgkmcnt(0)
	s_bitcmp1_b32 s11, 0
	s_cselect_b64 vcc, -1, 0
	s_cmp_gt_i32 s8, 0
	s_cselect_b64 s[20:21], -1, 0
	s_cmp_lt_i32 s8, 1
	s_cbranch_scc1 .LBB349_36
; %bb.7:
	v_mbcnt_lo_u32_b32 v16, -1, 0
	v_mbcnt_hi_u32_b32 v16, -1, v16
	v_and_b32_e32 v18, 64, v16
	v_add_u32_e32 v18, 64, v18
	v_xor_b32_e32 v19, 32, v16
	v_cmp_lt_i32_e64 s[2:3], v19, v18
	v_cndmask_b32_e64 v19, v16, v19, s[2:3]
	v_lshlrev_b32_e32 v25, 2, v19
	v_xor_b32_e32 v19, 16, v16
	v_cmp_lt_i32_e64 s[2:3], v19, v18
	v_cndmask_b32_e64 v19, v16, v19, s[2:3]
	v_lshlrev_b32_e32 v26, 2, v19
	;; [unrolled: 4-line block ×4, first 2 shown]
	v_xor_b32_e32 v19, 2, v16
	v_cmp_lt_i32_e64 s[2:3], v19, v18
	s_load_dwordx4 s[12:15], s[4:5], 0x20
	v_cndmask_b32_e64 v19, v16, v19, s[2:3]
	v_lshlrev_b32_e32 v29, 2, v19
	v_xor_b32_e32 v19, 1, v16
	v_cmp_lt_i32_e64 s[2:3], v19, v18
	v_cndmask_b32_e64 v16, v16, v19, s[2:3]
	v_mul_lo_u32 v24, v17, s8
	v_lshlrev_b32_e32 v30, 2, v16
	v_mov_b32_e32 v23, 0
	v_mov_b32_e32 v31, 0x200
	;; [unrolled: 1-line block ×4, first 2 shown]
	s_branch .LBB349_10
.LBB349_8:                              ;   in Loop: Header=BB349_10 Depth=1
	s_or_b64 exec, exec, s[4:5]
.LBB349_9:                              ;   in Loop: Header=BB349_10 Depth=1
	s_cmp_eq_u32 s8, s25
	v_add_u32_e32 v33, s24, v33
	s_cbranch_scc1 .LBB349_37
.LBB349_10:                             ; =>This Inner Loop Header: Depth=1
	v_cmp_gt_f32_e64 s[2:3], v9, v8
	s_waitcnt lgkmcnt(0)
	v_cndmask_b32_e64 v19, v8, v9, s[2:3]
	v_cndmask_b32_e64 v16, 0, 1, s[2:3]
	v_cndmask_b32_e64 v18, v0, v1, s[2:3]
	v_cmp_gt_f32_e64 s[2:3], v10, v19
	v_cndmask_b32_e64 v19, v19, v10, s[2:3]
	v_cndmask_b32_e64 v16, v16, 2, s[2:3]
	v_cndmask_b32_e64 v18, v18, v2, s[2:3]
	v_cmp_gt_f32_e64 s[2:3], v11, v19
	;; [unrolled: 4-line block ×6, first 2 shown]
	v_cndmask_b32_e64 v16, v16, 7, s[2:3]
	v_cndmask_b32_e64 v34, v19, v15, s[2:3]
	v_or_b32_e32 v35, v22, v16
	v_cndmask_b32_e64 v16, v18, v7, s[2:3]
	ds_bpermute_b32 v37, v25, v34
	ds_bpermute_b32 v20, v25, v16
	;; [unrolled: 1-line block ×3, first 2 shown]
                                        ; implicit-def: $vgpr18_vgpr19
	s_waitcnt lgkmcnt(0)
	v_cmp_lt_f32_e64 s[6:7], v34, v37
	v_cmp_nlt_f32_e64 s[2:3], v34, v37
	s_and_saveexec_b64 s[22:23], s[2:3]
; %bb.11:                               ;   in Loop: Header=BB349_10 Depth=1
	v_cmp_eq_f32_e64 s[2:3], v34, v37
	v_cmp_lt_i32_e64 s[4:5], v36, v35
	s_and_b64 s[2:3], s[2:3], s[4:5]
	s_andn2_b64 s[4:5], s[6:7], exec
	s_and_b64 s[2:3], s[2:3], exec
	s_or_b64 s[6:7], s[4:5], s[2:3]
	v_pk_mov_b32 v[18:19], v[16:17], v[16:17] op_sel:[0,1]
; %bb.12:                               ;   in Loop: Header=BB349_10 Depth=1
	s_or_b64 exec, exec, s[22:23]
	s_and_saveexec_b64 s[2:3], s[6:7]
; %bb.13:                               ;   in Loop: Header=BB349_10 Depth=1
	v_mov_b32_e32 v34, v37
	v_mov_b32_e32 v16, v20
	;; [unrolled: 1-line block ×3, first 2 shown]
	v_pk_mov_b32 v[18:19], v[20:21], v[20:21] op_sel:[0,1]
; %bb.14:                               ;   in Loop: Header=BB349_10 Depth=1
	s_or_b64 exec, exec, s[2:3]
	ds_bpermute_b32 v36, v26, v34
	ds_bpermute_b32 v20, v26, v16
	;; [unrolled: 1-line block ×3, first 2 shown]
	s_waitcnt lgkmcnt(2)
	v_cmp_lt_f32_e64 s[6:7], v34, v36
	v_cmp_nlt_f32_e64 s[2:3], v34, v36
	s_and_saveexec_b64 s[22:23], s[2:3]
	s_cbranch_execz .LBB349_16
; %bb.15:                               ;   in Loop: Header=BB349_10 Depth=1
	v_cmp_eq_f32_e64 s[2:3], v34, v36
	s_waitcnt lgkmcnt(0)
	v_cmp_lt_i32_e64 s[4:5], v19, v35
	s_and_b64 s[2:3], s[2:3], s[4:5]
	s_andn2_b64 s[4:5], s[6:7], exec
	s_and_b64 s[2:3], s[2:3], exec
	s_or_b64 s[6:7], s[4:5], s[2:3]
.LBB349_16:                             ;   in Loop: Header=BB349_10 Depth=1
	s_or_b64 exec, exec, s[22:23]
	s_and_saveexec_b64 s[2:3], s[6:7]
	s_cbranch_execz .LBB349_18
; %bb.17:                               ;   in Loop: Header=BB349_10 Depth=1
	v_mov_b32_e32 v34, v36
	s_waitcnt lgkmcnt(1)
	v_mov_b32_e32 v16, v20
	s_waitcnt lgkmcnt(0)
	v_mov_b32_e32 v35, v19
	v_pk_mov_b32 v[18:19], v[20:21], v[20:21] op_sel:[0,1]
.LBB349_18:                             ;   in Loop: Header=BB349_10 Depth=1
	s_or_b64 exec, exec, s[2:3]
	ds_bpermute_b32 v36, v27, v34
	s_waitcnt lgkmcnt(2)
	ds_bpermute_b32 v20, v27, v16
	s_waitcnt lgkmcnt(2)
	ds_bpermute_b32 v19, v27, v35
	s_waitcnt lgkmcnt(2)
	v_cmp_lt_f32_e64 s[6:7], v34, v36
	v_cmp_nlt_f32_e64 s[2:3], v34, v36
	s_and_saveexec_b64 s[22:23], s[2:3]
	s_cbranch_execz .LBB349_20
; %bb.19:                               ;   in Loop: Header=BB349_10 Depth=1
	v_cmp_eq_f32_e64 s[2:3], v34, v36
	s_waitcnt lgkmcnt(0)
	v_cmp_lt_i32_e64 s[4:5], v19, v35
	s_and_b64 s[2:3], s[2:3], s[4:5]
	s_andn2_b64 s[4:5], s[6:7], exec
	s_and_b64 s[2:3], s[2:3], exec
	s_or_b64 s[6:7], s[4:5], s[2:3]
.LBB349_20:                             ;   in Loop: Header=BB349_10 Depth=1
	s_or_b64 exec, exec, s[22:23]
	s_and_saveexec_b64 s[2:3], s[6:7]
	s_cbranch_execz .LBB349_22
; %bb.21:                               ;   in Loop: Header=BB349_10 Depth=1
	v_mov_b32_e32 v34, v36
	s_waitcnt lgkmcnt(1)
	v_mov_b32_e32 v16, v20
	s_waitcnt lgkmcnt(0)
	v_mov_b32_e32 v35, v19
	v_pk_mov_b32 v[18:19], v[20:21], v[20:21] op_sel:[0,1]
.LBB349_22:                             ;   in Loop: Header=BB349_10 Depth=1
	s_or_b64 exec, exec, s[2:3]
	ds_bpermute_b32 v36, v28, v34
	s_waitcnt lgkmcnt(2)
	ds_bpermute_b32 v20, v28, v16
	s_waitcnt lgkmcnt(2)
	ds_bpermute_b32 v19, v28, v35
	;; [unrolled: 31-line block ×3, first 2 shown]
	s_waitcnt lgkmcnt(2)
	v_cmp_lt_f32_e64 s[6:7], v34, v36
	v_cmp_nlt_f32_e64 s[2:3], v34, v36
	s_and_saveexec_b64 s[22:23], s[2:3]
	s_cbranch_execz .LBB349_28
; %bb.27:                               ;   in Loop: Header=BB349_10 Depth=1
	v_cmp_eq_f32_e64 s[2:3], v34, v36
	s_waitcnt lgkmcnt(0)
	v_cmp_lt_i32_e64 s[4:5], v19, v35
	s_and_b64 s[2:3], s[2:3], s[4:5]
	s_andn2_b64 s[4:5], s[6:7], exec
	s_and_b64 s[2:3], s[2:3], exec
	s_or_b64 s[6:7], s[4:5], s[2:3]
.LBB349_28:                             ;   in Loop: Header=BB349_10 Depth=1
	s_or_b64 exec, exec, s[22:23]
	s_and_saveexec_b64 s[2:3], s[6:7]
	s_cbranch_execz .LBB349_30
; %bb.29:                               ;   in Loop: Header=BB349_10 Depth=1
	v_mov_b32_e32 v34, v36
	s_waitcnt lgkmcnt(1)
	v_mov_b32_e32 v16, v20
	s_waitcnt lgkmcnt(0)
	v_mov_b32_e32 v35, v19
	v_pk_mov_b32 v[18:19], v[20:21], v[20:21] op_sel:[0,1]
.LBB349_30:                             ;   in Loop: Header=BB349_10 Depth=1
	s_or_b64 exec, exec, s[2:3]
	s_waitcnt lgkmcnt(1)
	ds_bpermute_b32 v20, v30, v34
	ds_bpermute_b32 v36, v30, v35
	s_waitcnt lgkmcnt(2)
	ds_bpermute_b32 v19, v30, v16
	s_waitcnt lgkmcnt(2)
	v_cmp_eq_f32_e64 s[4:5], v34, v20
	s_waitcnt lgkmcnt(1)
	v_cmp_lt_i32_e64 s[6:7], v36, v35
	v_cmp_lt_f32_e64 s[2:3], v34, v20
	s_and_b64 s[4:5], s[4:5], s[6:7]
	s_or_b64 s[2:3], s[2:3], s[4:5]
	v_cndmask_b32_e64 v16, v35, v36, s[2:3]
	s_and_saveexec_b64 s[6:7], s[0:1]
	s_cbranch_execnz .LBB349_32
; %bb.31:                               ;   in Loop: Header=BB349_10 Depth=1
	s_or_b64 exec, exec, s[6:7]
	s_add_i32 s25, s25, 1
	s_cmp_ge_i32 s25, s8
	s_cbranch_scc1 .LBB349_9
	s_branch .LBB349_33
.LBB349_32:                             ;   in Loop: Header=BB349_10 Depth=1
	s_waitcnt lgkmcnt(0)
	v_cndmask_b32_e64 v20, v18, v19, s[2:3]
	v_add_u32_e32 v18, s25, v24
	v_ashrrev_i32_e32 v19, 31, v18
	v_cmp_le_i32_e64 s[2:3], s9, v16
	v_cmp_gt_i32_e64 s[4:5], s10, v16
	v_lshlrev_b64 v[18:19], 2, v[18:19]
	s_and_b64 s[4:5], s[2:3], s[4:5]
	v_mov_b32_e32 v35, s17
	v_add_co_u32_e64 v34, s[2:3], s16, v18
	v_addc_co_u32_e64 v35, s[2:3], v35, v19, s[2:3]
	global_store_dword v[34:35], v20, off
	v_subrev_u32_e32 v34, s9, v16
	s_and_b64 s[2:3], s[18:19], s[4:5]
	v_cndmask_b32_e64 v36, v31, v34, s[2:3]
	v_mov_b32_e32 v35, s13
	v_add_co_u32_e64 v34, s[2:3], s12, v18
	v_addc_co_u32_e64 v35, s[2:3], v35, v19, s[2:3]
	global_store_dword v[34:35], v36, off
	v_mov_b32_e32 v34, s15
	v_add_co_u32_e64 v18, s[2:3], s14, v18
	v_addc_co_u32_e64 v19, s[2:3], v34, v19, s[2:3]
	global_store_dword v[18:19], v33, off
	v_add_f32_e32 v18, v23, v20
	v_cndmask_b32_e32 v23, v23, v18, vcc
	s_or_b64 exec, exec, s[6:7]
	s_add_i32 s25, s25, 1
	s_cmp_ge_i32 s25, s8
	s_cbranch_scc1 .LBB349_9
.LBB349_33:                             ;   in Loop: Header=BB349_10 Depth=1
	s_waitcnt lgkmcnt(0)
	v_ashrrev_i32_e32 v19, 31, v16
	v_lshrrev_b32_e32 v18, 29, v19
	v_add_u32_e32 v20, v16, v18
	v_ashrrev_i32_e32 v18, 3, v20
	v_ashrrev_i32_e32 v20, 31, v20
	v_lshrrev_b32_e32 v20, 26, v20
	v_add_u32_e32 v20, v18, v20
	v_and_b32_e32 v20, 0xffffffc0, v20
	v_sub_u32_e32 v20, v18, v20
	v_cmp_eq_u32_e64 s[2:3], v21, v20
	s_and_saveexec_b64 s[4:5], s[2:3]
	s_cbranch_execz .LBB349_8
; %bb.34:                               ;   in Loop: Header=BB349_10 Depth=1
	v_lshrrev_b32_e32 v19, 23, v19
	v_add_u32_e32 v19, v16, v19
	v_lshlrev_b32_e32 v18, 3, v18
	v_ashrrev_i32_e32 v19, 9, v19
	v_sub_u32_e32 v16, v16, v18
	v_lshl_add_u32 v16, v19, 3, v16
	v_cmp_ne_u32_e64 s[2:3], 7, v16
	v_cndmask_b32_e64 v15, v32, v15, s[2:3]
	v_cmp_ne_u32_e64 s[2:3], 6, v16
	v_cndmask_b32_e64 v14, v32, v14, s[2:3]
	;; [unrolled: 2-line block ×8, first 2 shown]
	s_branch .LBB349_8
.LBB349_35:
                                        ; implicit-def: $vgpr8_vgpr9_vgpr10_vgpr11_vgpr12_vgpr13_vgpr14_vgpr15
	s_andn2_b64 vcc, exec, s[8:9]
	s_cbranch_vccz .LBB349_5
	s_branch .LBB349_6
.LBB349_36:
	v_mov_b32_e32 v23, 0
.LBB349_37:
	v_cmp_eq_u32_e64 s[0:1], 0, v21
	s_and_b64 s[0:1], s[0:1], vcc
	s_and_b64 exec, exec, s[0:1]
	s_cbranch_execz .LBB349_46
; %bb.38:
	s_andn2_b64 vcc, exec, s[20:21]
	s_cbranch_vccnz .LBB349_46
; %bb.39:
	v_cmp_lt_f32_e32 vcc, 0, v23
	s_mov_b32 s2, 0
	v_cndmask_b32_e32 v0, 1.0, v23, vcc
	v_mul_lo_u32 v4, v17, s8
	s_cmp_eq_u32 s8, 1
	s_mov_b64 s[0:1], -1
	s_cbranch_scc1 .LBB349_43
; %bb.40:
	s_and_b32 s2, s8, 0x7ffffffe
	v_mov_b32_e32 v1, v0
	v_mov_b32_e32 v5, s17
	s_mov_b32 s3, s2
	v_mov_b32_e32 v2, v4
.LBB349_41:                             ; =>This Inner Loop Header: Depth=1
	v_ashrrev_i32_e32 v3, 31, v2
	v_lshlrev_b64 v[6:7], 2, v[2:3]
	v_add_co_u32_e32 v6, vcc, s16, v6
	v_addc_co_u32_e32 v7, vcc, v5, v7, vcc
	global_load_dwordx2 v[8:9], v[6:7], off
	s_add_i32 s3, s3, -2
	s_cmp_lg_u32 s3, 0
	v_add_u32_e32 v2, 2, v2
	s_waitcnt vmcnt(0)
	v_div_scale_f32 v3, s[0:1], v1, v1, v9
	v_div_scale_f32 v11, s[0:1], v0, v0, v8
	v_rcp_f32_e32 v12, v3
	v_rcp_f32_e32 v13, v11
	v_div_scale_f32 v10, vcc, v9, v1, v9
	v_fma_f32 v15, -v3, v12, 1.0
	v_fma_f32 v16, -v11, v13, 1.0
	v_fmac_f32_e32 v12, v15, v12
	v_div_scale_f32 v14, s[0:1], v8, v0, v8
	v_fmac_f32_e32 v13, v16, v13
	v_mul_f32_e32 v15, v10, v12
	v_mul_f32_e32 v16, v14, v13
	v_fma_f32 v17, -v3, v15, v10
	v_fma_f32 v18, -v11, v16, v14
	v_fmac_f32_e32 v15, v17, v12
	v_fmac_f32_e32 v16, v18, v13
	v_fma_f32 v3, -v3, v15, v10
	v_fma_f32 v10, -v11, v16, v14
	v_div_fmas_f32 v3, v3, v12, v15
	s_mov_b64 vcc, s[0:1]
	v_div_fixup_f32 v9, v3, v1, v9
	v_div_fmas_f32 v3, v10, v13, v16
	v_div_fixup_f32 v8, v3, v0, v8
	global_store_dwordx2 v[6:7], v[8:9], off
	s_cbranch_scc1 .LBB349_41
; %bb.42:
	s_cmp_lg_u32 s2, s8
	s_cselect_b64 s[0:1], -1, 0
.LBB349_43:
	s_and_b64 vcc, exec, s[0:1]
	s_cbranch_vccz .LBB349_46
; %bb.44:
	v_ashrrev_i32_e32 v1, 31, v4
	v_add_co_u32_e32 v2, vcc, s2, v4
	v_addc_co_u32_e32 v3, vcc, 0, v1, vcc
	v_lshlrev_b64 v[2:3], 2, v[2:3]
	v_mov_b32_e32 v1, s17
	v_add_co_u32_e32 v2, vcc, s16, v2
	s_sub_i32 s0, s8, s2
	v_addc_co_u32_e32 v3, vcc, v1, v3, vcc
.LBB349_45:                             ; =>This Inner Loop Header: Depth=1
	global_load_dword v1, v[2:3], off
	s_add_i32 s0, s0, -1
	s_cmp_lg_u32 s0, 0
	s_waitcnt vmcnt(0)
	v_div_scale_f32 v4, s[2:3], v0, v0, v1
	v_rcp_f32_e32 v5, v4
	v_div_scale_f32 v6, vcc, v1, v0, v1
	v_fma_f32 v7, -v4, v5, 1.0
	v_fmac_f32_e32 v5, v7, v5
	v_mul_f32_e32 v7, v6, v5
	v_fma_f32 v8, -v4, v7, v6
	v_fmac_f32_e32 v7, v8, v5
	v_fma_f32 v4, -v4, v7, v6
	v_div_fmas_f32 v4, v4, v5, v7
	v_div_fixup_f32 v1, v4, v0, v1
	global_store_dword v[2:3], v1, off
	v_add_co_u32_e32 v2, vcc, 4, v2
	v_addc_co_u32_e32 v3, vcc, 0, v3, vcc
	s_cbranch_scc1 .LBB349_45
.LBB349_46:
	s_endpgm
	.section	.rodata,"a",@progbits
	.p2align	6, 0x0
	.amdhsa_kernel _ZN4vllm3moe10topkGatingILi8ELi512ELi4ELi16ELi64Ej14__hip_bfloat16LNS0_11ScoringFuncE1EEEvPKT5_PKbPfiPT4_PiiiibPKf
		.amdhsa_group_segment_fixed_size 0
		.amdhsa_private_segment_fixed_size 0
		.amdhsa_kernarg_size 72
		.amdhsa_user_sgpr_count 6
		.amdhsa_user_sgpr_private_segment_buffer 1
		.amdhsa_user_sgpr_dispatch_ptr 0
		.amdhsa_user_sgpr_queue_ptr 0
		.amdhsa_user_sgpr_kernarg_segment_ptr 1
		.amdhsa_user_sgpr_dispatch_id 0
		.amdhsa_user_sgpr_flat_scratch_init 0
		.amdhsa_user_sgpr_kernarg_preload_length 0
		.amdhsa_user_sgpr_kernarg_preload_offset 0
		.amdhsa_user_sgpr_private_segment_size 0
		.amdhsa_uses_dynamic_stack 0
		.amdhsa_system_sgpr_private_segment_wavefront_offset 0
		.amdhsa_system_sgpr_workgroup_id_x 1
		.amdhsa_system_sgpr_workgroup_id_y 0
		.amdhsa_system_sgpr_workgroup_id_z 0
		.amdhsa_system_sgpr_workgroup_info 0
		.amdhsa_system_vgpr_workitem_id 1
		.amdhsa_next_free_vgpr 38
		.amdhsa_next_free_sgpr 26
		.amdhsa_accum_offset 40
		.amdhsa_reserve_vcc 1
		.amdhsa_reserve_flat_scratch 0
		.amdhsa_float_round_mode_32 0
		.amdhsa_float_round_mode_16_64 0
		.amdhsa_float_denorm_mode_32 3
		.amdhsa_float_denorm_mode_16_64 3
		.amdhsa_dx10_clamp 1
		.amdhsa_ieee_mode 1
		.amdhsa_fp16_overflow 0
		.amdhsa_tg_split 0
		.amdhsa_exception_fp_ieee_invalid_op 0
		.amdhsa_exception_fp_denorm_src 0
		.amdhsa_exception_fp_ieee_div_zero 0
		.amdhsa_exception_fp_ieee_overflow 0
		.amdhsa_exception_fp_ieee_underflow 0
		.amdhsa_exception_fp_ieee_inexact 0
		.amdhsa_exception_int_div_zero 0
	.end_amdhsa_kernel
	.section	.text._ZN4vllm3moe10topkGatingILi8ELi512ELi4ELi16ELi64Ej14__hip_bfloat16LNS0_11ScoringFuncE1EEEvPKT5_PKbPfiPT4_PiiiibPKf,"axG",@progbits,_ZN4vllm3moe10topkGatingILi8ELi512ELi4ELi16ELi64Ej14__hip_bfloat16LNS0_11ScoringFuncE1EEEvPKT5_PKbPfiPT4_PiiiibPKf,comdat
.Lfunc_end349:
	.size	_ZN4vllm3moe10topkGatingILi8ELi512ELi4ELi16ELi64Ej14__hip_bfloat16LNS0_11ScoringFuncE1EEEvPKT5_PKbPfiPT4_PiiiibPKf, .Lfunc_end349-_ZN4vllm3moe10topkGatingILi8ELi512ELi4ELi16ELi64Ej14__hip_bfloat16LNS0_11ScoringFuncE1EEEvPKT5_PKbPfiPT4_PiiiibPKf
                                        ; -- End function
	.section	.AMDGPU.csdata,"",@progbits
; Kernel info:
; codeLenInByte = 3332
; NumSgprs: 30
; NumVgprs: 38
; NumAgprs: 0
; TotalNumVgprs: 38
; ScratchSize: 0
; MemoryBound: 0
; FloatMode: 240
; IeeeMode: 1
; LDSByteSize: 0 bytes/workgroup (compile time only)
; SGPRBlocks: 3
; VGPRBlocks: 4
; NumSGPRsForWavesPerEU: 30
; NumVGPRsForWavesPerEU: 38
; AccumOffset: 40
; Occupancy: 8
; WaveLimiterHint : 0
; COMPUTE_PGM_RSRC2:SCRATCH_EN: 0
; COMPUTE_PGM_RSRC2:USER_SGPR: 6
; COMPUTE_PGM_RSRC2:TRAP_HANDLER: 0
; COMPUTE_PGM_RSRC2:TGID_X_EN: 1
; COMPUTE_PGM_RSRC2:TGID_Y_EN: 0
; COMPUTE_PGM_RSRC2:TGID_Z_EN: 0
; COMPUTE_PGM_RSRC2:TIDIG_COMP_CNT: 1
; COMPUTE_PGM_RSRC3_GFX90A:ACCUM_OFFSET: 9
; COMPUTE_PGM_RSRC3_GFX90A:TG_SPLIT: 0
	.section	.text._ZN4vllm3moe10topkGatingILi16ELi512ELi4ELi16ELi32Ej14__hip_bfloat16LNS0_11ScoringFuncE1EEEvPKT5_PKbPfiPT4_PiiiibPKf,"axG",@progbits,_ZN4vllm3moe10topkGatingILi16ELi512ELi4ELi16ELi32Ej14__hip_bfloat16LNS0_11ScoringFuncE1EEEvPKT5_PKbPfiPT4_PiiiibPKf,comdat
	.protected	_ZN4vllm3moe10topkGatingILi16ELi512ELi4ELi16ELi32Ej14__hip_bfloat16LNS0_11ScoringFuncE1EEEvPKT5_PKbPfiPT4_PiiiibPKf ; -- Begin function _ZN4vllm3moe10topkGatingILi16ELi512ELi4ELi16ELi32Ej14__hip_bfloat16LNS0_11ScoringFuncE1EEEvPKT5_PKbPfiPT4_PiiiibPKf
	.globl	_ZN4vllm3moe10topkGatingILi16ELi512ELi4ELi16ELi32Ej14__hip_bfloat16LNS0_11ScoringFuncE1EEEvPKT5_PKbPfiPT4_PiiiibPKf
	.p2align	8
	.type	_ZN4vllm3moe10topkGatingILi16ELi512ELi4ELi16ELi32Ej14__hip_bfloat16LNS0_11ScoringFuncE1EEEvPKT5_PKbPfiPT4_PiiiibPKf,@function
_ZN4vllm3moe10topkGatingILi16ELi512ELi4ELi16ELi32Ej14__hip_bfloat16LNS0_11ScoringFuncE1EEEvPKT5_PKbPfiPT4_PiiiibPKf: ; @_ZN4vllm3moe10topkGatingILi16ELi512ELi4ELi16ELi32Ej14__hip_bfloat16LNS0_11ScoringFuncE1EEEvPKT5_PKbPfiPT4_PiiiibPKf
; %bb.0:
	s_load_dword s24, s[4:5], 0x18
	v_and_b32_e32 v1, 0x3ff, v0
	s_lshl_b32 s0, s6, 2
	v_lshrrev_b32_e32 v2, 5, v1
	v_bfe_u32 v0, v0, 10, 10
	v_add3_u32 v33, s0, v0, v2
	s_waitcnt lgkmcnt(0)
	v_cmp_gt_i32_e32 vcc, s24, v33
	s_and_saveexec_b64 s[0:1], vcc
	s_cbranch_execz .LBB350_42
; %bb.1:
	s_load_dwordx4 s[0:3], s[4:5], 0x0
	s_load_dwordx2 s[16:17], s[4:5], 0x10
	s_mov_b64 s[6:7], -1
	s_mov_b64 s[18:19], -1
	s_waitcnt lgkmcnt(0)
	s_cmp_eq_u64 s[2:3], 0
	s_cbranch_scc1 .LBB350_3
; %bb.2:
	v_ashrrev_i32_e32 v0, 31, v33
	v_mov_b32_e32 v3, s3
	v_add_co_u32_e32 v2, vcc, s2, v33
	v_addc_co_u32_e32 v3, vcc, v3, v0, vcc
	global_load_ubyte v0, v[2:3], off
	s_waitcnt vmcnt(0)
	v_and_b32_e32 v0, 1, v0
	v_cmp_eq_u32_e32 vcc, 1, v0
	s_xor_b64 s[2:3], vcc, -1
	s_orn2_b64 s[18:19], s[2:3], exec
.LBB350_3:
	v_lshlrev_b32_e32 v2, 9, v33
	v_ashrrev_i32_e32 v3, 31, v2
	v_lshlrev_b64 v[2:3], 1, v[2:3]
	v_mov_b32_e32 v0, s1
	v_add_co_u32_e32 v2, vcc, s0, v2
	v_and_b32_e32 v37, 31, v1
	v_addc_co_u32_e32 v0, vcc, v0, v3, vcc
	v_lshlrev_b32_e32 v1, 4, v37
	v_add_co_u32_e32 v8, vcc, v2, v1
	v_addc_co_u32_e32 v9, vcc, 0, v0, vcc
	global_load_dwordx4 v[0:3], v[8:9], off
	global_load_dwordx4 v[4:7], v[8:9], off offset:512
	v_mov_b32_e32 v16, 0x207
	s_load_dwordx2 s[2:3], s[4:5], 0x40
	v_lshlrev_b32_e32 v38, 3, v37
	s_waitcnt lgkmcnt(0)
	s_cmp_eq_u64 s[2:3], 0
	s_waitcnt vmcnt(1)
	v_lshlrev_b32_e32 v8, 16, v0
	v_and_b32_e32 v0, 0xffff0000, v0
	v_lshlrev_b32_e32 v9, 16, v1
	v_and_b32_e32 v1, 0xffff0000, v1
	v_mul_f32_e32 v8, 0xbfb8aa3b, v8
	v_mul_f32_e32 v17, 0xbfb8aa3b, v0
	;; [unrolled: 1-line block ×3, first 2 shown]
	v_exp_f32_e32 v0, v8
	v_exp_f32_e32 v1, v17
	v_lshlrev_b32_e32 v10, 16, v2
	v_and_b32_e32 v2, 0xffff0000, v2
	v_lshlrev_b32_e32 v11, 16, v3
	v_and_b32_e32 v3, 0xffff0000, v3
	v_mul_f32_e32 v9, 0xbfb8aa3b, v9
	v_mul_f32_e32 v19, 0xbfb8aa3b, v2
	;; [unrolled: 1-line block ×3, first 2 shown]
	v_exp_f32_e32 v2, v9
	v_exp_f32_e32 v3, v18
	s_waitcnt vmcnt(0)
	v_lshlrev_b32_e32 v12, 16, v4
	v_and_b32_e32 v4, 0xffff0000, v4
	v_pk_add_f32 v[0:1], v[0:1], 1.0 op_sel_hi:[1,0]
	v_lshlrev_b32_e32 v13, 16, v5
	v_and_b32_e32 v5, 0xffff0000, v5
	v_mul_f32_e32 v21, 0xbfb8aa3b, v4
	v_div_scale_f32 v17, s[0:1], v1, v1, 1.0
	v_lshlrev_b32_e32 v14, 16, v6
	v_lshlrev_b32_e32 v15, 16, v7
	v_and_b32_e32 v7, 0xffff0000, v7
	v_mul_f32_e32 v22, 0xbfb8aa3b, v5
	v_exp_f32_e32 v5, v19
	v_exp_f32_e32 v9, v21
	v_pk_add_f32 v[2:3], v[2:3], 1.0 op_sel_hi:[1,0]
	v_div_scale_f32 v19, s[0:1], v0, v0, 1.0
	v_rcp_f32_e32 v21, v17
	v_mul_f32_e32 v10, 0xbfb8aa3b, v10
	v_mul_f32_e32 v23, 0xbfb8aa3b, v14
	;; [unrolled: 1-line block ×4, first 2 shown]
	v_exp_f32_e32 v7, v20
	v_exp_f32_e32 v15, v22
	v_div_scale_f32 v20, s[0:1], v3, v3, 1.0
	v_rcp_f32_e32 v22, v19
	v_exp_f32_e32 v4, v10
	v_exp_f32_e32 v10, v23
	v_rcp_f32_e32 v23, v20
	v_mul_f32_e32 v12, 0xbfb8aa3b, v12
	v_and_b32_e32 v6, 0xffff0000, v6
	v_mul_f32_e32 v13, 0xbfb8aa3b, v13
	v_exp_f32_e32 v8, v12
	v_exp_f32_e32 v12, v25
	v_fma_f32 v25, -v17, v21, 1.0
	v_mul_f32_e32 v11, 0xbfb8aa3b, v11
	v_mul_f32_e32 v24, 0xbfb8aa3b, v6
	v_exp_f32_e32 v14, v13
	v_exp_f32_e32 v13, v26
	v_div_scale_f32 v18, vcc, 1.0, v1, 1.0
	v_fma_f32 v26, -v19, v22, 1.0
	v_fmac_f32_e32 v21, v25, v21
	v_exp_f32_e32 v6, v11
	v_exp_f32_e32 v11, v24
	v_div_scale_f32 v24, s[0:1], 1.0, v0, 1.0
	v_fma_f32 v27, -v20, v23, 1.0
	v_fmac_f32_e32 v22, v26, v22
	v_mul_f32_e32 v25, v18, v21
	v_fmac_f32_e32 v23, v27, v23
	v_mul_f32_e32 v26, v24, v22
	v_fma_f32 v27, -v17, v25, v18
	v_fma_f32 v28, -v19, v26, v24
	v_fmac_f32_e32 v25, v27, v21
	v_fmac_f32_e32 v26, v28, v22
	v_fma_f32 v17, -v17, v25, v18
	v_fma_f32 v18, -v19, v26, v24
	v_div_fmas_f32 v17, v17, v21, v25
	s_mov_b64 vcc, s[0:1]
	v_div_fixup_f32 v1, v17, v1, 1.0
	v_div_fmas_f32 v17, v18, v22, v26
	v_div_fixup_f32 v0, v17, v0, 1.0
	v_cmp_class_f32_e32 vcc, v1, v16
	v_cndmask_b32_e64 v1, v1, 0, vcc
	v_cmp_class_f32_e32 vcc, v0, v16
	v_cndmask_b32_e64 v0, v0, 0, vcc
	v_div_scale_f32 v17, vcc, 1.0, v3, 1.0
	v_mul_f32_e32 v18, v17, v23
	v_fma_f32 v19, -v20, v18, v17
	v_fmac_f32_e32 v18, v19, v23
	v_div_scale_f32 v19, s[0:1], v2, v2, 1.0
	v_fma_f32 v17, -v20, v18, v17
	v_rcp_f32_e32 v20, v19
	v_div_fmas_f32 v17, v17, v23, v18
	v_div_fixup_f32 v3, v17, v3, 1.0
	v_pk_add_f32 v[4:5], v[4:5], 1.0 op_sel_hi:[1,0]
	v_fma_f32 v17, -v19, v20, 1.0
	v_fmac_f32_e32 v20, v17, v20
	v_div_scale_f32 v17, vcc, 1.0, v2, 1.0
	v_mul_f32_e32 v18, v17, v20
	v_fma_f32 v21, -v19, v18, v17
	v_fmac_f32_e32 v18, v21, v20
	v_fma_f32 v17, -v19, v18, v17
	v_div_fmas_f32 v17, v17, v20, v18
	v_div_fixup_f32 v2, v17, v2, 1.0
	v_div_scale_f32 v17, s[0:1], v5, v5, 1.0
	v_rcp_f32_e32 v18, v17
	v_cmp_class_f32_e32 vcc, v3, v16
	v_cndmask_b32_e64 v3, v3, 0, vcc
	v_cmp_class_f32_e32 vcc, v2, v16
	v_fma_f32 v19, -v17, v18, 1.0
	v_cndmask_b32_e64 v2, v2, 0, vcc
	v_fmac_f32_e32 v18, v19, v18
	v_div_scale_f32 v19, vcc, 1.0, v5, 1.0
	v_mul_f32_e32 v20, v19, v18
	v_fma_f32 v21, -v17, v20, v19
	v_fmac_f32_e32 v20, v21, v18
	v_fma_f32 v17, -v17, v20, v19
	v_div_scale_f32 v19, s[0:1], v4, v4, 1.0
	v_rcp_f32_e32 v21, v19
	v_div_fmas_f32 v17, v17, v18, v20
	v_div_fixup_f32 v5, v17, v5, 1.0
	v_pk_add_f32 v[6:7], v[6:7], 1.0 op_sel_hi:[1,0]
	v_fma_f32 v17, -v19, v21, 1.0
	v_fmac_f32_e32 v21, v17, v21
	v_div_scale_f32 v17, vcc, 1.0, v4, 1.0
	v_mul_f32_e32 v18, v17, v21
	v_fma_f32 v20, -v19, v18, v17
	v_fmac_f32_e32 v18, v20, v21
	v_fma_f32 v17, -v19, v18, v17
	v_div_fmas_f32 v17, v17, v21, v18
	v_div_fixup_f32 v4, v17, v4, 1.0
	v_div_scale_f32 v17, s[0:1], v7, v7, 1.0
	v_rcp_f32_e32 v18, v17
	v_cmp_class_f32_e32 vcc, v5, v16
	v_cndmask_b32_e64 v5, v5, 0, vcc
	v_cmp_class_f32_e32 vcc, v4, v16
	v_fma_f32 v19, -v17, v18, 1.0
	v_cndmask_b32_e64 v4, v4, 0, vcc
	v_fmac_f32_e32 v18, v19, v18
	v_div_scale_f32 v19, vcc, 1.0, v7, 1.0
	v_mul_f32_e32 v20, v19, v18
	v_fma_f32 v21, -v17, v20, v19
	v_fmac_f32_e32 v20, v21, v18
	v_fma_f32 v17, -v17, v20, v19
	v_div_scale_f32 v19, s[0:1], v6, v6, 1.0
	;; [unrolled: 27-line block ×4, first 2 shown]
	v_rcp_f32_e32 v21, v19
	v_div_fmas_f32 v17, v17, v18, v20
	v_div_fixup_f32 v17, v17, v15, 1.0
	v_fma_f32 v15, -v19, v21, 1.0
	v_fmac_f32_e32 v21, v15, v21
	v_div_scale_f32 v15, vcc, 1.0, v14, 1.0
	v_mul_f32_e32 v18, v15, v21
	v_fma_f32 v20, -v19, v18, v15
	v_fmac_f32_e32 v18, v20, v21
	v_fma_f32 v15, -v19, v18, v15
	v_div_fmas_f32 v15, v15, v21, v18
	v_div_fixup_f32 v18, v15, v14, 1.0
	v_pk_add_f32 v[14:15], v[10:11], 1.0 op_sel_hi:[1,0]
	v_div_scale_f32 v19, s[0:1], v15, v15, 1.0
	v_rcp_f32_e32 v20, v19
	v_cmp_class_f32_e32 vcc, v17, v16
	v_cndmask_b32_e64 v11, v17, 0, vcc
	v_cmp_class_f32_e32 vcc, v18, v16
	v_fma_f32 v17, -v19, v20, 1.0
	v_cndmask_b32_e64 v10, v18, 0, vcc
	v_fmac_f32_e32 v20, v17, v20
	v_div_scale_f32 v17, vcc, 1.0, v15, 1.0
	v_mul_f32_e32 v18, v17, v20
	v_fma_f32 v21, -v19, v18, v17
	v_fmac_f32_e32 v18, v21, v20
	v_fma_f32 v17, -v19, v18, v17
	v_div_scale_f32 v19, s[0:1], v14, v14, 1.0
	v_rcp_f32_e32 v21, v19
	v_div_fmas_f32 v17, v17, v20, v18
	v_div_fixup_f32 v17, v17, v15, 1.0
	v_fma_f32 v15, -v19, v21, 1.0
	v_fmac_f32_e32 v21, v15, v21
	v_div_scale_f32 v15, vcc, 1.0, v14, 1.0
	v_mul_f32_e32 v18, v15, v21
	v_fma_f32 v20, -v19, v18, v15
	v_fmac_f32_e32 v18, v20, v21
	v_fma_f32 v15, -v19, v18, v15
	v_div_fmas_f32 v15, v15, v21, v18
	v_div_fixup_f32 v18, v15, v14, 1.0
	v_pk_add_f32 v[14:15], v[12:13], 1.0 op_sel_hi:[1,0]
	v_div_scale_f32 v19, s[0:1], v15, v15, 1.0
	v_rcp_f32_e32 v20, v19
	v_cmp_class_f32_e32 vcc, v17, v16
	v_cndmask_b32_e64 v13, v17, 0, vcc
	v_cmp_class_f32_e32 vcc, v18, v16
	v_fma_f32 v17, -v19, v20, 1.0
	v_cndmask_b32_e64 v12, v18, 0, vcc
	v_fmac_f32_e32 v20, v17, v20
	v_div_scale_f32 v17, vcc, 1.0, v15, 1.0
	v_mul_f32_e32 v18, v17, v20
	v_fma_f32 v21, -v19, v18, v17
	v_fmac_f32_e32 v18, v21, v20
	v_fma_f32 v17, -v19, v18, v17
	v_div_scale_f32 v19, s[0:1], v14, v14, 1.0
	v_rcp_f32_e32 v21, v19
	v_div_fmas_f32 v17, v17, v20, v18
	v_div_fixup_f32 v15, v17, v15, 1.0
	v_fma_f32 v17, -v19, v21, 1.0
	v_fmac_f32_e32 v21, v17, v21
	v_div_scale_f32 v17, vcc, 1.0, v14, 1.0
	v_mul_f32_e32 v18, v17, v21
	v_fma_f32 v20, -v19, v18, v17
	v_fmac_f32_e32 v18, v20, v21
	v_fma_f32 v17, -v19, v18, v17
	v_div_fmas_f32 v17, v17, v21, v18
	v_div_fixup_f32 v14, v17, v14, 1.0
	v_cmp_class_f32_e32 vcc, v15, v16
	v_cndmask_b32_e64 v15, v15, 0, vcc
	v_cmp_class_f32_e32 vcc, v14, v16
	v_cndmask_b32_e64 v14, v14, 0, vcc
	s_cbranch_scc1 .LBB350_31
; %bb.4:
	v_lshlrev_b32_e32 v32, 2, v38
	global_load_dwordx4 v[16:19], v32, s[2:3]
	global_load_dwordx4 v[20:23], v32, s[2:3] offset:16
	global_load_dwordx4 v[24:27], v32, s[2:3] offset:1024
	;; [unrolled: 1-line block ×3, first 2 shown]
	s_waitcnt vmcnt(3)
	v_pk_add_f32 v[16:17], v[16:17], v[0:1]
	v_pk_add_f32 v[18:19], v[18:19], v[2:3]
	s_waitcnt vmcnt(2)
	v_pk_add_f32 v[20:21], v[20:21], v[4:5]
	v_pk_add_f32 v[22:23], v[22:23], v[6:7]
	;; [unrolled: 3-line block ×4, first 2 shown]
	s_cbranch_execnz .LBB350_6
.LBB350_5:
	v_pk_mov_b32 v[30:31], v[14:15], v[14:15] op_sel:[0,1]
	v_pk_mov_b32 v[28:29], v[12:13], v[12:13] op_sel:[0,1]
	;; [unrolled: 1-line block ×8, first 2 shown]
.LBB350_6:
	s_load_dwordx4 s[8:11], s[4:5], 0x30
	s_mov_b32 s25, 0
	v_cmp_eq_u32_e64 s[0:1], 0, v37
	s_waitcnt lgkmcnt(0)
	s_bitcmp1_b32 s11, 0
	s_cselect_b64 vcc, -1, 0
	s_cmp_gt_i32 s8, 0
	s_cselect_b64 s[20:21], -1, 0
	s_cmp_lt_i32 s8, 1
	s_cbranch_scc1 .LBB350_32
; %bb.7:
	v_mbcnt_lo_u32_b32 v32, -1, 0
	v_mbcnt_hi_u32_b32 v32, -1, v32
	v_and_b32_e32 v34, 0x60, v32
	v_add_u32_e32 v34, 32, v34
	v_xor_b32_e32 v35, 16, v32
	v_cmp_lt_i32_e64 s[2:3], v35, v34
	v_cndmask_b32_e64 v35, v32, v35, s[2:3]
	v_lshlrev_b32_e32 v41, 2, v35
	v_xor_b32_e32 v35, 8, v32
	v_cmp_lt_i32_e64 s[2:3], v35, v34
	v_cndmask_b32_e64 v35, v32, v35, s[2:3]
	v_lshlrev_b32_e32 v42, 2, v35
	v_xor_b32_e32 v35, 4, v32
	v_cmp_lt_i32_e64 s[2:3], v35, v34
	v_cndmask_b32_e64 v35, v32, v35, s[2:3]
	v_lshlrev_b32_e32 v43, 2, v35
	v_xor_b32_e32 v35, 2, v32
	v_cmp_lt_i32_e64 s[2:3], v35, v34
	s_load_dwordx4 s[12:15], s[4:5], 0x20
	v_cndmask_b32_e64 v35, v32, v35, s[2:3]
	v_lshlrev_b32_e32 v44, 2, v35
	v_xor_b32_e32 v35, 1, v32
	v_cmp_lt_i32_e64 s[2:3], v35, v34
	v_cndmask_b32_e64 v32, v32, v35, s[2:3]
	v_mul_lo_u32 v40, v33, s8
	v_lshlrev_b32_e32 v45, 2, v32
	v_mov_b32_e32 v39, 0
	v_mov_b32_e32 v46, 0x100
	;; [unrolled: 1-line block ×3, first 2 shown]
	v_bfrev_b32_e32 v48, 4.0
	v_bfrev_b32_e32 v49, -4.0
	v_mov_b32_e32 v50, 0x104
	v_mov_b32_e32 v51, 0x105
	;; [unrolled: 1-line block ×7, first 2 shown]
	s_branch .LBB350_10
.LBB350_8:                              ;   in Loop: Header=BB350_10 Depth=1
	s_or_b64 exec, exec, s[4:5]
.LBB350_9:                              ;   in Loop: Header=BB350_10 Depth=1
	s_cmp_eq_u32 s8, s25
	v_add_u32_e32 v56, s24, v56
	s_cbranch_scc1 .LBB350_33
.LBB350_10:                             ; =>This Inner Loop Header: Depth=1
	v_cmp_gt_f32_e64 s[2:3], v17, v16
	s_waitcnt lgkmcnt(0)
	v_cndmask_b32_e64 v35, v16, v17, s[2:3]
	v_cndmask_b32_e64 v32, 0, 1, s[2:3]
	v_cndmask_b32_e64 v34, v0, v1, s[2:3]
	v_cmp_gt_f32_e64 s[2:3], v18, v35
	v_cndmask_b32_e64 v35, v35, v18, s[2:3]
	v_cndmask_b32_e64 v32, v32, 2, s[2:3]
	v_cndmask_b32_e64 v34, v34, v2, s[2:3]
	v_cmp_gt_f32_e64 s[2:3], v19, v35
	;; [unrolled: 4-line block ×14, first 2 shown]
	v_cndmask_b32_e64 v32, v32, v53, s[2:3]
	v_cndmask_b32_e64 v57, v35, v31, s[2:3]
	v_or_b32_e32 v58, v38, v32
	v_cndmask_b32_e64 v32, v34, v15, s[2:3]
	ds_bpermute_b32 v60, v41, v57
	ds_bpermute_b32 v36, v41, v32
	;; [unrolled: 1-line block ×3, first 2 shown]
                                        ; implicit-def: $vgpr34_vgpr35
	s_waitcnt lgkmcnt(0)
	v_cmp_lt_f32_e64 s[6:7], v57, v60
	v_cmp_nlt_f32_e64 s[2:3], v57, v60
	s_and_saveexec_b64 s[22:23], s[2:3]
; %bb.11:                               ;   in Loop: Header=BB350_10 Depth=1
	v_cmp_eq_f32_e64 s[2:3], v57, v60
	v_cmp_lt_i32_e64 s[4:5], v59, v58
	s_and_b64 s[2:3], s[2:3], s[4:5]
	s_andn2_b64 s[4:5], s[6:7], exec
	s_and_b64 s[2:3], s[2:3], exec
	s_or_b64 s[6:7], s[4:5], s[2:3]
	v_pk_mov_b32 v[34:35], v[32:33], v[32:33] op_sel:[0,1]
; %bb.12:                               ;   in Loop: Header=BB350_10 Depth=1
	s_or_b64 exec, exec, s[22:23]
	s_and_saveexec_b64 s[2:3], s[6:7]
; %bb.13:                               ;   in Loop: Header=BB350_10 Depth=1
	v_mov_b32_e32 v57, v60
	v_mov_b32_e32 v32, v36
	;; [unrolled: 1-line block ×3, first 2 shown]
	v_pk_mov_b32 v[34:35], v[36:37], v[36:37] op_sel:[0,1]
; %bb.14:                               ;   in Loop: Header=BB350_10 Depth=1
	s_or_b64 exec, exec, s[2:3]
	ds_bpermute_b32 v59, v42, v57
	ds_bpermute_b32 v36, v42, v32
	;; [unrolled: 1-line block ×3, first 2 shown]
	s_waitcnt lgkmcnt(2)
	v_cmp_lt_f32_e64 s[6:7], v57, v59
	v_cmp_nlt_f32_e64 s[2:3], v57, v59
	s_and_saveexec_b64 s[22:23], s[2:3]
	s_cbranch_execz .LBB350_16
; %bb.15:                               ;   in Loop: Header=BB350_10 Depth=1
	v_cmp_eq_f32_e64 s[2:3], v57, v59
	s_waitcnt lgkmcnt(0)
	v_cmp_lt_i32_e64 s[4:5], v35, v58
	s_and_b64 s[2:3], s[2:3], s[4:5]
	s_andn2_b64 s[4:5], s[6:7], exec
	s_and_b64 s[2:3], s[2:3], exec
	s_or_b64 s[6:7], s[4:5], s[2:3]
.LBB350_16:                             ;   in Loop: Header=BB350_10 Depth=1
	s_or_b64 exec, exec, s[22:23]
	s_and_saveexec_b64 s[2:3], s[6:7]
	s_cbranch_execz .LBB350_18
; %bb.17:                               ;   in Loop: Header=BB350_10 Depth=1
	v_mov_b32_e32 v57, v59
	s_waitcnt lgkmcnt(1)
	v_mov_b32_e32 v32, v36
	s_waitcnt lgkmcnt(0)
	v_mov_b32_e32 v58, v35
	v_pk_mov_b32 v[34:35], v[36:37], v[36:37] op_sel:[0,1]
.LBB350_18:                             ;   in Loop: Header=BB350_10 Depth=1
	s_or_b64 exec, exec, s[2:3]
	ds_bpermute_b32 v59, v43, v57
	s_waitcnt lgkmcnt(2)
	ds_bpermute_b32 v36, v43, v32
	s_waitcnt lgkmcnt(2)
	;; [unrolled: 2-line block ×3, first 2 shown]
	v_cmp_lt_f32_e64 s[6:7], v57, v59
	v_cmp_nlt_f32_e64 s[2:3], v57, v59
	s_and_saveexec_b64 s[22:23], s[2:3]
	s_cbranch_execz .LBB350_20
; %bb.19:                               ;   in Loop: Header=BB350_10 Depth=1
	v_cmp_eq_f32_e64 s[2:3], v57, v59
	s_waitcnt lgkmcnt(0)
	v_cmp_lt_i32_e64 s[4:5], v35, v58
	s_and_b64 s[2:3], s[2:3], s[4:5]
	s_andn2_b64 s[4:5], s[6:7], exec
	s_and_b64 s[2:3], s[2:3], exec
	s_or_b64 s[6:7], s[4:5], s[2:3]
.LBB350_20:                             ;   in Loop: Header=BB350_10 Depth=1
	s_or_b64 exec, exec, s[22:23]
	s_and_saveexec_b64 s[2:3], s[6:7]
	s_cbranch_execz .LBB350_22
; %bb.21:                               ;   in Loop: Header=BB350_10 Depth=1
	v_mov_b32_e32 v57, v59
	s_waitcnt lgkmcnt(1)
	v_mov_b32_e32 v32, v36
	s_waitcnt lgkmcnt(0)
	v_mov_b32_e32 v58, v35
	v_pk_mov_b32 v[34:35], v[36:37], v[36:37] op_sel:[0,1]
.LBB350_22:                             ;   in Loop: Header=BB350_10 Depth=1
	s_or_b64 exec, exec, s[2:3]
	ds_bpermute_b32 v59, v44, v57
	s_waitcnt lgkmcnt(2)
	ds_bpermute_b32 v36, v44, v32
	s_waitcnt lgkmcnt(2)
	;; [unrolled: 2-line block ×3, first 2 shown]
	v_cmp_lt_f32_e64 s[6:7], v57, v59
	v_cmp_nlt_f32_e64 s[2:3], v57, v59
	s_and_saveexec_b64 s[22:23], s[2:3]
	s_cbranch_execz .LBB350_24
; %bb.23:                               ;   in Loop: Header=BB350_10 Depth=1
	v_cmp_eq_f32_e64 s[2:3], v57, v59
	s_waitcnt lgkmcnt(0)
	v_cmp_lt_i32_e64 s[4:5], v35, v58
	s_and_b64 s[2:3], s[2:3], s[4:5]
	s_andn2_b64 s[4:5], s[6:7], exec
	s_and_b64 s[2:3], s[2:3], exec
	s_or_b64 s[6:7], s[4:5], s[2:3]
.LBB350_24:                             ;   in Loop: Header=BB350_10 Depth=1
	s_or_b64 exec, exec, s[22:23]
	s_and_saveexec_b64 s[2:3], s[6:7]
	s_cbranch_execz .LBB350_26
; %bb.25:                               ;   in Loop: Header=BB350_10 Depth=1
	v_mov_b32_e32 v57, v59
	s_waitcnt lgkmcnt(1)
	v_mov_b32_e32 v32, v36
	s_waitcnt lgkmcnt(0)
	v_mov_b32_e32 v58, v35
	v_pk_mov_b32 v[34:35], v[36:37], v[36:37] op_sel:[0,1]
.LBB350_26:                             ;   in Loop: Header=BB350_10 Depth=1
	s_or_b64 exec, exec, s[2:3]
	s_waitcnt lgkmcnt(1)
	ds_bpermute_b32 v36, v45, v57
	ds_bpermute_b32 v59, v45, v58
	s_waitcnt lgkmcnt(2)
	ds_bpermute_b32 v35, v45, v32
	s_waitcnt lgkmcnt(2)
	v_cmp_eq_f32_e64 s[4:5], v57, v36
	s_waitcnt lgkmcnt(1)
	v_cmp_lt_i32_e64 s[6:7], v59, v58
	v_cmp_lt_f32_e64 s[2:3], v57, v36
	s_and_b64 s[4:5], s[4:5], s[6:7]
	s_or_b64 s[2:3], s[2:3], s[4:5]
	v_cndmask_b32_e64 v32, v58, v59, s[2:3]
	s_and_saveexec_b64 s[6:7], s[0:1]
	s_cbranch_execnz .LBB350_28
; %bb.27:                               ;   in Loop: Header=BB350_10 Depth=1
	s_or_b64 exec, exec, s[6:7]
	s_add_i32 s25, s25, 1
	s_cmp_ge_i32 s25, s8
	s_cbranch_scc1 .LBB350_9
	s_branch .LBB350_29
.LBB350_28:                             ;   in Loop: Header=BB350_10 Depth=1
	s_waitcnt lgkmcnt(0)
	v_cndmask_b32_e64 v36, v34, v35, s[2:3]
	v_add_u32_e32 v34, s25, v40
	v_ashrrev_i32_e32 v35, 31, v34
	v_cmp_le_i32_e64 s[2:3], s9, v32
	v_cmp_gt_i32_e64 s[4:5], s10, v32
	v_lshlrev_b64 v[34:35], 2, v[34:35]
	s_and_b64 s[4:5], s[2:3], s[4:5]
	v_mov_b32_e32 v57, s17
	v_add_co_u32_e64 v58, s[2:3], s16, v34
	v_addc_co_u32_e64 v59, s[2:3], v57, v35, s[2:3]
	v_subrev_u32_e32 v57, s9, v32
	s_and_b64 s[2:3], s[18:19], s[4:5]
	global_store_dword v[58:59], v36, off
	v_cndmask_b32_e64 v57, v54, v57, s[2:3]
	v_mov_b32_e32 v59, s13
	v_add_co_u32_e64 v58, s[2:3], s12, v34
	v_addc_co_u32_e64 v59, s[2:3], v59, v35, s[2:3]
	global_store_dword v[58:59], v57, off
	v_mov_b32_e32 v57, s15
	v_add_co_u32_e64 v34, s[2:3], s14, v34
	v_addc_co_u32_e64 v35, s[2:3], v57, v35, s[2:3]
	global_store_dword v[34:35], v56, off
	v_add_f32_e32 v34, v39, v36
	v_cndmask_b32_e32 v39, v39, v34, vcc
	s_or_b64 exec, exec, s[6:7]
	s_add_i32 s25, s25, 1
	s_cmp_ge_i32 s25, s8
	s_cbranch_scc1 .LBB350_9
.LBB350_29:                             ;   in Loop: Header=BB350_10 Depth=1
	v_ashrrev_i32_e32 v34, 31, v32
	s_waitcnt lgkmcnt(0)
	v_lshrrev_b32_e32 v35, 29, v34
	v_add_u32_e32 v36, v32, v35
	v_ashrrev_i32_e32 v35, 3, v36
	v_ashrrev_i32_e32 v36, 31, v36
	v_lshrrev_b32_e32 v36, 27, v36
	v_add_u32_e32 v36, v35, v36
	v_and_b32_e32 v36, 0xffffffe0, v36
	v_sub_u32_e32 v36, v35, v36
	v_cmp_eq_u32_e64 s[2:3], v37, v36
	s_and_saveexec_b64 s[4:5], s[2:3]
	s_cbranch_execz .LBB350_8
; %bb.30:                               ;   in Loop: Header=BB350_10 Depth=1
	v_add_u32_sdwa v34, v32, v34 dst_sel:DWORD dst_unused:UNUSED_PAD src0_sel:DWORD src1_sel:BYTE_3
	v_lshlrev_b32_e32 v35, 3, v35
	v_ashrrev_i32_e32 v34, 8, v34
	v_sub_u32_e32 v32, v32, v35
	v_lshl_add_u32 v32, v34, 3, v32
	v_cmp_ne_u32_e64 s[2:3], 15, v32
	v_cndmask_b32_e64 v31, v55, v31, s[2:3]
	v_cmp_ne_u32_e64 s[2:3], 14, v32
	v_cndmask_b32_e64 v30, v55, v30, s[2:3]
	;; [unrolled: 2-line block ×16, first 2 shown]
	s_branch .LBB350_8
.LBB350_31:
                                        ; implicit-def: $vgpr16_vgpr17_vgpr18_vgpr19_vgpr20_vgpr21_vgpr22_vgpr23_vgpr24_vgpr25_vgpr26_vgpr27_vgpr28_vgpr29_vgpr30_vgpr31
	s_andn2_b64 vcc, exec, s[6:7]
	s_cbranch_vccz .LBB350_5
	s_branch .LBB350_6
.LBB350_32:
	v_mov_b32_e32 v39, 0
.LBB350_33:
	v_cmp_eq_u32_e64 s[0:1], 0, v37
	s_and_b64 s[0:1], s[0:1], vcc
	s_and_b64 exec, exec, s[0:1]
	s_cbranch_execz .LBB350_42
; %bb.34:
	s_andn2_b64 vcc, exec, s[20:21]
	s_cbranch_vccnz .LBB350_42
; %bb.35:
	v_cmp_lt_f32_e32 vcc, 0, v39
	s_mov_b32 s2, 0
	v_cndmask_b32_e32 v0, 1.0, v39, vcc
	v_mul_lo_u32 v4, v33, s8
	s_cmp_eq_u32 s8, 1
	s_mov_b64 s[0:1], -1
	s_cbranch_scc1 .LBB350_39
; %bb.36:
	s_and_b32 s2, s8, 0x7ffffffe
	v_mov_b32_e32 v1, v0
	v_mov_b32_e32 v5, s17
	s_mov_b32 s3, s2
	v_mov_b32_e32 v2, v4
.LBB350_37:                             ; =>This Inner Loop Header: Depth=1
	v_ashrrev_i32_e32 v3, 31, v2
	v_lshlrev_b64 v[6:7], 2, v[2:3]
	v_add_co_u32_e32 v6, vcc, s16, v6
	v_addc_co_u32_e32 v7, vcc, v5, v7, vcc
	global_load_dwordx2 v[8:9], v[6:7], off
	s_add_i32 s3, s3, -2
	s_cmp_lg_u32 s3, 0
	v_add_u32_e32 v2, 2, v2
	s_waitcnt vmcnt(0)
	v_div_scale_f32 v3, s[0:1], v1, v1, v9
	v_div_scale_f32 v11, s[0:1], v0, v0, v8
	v_rcp_f32_e32 v12, v3
	v_rcp_f32_e32 v13, v11
	v_div_scale_f32 v10, vcc, v9, v1, v9
	v_fma_f32 v15, -v3, v12, 1.0
	v_fma_f32 v16, -v11, v13, 1.0
	v_fmac_f32_e32 v12, v15, v12
	v_div_scale_f32 v14, s[0:1], v8, v0, v8
	v_fmac_f32_e32 v13, v16, v13
	v_mul_f32_e32 v15, v10, v12
	v_mul_f32_e32 v16, v14, v13
	v_fma_f32 v17, -v3, v15, v10
	v_fma_f32 v18, -v11, v16, v14
	v_fmac_f32_e32 v15, v17, v12
	v_fmac_f32_e32 v16, v18, v13
	v_fma_f32 v3, -v3, v15, v10
	v_fma_f32 v10, -v11, v16, v14
	v_div_fmas_f32 v3, v3, v12, v15
	s_mov_b64 vcc, s[0:1]
	v_div_fixup_f32 v9, v3, v1, v9
	v_div_fmas_f32 v3, v10, v13, v16
	v_div_fixup_f32 v8, v3, v0, v8
	global_store_dwordx2 v[6:7], v[8:9], off
	s_cbranch_scc1 .LBB350_37
; %bb.38:
	s_cmp_lg_u32 s2, s8
	s_cselect_b64 s[0:1], -1, 0
.LBB350_39:
	s_and_b64 vcc, exec, s[0:1]
	s_cbranch_vccz .LBB350_42
; %bb.40:
	v_ashrrev_i32_e32 v1, 31, v4
	v_add_co_u32_e32 v2, vcc, s2, v4
	v_addc_co_u32_e32 v3, vcc, 0, v1, vcc
	v_lshlrev_b64 v[2:3], 2, v[2:3]
	v_mov_b32_e32 v1, s17
	v_add_co_u32_e32 v2, vcc, s16, v2
	s_sub_i32 s0, s8, s2
	v_addc_co_u32_e32 v3, vcc, v1, v3, vcc
.LBB350_41:                             ; =>This Inner Loop Header: Depth=1
	global_load_dword v1, v[2:3], off
	s_add_i32 s0, s0, -1
	s_cmp_lg_u32 s0, 0
	s_waitcnt vmcnt(0)
	v_div_scale_f32 v4, s[2:3], v0, v0, v1
	v_rcp_f32_e32 v5, v4
	v_div_scale_f32 v6, vcc, v1, v0, v1
	v_fma_f32 v7, -v4, v5, 1.0
	v_fmac_f32_e32 v5, v7, v5
	v_mul_f32_e32 v7, v6, v5
	v_fma_f32 v8, -v4, v7, v6
	v_fmac_f32_e32 v7, v8, v5
	v_fma_f32 v4, -v4, v7, v6
	v_div_fmas_f32 v4, v4, v5, v7
	v_div_fixup_f32 v1, v4, v0, v1
	global_store_dword v[2:3], v1, off
	v_add_co_u32_e32 v2, vcc, 4, v2
	v_addc_co_u32_e32 v3, vcc, 0, v3, vcc
	s_cbranch_scc1 .LBB350_41
.LBB350_42:
	s_endpgm
	.section	.rodata,"a",@progbits
	.p2align	6, 0x0
	.amdhsa_kernel _ZN4vllm3moe10topkGatingILi16ELi512ELi4ELi16ELi32Ej14__hip_bfloat16LNS0_11ScoringFuncE1EEEvPKT5_PKbPfiPT4_PiiiibPKf
		.amdhsa_group_segment_fixed_size 0
		.amdhsa_private_segment_fixed_size 0
		.amdhsa_kernarg_size 72
		.amdhsa_user_sgpr_count 6
		.amdhsa_user_sgpr_private_segment_buffer 1
		.amdhsa_user_sgpr_dispatch_ptr 0
		.amdhsa_user_sgpr_queue_ptr 0
		.amdhsa_user_sgpr_kernarg_segment_ptr 1
		.amdhsa_user_sgpr_dispatch_id 0
		.amdhsa_user_sgpr_flat_scratch_init 0
		.amdhsa_user_sgpr_kernarg_preload_length 0
		.amdhsa_user_sgpr_kernarg_preload_offset 0
		.amdhsa_user_sgpr_private_segment_size 0
		.amdhsa_uses_dynamic_stack 0
		.amdhsa_system_sgpr_private_segment_wavefront_offset 0
		.amdhsa_system_sgpr_workgroup_id_x 1
		.amdhsa_system_sgpr_workgroup_id_y 0
		.amdhsa_system_sgpr_workgroup_id_z 0
		.amdhsa_system_sgpr_workgroup_info 0
		.amdhsa_system_vgpr_workitem_id 1
		.amdhsa_next_free_vgpr 61
		.amdhsa_next_free_sgpr 26
		.amdhsa_accum_offset 64
		.amdhsa_reserve_vcc 1
		.amdhsa_reserve_flat_scratch 0
		.amdhsa_float_round_mode_32 0
		.amdhsa_float_round_mode_16_64 0
		.amdhsa_float_denorm_mode_32 3
		.amdhsa_float_denorm_mode_16_64 3
		.amdhsa_dx10_clamp 1
		.amdhsa_ieee_mode 1
		.amdhsa_fp16_overflow 0
		.amdhsa_tg_split 0
		.amdhsa_exception_fp_ieee_invalid_op 0
		.amdhsa_exception_fp_denorm_src 0
		.amdhsa_exception_fp_ieee_div_zero 0
		.amdhsa_exception_fp_ieee_overflow 0
		.amdhsa_exception_fp_ieee_underflow 0
		.amdhsa_exception_fp_ieee_inexact 0
		.amdhsa_exception_int_div_zero 0
	.end_amdhsa_kernel
	.section	.text._ZN4vllm3moe10topkGatingILi16ELi512ELi4ELi16ELi32Ej14__hip_bfloat16LNS0_11ScoringFuncE1EEEvPKT5_PKbPfiPT4_PiiiibPKf,"axG",@progbits,_ZN4vllm3moe10topkGatingILi16ELi512ELi4ELi16ELi32Ej14__hip_bfloat16LNS0_11ScoringFuncE1EEEvPKT5_PKbPfiPT4_PiiiibPKf,comdat
.Lfunc_end350:
	.size	_ZN4vllm3moe10topkGatingILi16ELi512ELi4ELi16ELi32Ej14__hip_bfloat16LNS0_11ScoringFuncE1EEEvPKT5_PKbPfiPT4_PiiiibPKf, .Lfunc_end350-_ZN4vllm3moe10topkGatingILi16ELi512ELi4ELi16ELi32Ej14__hip_bfloat16LNS0_11ScoringFuncE1EEEvPKT5_PKbPfiPT4_PiiiibPKf
                                        ; -- End function
	.section	.AMDGPU.csdata,"",@progbits
; Kernel info:
; codeLenInByte = 4552
; NumSgprs: 30
; NumVgprs: 61
; NumAgprs: 0
; TotalNumVgprs: 61
; ScratchSize: 0
; MemoryBound: 0
; FloatMode: 240
; IeeeMode: 1
; LDSByteSize: 0 bytes/workgroup (compile time only)
; SGPRBlocks: 3
; VGPRBlocks: 7
; NumSGPRsForWavesPerEU: 30
; NumVGPRsForWavesPerEU: 61
; AccumOffset: 64
; Occupancy: 8
; WaveLimiterHint : 1
; COMPUTE_PGM_RSRC2:SCRATCH_EN: 0
; COMPUTE_PGM_RSRC2:USER_SGPR: 6
; COMPUTE_PGM_RSRC2:TRAP_HANDLER: 0
; COMPUTE_PGM_RSRC2:TGID_X_EN: 1
; COMPUTE_PGM_RSRC2:TGID_Y_EN: 0
; COMPUTE_PGM_RSRC2:TGID_Z_EN: 0
; COMPUTE_PGM_RSRC2:TIDIG_COMP_CNT: 1
; COMPUTE_PGM_RSRC3_GFX90A:ACCUM_OFFSET: 15
; COMPUTE_PGM_RSRC3_GFX90A:TG_SPLIT: 0
	.section	.text._ZN4vllm3moe10topkGatingILi1ELi1ELi4ELi2ELi64El14__hip_bfloat16LNS0_11ScoringFuncE1EEEvPKT5_PKbPfiPT4_PiiiibPKf,"axG",@progbits,_ZN4vllm3moe10topkGatingILi1ELi1ELi4ELi2ELi64El14__hip_bfloat16LNS0_11ScoringFuncE1EEEvPKT5_PKbPfiPT4_PiiiibPKf,comdat
	.protected	_ZN4vllm3moe10topkGatingILi1ELi1ELi4ELi2ELi64El14__hip_bfloat16LNS0_11ScoringFuncE1EEEvPKT5_PKbPfiPT4_PiiiibPKf ; -- Begin function _ZN4vllm3moe10topkGatingILi1ELi1ELi4ELi2ELi64El14__hip_bfloat16LNS0_11ScoringFuncE1EEEvPKT5_PKbPfiPT4_PiiiibPKf
	.globl	_ZN4vllm3moe10topkGatingILi1ELi1ELi4ELi2ELi64El14__hip_bfloat16LNS0_11ScoringFuncE1EEEvPKT5_PKbPfiPT4_PiiiibPKf
	.p2align	8
	.type	_ZN4vllm3moe10topkGatingILi1ELi1ELi4ELi2ELi64El14__hip_bfloat16LNS0_11ScoringFuncE1EEEvPKT5_PKbPfiPT4_PiiiibPKf,@function
_ZN4vllm3moe10topkGatingILi1ELi1ELi4ELi2ELi64El14__hip_bfloat16LNS0_11ScoringFuncE1EEEvPKT5_PKbPfiPT4_PiiiibPKf: ; @_ZN4vllm3moe10topkGatingILi1ELi1ELi4ELi2ELi64El14__hip_bfloat16LNS0_11ScoringFuncE1EEEvPKT5_PKbPfiPT4_PiiiibPKf
; %bb.0:
	s_load_dword s18, s[4:5], 0x18
	v_bfe_u32 v1, v0, 10, 10
	s_lshl_b32 s0, s6, 8
	v_lshlrev_b32_e32 v1, 6, v1
	v_and_b32_e32 v0, 0x3ff, v0
	v_add3_u32 v0, v1, v0, s0
	s_waitcnt lgkmcnt(0)
	v_cmp_gt_i32_e32 vcc, s18, v0
	s_and_saveexec_b64 s[0:1], vcc
	s_cbranch_execz .LBB351_17
; %bb.1:
	s_load_dwordx4 s[12:15], s[4:5], 0x0
	s_load_dwordx2 s[2:3], s[4:5], 0x10
	v_ashrrev_i32_e32 v1, 31, v0
	s_waitcnt lgkmcnt(0)
	s_cmp_eq_u64 s[14:15], 0
	s_cbranch_scc1 .LBB351_3
; %bb.2:
	v_mov_b32_e32 v3, s15
	v_add_co_u32_e32 v2, vcc, s14, v0
	v_addc_co_u32_e32 v3, vcc, v3, v1, vcc
	global_load_ubyte v2, v[2:3], off
	s_waitcnt vmcnt(0)
	v_and_b32_e32 v2, 1, v2
	v_cmp_eq_u32_e32 vcc, 1, v2
	s_xor_b64 s[0:1], vcc, -1
	s_orn2_b64 s[16:17], s[0:1], exec
	s_branch .LBB351_4
.LBB351_3:
	s_mov_b64 s[16:17], -1
.LBB351_4:
	s_load_dwordx4 s[8:11], s[4:5], 0x30
	s_waitcnt lgkmcnt(0)
	s_bitcmp1_b32 s11, 0
	s_cselect_b64 s[0:1], -1, 0
	s_cmp_gt_i32 s8, 0
	s_cselect_b64 s[14:15], -1, 0
	s_cmp_lt_i32 s8, 1
	s_cbranch_scc1 .LBB351_8
; %bb.5:
	v_lshlrev_b64 v[2:3], 1, v[0:1]
	v_mov_b32_e32 v1, s13
	v_add_co_u32_e32 v2, vcc, s12, v2
	v_addc_co_u32_e32 v3, vcc, v1, v3, vcc
	global_load_ushort v11, v[2:3], off
	v_mul_lo_u32 v2, v0, s8
	s_load_dwordx4 s[4:7], s[4:5], 0x20
	s_cmp_lt_i32 s9, 1
	v_ashrrev_i32_e32 v3, 31, v2
	s_cselect_b64 s[12:13], -1, 0
	s_cmp_gt_i32 s10, 0
	v_lshlrev_b64 v[8:9], 2, v[2:3]
	v_mov_b32_e32 v4, s3
	s_cselect_b64 s[10:11], -1, 0
	s_sub_i32 s9, 0, s9
	v_lshlrev_b64 v[6:7], 3, v[2:3]
	v_add_co_u32_e32 v2, vcc, s2, v8
	s_and_b64 s[10:11], s[12:13], s[10:11]
	s_ashr_i32 s12, s9, 31
	v_addc_co_u32_e32 v3, vcc, v4, v9, vcc
	v_mov_b32_e32 v12, s9
	v_mov_b32_e32 v4, s12
	s_and_b64 vcc, s[16:17], s[10:11]
	v_cndmask_b32_e32 v5, 0, v4, vcc
	v_cndmask_b32_e32 v4, 1, v12, vcc
	s_waitcnt lgkmcnt(0)
	v_mov_b32_e32 v12, s5
	v_add_co_u32_e32 v6, vcc, s4, v6
	v_addc_co_u32_e32 v7, vcc, v12, v7, vcc
	v_mov_b32_e32 v13, s7
	v_add_co_u32_e32 v8, vcc, s6, v8
	v_addc_co_u32_e32 v9, vcc, v13, v9, vcc
	s_movk_i32 s19, 0x1f8
	v_mov_b32_e32 v1, 0
	v_mov_b32_e32 v10, v0
	s_waitcnt vmcnt(0)
	v_lshlrev_b32_e32 v11, 16, v11
	v_mul_f32_e32 v11, 0xbfb8aa3b, v11
	v_exp_f32_e32 v11, v11
	v_add_f32_e32 v11, 1.0, v11
	v_div_scale_f32 v12, s[4:5], v11, v11, 1.0
	v_rcp_f32_e32 v14, v12
	v_div_scale_f32 v13, vcc, 1.0, v11, 1.0
	s_mov_b32 s4, s8
	v_fma_f32 v15, -v12, v14, 1.0
	v_fmac_f32_e32 v14, v15, v14
	v_mul_f32_e32 v15, v13, v14
	v_fma_f32 v16, -v12, v15, v13
	v_fmac_f32_e32 v15, v16, v14
	v_fma_f32 v12, -v12, v15, v13
	v_div_fmas_f32 v12, v12, v14, v15
	v_div_fixup_f32 v11, v12, v11, 1.0
	v_cmp_class_f32_e64 vcc, v11, s19
	v_cndmask_b32_e32 v11, 0, v11, vcc
.LBB351_6:                              ; =>This Inner Loop Header: Depth=1
	global_store_dword v[2:3], v11, off
	global_store_dwordx2 v[6:7], v[4:5], off
	global_store_dword v[8:9], v10, off
	v_add_co_u32_e32 v2, vcc, 4, v2
	v_addc_co_u32_e32 v3, vcc, 0, v3, vcc
	v_add_co_u32_e32 v6, vcc, 8, v6
	v_addc_co_u32_e32 v7, vcc, 0, v7, vcc
	v_add_f32_e32 v12, v1, v11
	s_add_i32 s4, s4, -1
	v_add_co_u32_e32 v8, vcc, 4, v8
	v_cndmask_b32_e64 v1, v1, v12, s[0:1]
	v_add_u32_e32 v10, s18, v10
	s_cmp_lg_u32 s4, 0
	v_addc_co_u32_e32 v9, vcc, 0, v9, vcc
	s_cbranch_scc1 .LBB351_6
; %bb.7:
	s_andn2_b64 vcc, exec, s[0:1]
	s_cbranch_vccz .LBB351_9
	s_branch .LBB351_17
.LBB351_8:
	v_mov_b32_e32 v1, 0
	s_andn2_b64 vcc, exec, s[0:1]
	s_cbranch_vccnz .LBB351_17
.LBB351_9:
	s_andn2_b64 vcc, exec, s[14:15]
	s_cbranch_vccnz .LBB351_17
; %bb.10:
	v_cmp_lt_f32_e32 vcc, 0, v1
	s_mov_b32 s4, 0
	v_cndmask_b32_e32 v2, 1.0, v1, vcc
	v_mul_lo_u32 v0, v0, s8
	s_cmp_eq_u32 s8, 1
	s_mov_b64 s[0:1], -1
	s_cbranch_scc1 .LBB351_14
; %bb.11:
	s_and_b32 s4, s8, 0x7ffffffe
	v_mov_b32_e32 v1, v2
	v_mov_b32_e32 v3, s3
	s_mov_b32 s5, s4
	v_mov_b32_e32 v4, v0
.LBB351_12:                             ; =>This Inner Loop Header: Depth=1
	v_ashrrev_i32_e32 v5, 31, v4
	v_lshlrev_b64 v[6:7], 2, v[4:5]
	v_add_co_u32_e32 v6, vcc, s2, v6
	v_addc_co_u32_e32 v7, vcc, v3, v7, vcc
	global_load_dwordx2 v[8:9], v[6:7], off
	s_add_i32 s5, s5, -2
	s_cmp_lg_u32 s5, 0
	v_add_u32_e32 v4, 2, v4
	s_waitcnt vmcnt(0)
	v_div_scale_f32 v5, s[0:1], v1, v1, v9
	v_div_scale_f32 v11, s[0:1], v2, v2, v8
	v_rcp_f32_e32 v12, v5
	v_rcp_f32_e32 v13, v11
	v_div_scale_f32 v10, vcc, v9, v1, v9
	v_fma_f32 v15, -v5, v12, 1.0
	v_fma_f32 v16, -v11, v13, 1.0
	v_fmac_f32_e32 v12, v15, v12
	v_div_scale_f32 v14, s[0:1], v8, v2, v8
	v_fmac_f32_e32 v13, v16, v13
	v_mul_f32_e32 v15, v10, v12
	v_mul_f32_e32 v16, v14, v13
	v_fma_f32 v17, -v5, v15, v10
	v_fma_f32 v18, -v11, v16, v14
	v_fmac_f32_e32 v15, v17, v12
	v_fmac_f32_e32 v16, v18, v13
	v_fma_f32 v5, -v5, v15, v10
	v_fma_f32 v10, -v11, v16, v14
	v_div_fmas_f32 v5, v5, v12, v15
	s_mov_b64 vcc, s[0:1]
	v_div_fixup_f32 v9, v5, v1, v9
	v_div_fmas_f32 v5, v10, v13, v16
	v_div_fixup_f32 v8, v5, v2, v8
	global_store_dwordx2 v[6:7], v[8:9], off
	s_cbranch_scc1 .LBB351_12
; %bb.13:
	s_cmp_lg_u32 s4, s8
	s_cselect_b64 s[0:1], -1, 0
.LBB351_14:
	s_and_b64 vcc, exec, s[0:1]
	s_cbranch_vccz .LBB351_17
; %bb.15:
	v_ashrrev_i32_e32 v1, 31, v0
	v_add_co_u32_e32 v0, vcc, s4, v0
	v_addc_co_u32_e32 v1, vcc, 0, v1, vcc
	v_lshlrev_b64 v[0:1], 2, v[0:1]
	v_mov_b32_e32 v3, s3
	v_add_co_u32_e32 v0, vcc, s2, v0
	s_sub_i32 s0, s8, s4
	v_addc_co_u32_e32 v1, vcc, v3, v1, vcc
.LBB351_16:                             ; =>This Inner Loop Header: Depth=1
	global_load_dword v3, v[0:1], off
	s_add_i32 s0, s0, -1
	s_cmp_lg_u32 s0, 0
	s_waitcnt vmcnt(0)
	v_div_scale_f32 v4, s[2:3], v2, v2, v3
	v_rcp_f32_e32 v5, v4
	v_div_scale_f32 v6, vcc, v3, v2, v3
	v_fma_f32 v7, -v4, v5, 1.0
	v_fmac_f32_e32 v5, v7, v5
	v_mul_f32_e32 v7, v6, v5
	v_fma_f32 v8, -v4, v7, v6
	v_fmac_f32_e32 v7, v8, v5
	v_fma_f32 v4, -v4, v7, v6
	v_div_fmas_f32 v4, v4, v5, v7
	v_div_fixup_f32 v3, v4, v2, v3
	global_store_dword v[0:1], v3, off
	v_add_co_u32_e32 v0, vcc, 4, v0
	v_addc_co_u32_e32 v1, vcc, 0, v1, vcc
	s_cbranch_scc1 .LBB351_16
.LBB351_17:
	s_endpgm
	.section	.rodata,"a",@progbits
	.p2align	6, 0x0
	.amdhsa_kernel _ZN4vllm3moe10topkGatingILi1ELi1ELi4ELi2ELi64El14__hip_bfloat16LNS0_11ScoringFuncE1EEEvPKT5_PKbPfiPT4_PiiiibPKf
		.amdhsa_group_segment_fixed_size 0
		.amdhsa_private_segment_fixed_size 0
		.amdhsa_kernarg_size 72
		.amdhsa_user_sgpr_count 6
		.amdhsa_user_sgpr_private_segment_buffer 1
		.amdhsa_user_sgpr_dispatch_ptr 0
		.amdhsa_user_sgpr_queue_ptr 0
		.amdhsa_user_sgpr_kernarg_segment_ptr 1
		.amdhsa_user_sgpr_dispatch_id 0
		.amdhsa_user_sgpr_flat_scratch_init 0
		.amdhsa_user_sgpr_kernarg_preload_length 0
		.amdhsa_user_sgpr_kernarg_preload_offset 0
		.amdhsa_user_sgpr_private_segment_size 0
		.amdhsa_uses_dynamic_stack 0
		.amdhsa_system_sgpr_private_segment_wavefront_offset 0
		.amdhsa_system_sgpr_workgroup_id_x 1
		.amdhsa_system_sgpr_workgroup_id_y 0
		.amdhsa_system_sgpr_workgroup_id_z 0
		.amdhsa_system_sgpr_workgroup_info 0
		.amdhsa_system_vgpr_workitem_id 1
		.amdhsa_next_free_vgpr 19
		.amdhsa_next_free_sgpr 20
		.amdhsa_accum_offset 20
		.amdhsa_reserve_vcc 1
		.amdhsa_reserve_flat_scratch 0
		.amdhsa_float_round_mode_32 0
		.amdhsa_float_round_mode_16_64 0
		.amdhsa_float_denorm_mode_32 3
		.amdhsa_float_denorm_mode_16_64 3
		.amdhsa_dx10_clamp 1
		.amdhsa_ieee_mode 1
		.amdhsa_fp16_overflow 0
		.amdhsa_tg_split 0
		.amdhsa_exception_fp_ieee_invalid_op 0
		.amdhsa_exception_fp_denorm_src 0
		.amdhsa_exception_fp_ieee_div_zero 0
		.amdhsa_exception_fp_ieee_overflow 0
		.amdhsa_exception_fp_ieee_underflow 0
		.amdhsa_exception_fp_ieee_inexact 0
		.amdhsa_exception_int_div_zero 0
	.end_amdhsa_kernel
	.section	.text._ZN4vllm3moe10topkGatingILi1ELi1ELi4ELi2ELi64El14__hip_bfloat16LNS0_11ScoringFuncE1EEEvPKT5_PKbPfiPT4_PiiiibPKf,"axG",@progbits,_ZN4vllm3moe10topkGatingILi1ELi1ELi4ELi2ELi64El14__hip_bfloat16LNS0_11ScoringFuncE1EEEvPKT5_PKbPfiPT4_PiiiibPKf,comdat
.Lfunc_end351:
	.size	_ZN4vllm3moe10topkGatingILi1ELi1ELi4ELi2ELi64El14__hip_bfloat16LNS0_11ScoringFuncE1EEEvPKT5_PKbPfiPT4_PiiiibPKf, .Lfunc_end351-_ZN4vllm3moe10topkGatingILi1ELi1ELi4ELi2ELi64El14__hip_bfloat16LNS0_11ScoringFuncE1EEEvPKT5_PKbPfiPT4_PiiiibPKf
                                        ; -- End function
	.section	.AMDGPU.csdata,"",@progbits
; Kernel info:
; codeLenInByte = 984
; NumSgprs: 24
; NumVgprs: 19
; NumAgprs: 0
; TotalNumVgprs: 19
; ScratchSize: 0
; MemoryBound: 0
; FloatMode: 240
; IeeeMode: 1
; LDSByteSize: 0 bytes/workgroup (compile time only)
; SGPRBlocks: 2
; VGPRBlocks: 2
; NumSGPRsForWavesPerEU: 24
; NumVGPRsForWavesPerEU: 19
; AccumOffset: 20
; Occupancy: 8
; WaveLimiterHint : 0
; COMPUTE_PGM_RSRC2:SCRATCH_EN: 0
; COMPUTE_PGM_RSRC2:USER_SGPR: 6
; COMPUTE_PGM_RSRC2:TRAP_HANDLER: 0
; COMPUTE_PGM_RSRC2:TGID_X_EN: 1
; COMPUTE_PGM_RSRC2:TGID_Y_EN: 0
; COMPUTE_PGM_RSRC2:TGID_Z_EN: 0
; COMPUTE_PGM_RSRC2:TIDIG_COMP_CNT: 1
; COMPUTE_PGM_RSRC3_GFX90A:ACCUM_OFFSET: 4
; COMPUTE_PGM_RSRC3_GFX90A:TG_SPLIT: 0
	.section	.text._ZN4vllm3moe10topkGatingILi1ELi1ELi4ELi2ELi32El14__hip_bfloat16LNS0_11ScoringFuncE1EEEvPKT5_PKbPfiPT4_PiiiibPKf,"axG",@progbits,_ZN4vllm3moe10topkGatingILi1ELi1ELi4ELi2ELi32El14__hip_bfloat16LNS0_11ScoringFuncE1EEEvPKT5_PKbPfiPT4_PiiiibPKf,comdat
	.protected	_ZN4vllm3moe10topkGatingILi1ELi1ELi4ELi2ELi32El14__hip_bfloat16LNS0_11ScoringFuncE1EEEvPKT5_PKbPfiPT4_PiiiibPKf ; -- Begin function _ZN4vllm3moe10topkGatingILi1ELi1ELi4ELi2ELi32El14__hip_bfloat16LNS0_11ScoringFuncE1EEEvPKT5_PKbPfiPT4_PiiiibPKf
	.globl	_ZN4vllm3moe10topkGatingILi1ELi1ELi4ELi2ELi32El14__hip_bfloat16LNS0_11ScoringFuncE1EEEvPKT5_PKbPfiPT4_PiiiibPKf
	.p2align	8
	.type	_ZN4vllm3moe10topkGatingILi1ELi1ELi4ELi2ELi32El14__hip_bfloat16LNS0_11ScoringFuncE1EEEvPKT5_PKbPfiPT4_PiiiibPKf,@function
_ZN4vllm3moe10topkGatingILi1ELi1ELi4ELi2ELi32El14__hip_bfloat16LNS0_11ScoringFuncE1EEEvPKT5_PKbPfiPT4_PiiiibPKf: ; @_ZN4vllm3moe10topkGatingILi1ELi1ELi4ELi2ELi32El14__hip_bfloat16LNS0_11ScoringFuncE1EEEvPKT5_PKbPfiPT4_PiiiibPKf
; %bb.0:
	s_load_dword s18, s[4:5], 0x18
	v_bfe_u32 v1, v0, 10, 10
	s_lshl_b32 s0, s6, 7
	v_lshlrev_b32_e32 v1, 5, v1
	v_and_b32_e32 v0, 0x3ff, v0
	v_add3_u32 v0, v1, v0, s0
	s_waitcnt lgkmcnt(0)
	v_cmp_gt_i32_e32 vcc, s18, v0
	s_and_saveexec_b64 s[0:1], vcc
	s_cbranch_execz .LBB352_17
; %bb.1:
	s_load_dwordx4 s[12:15], s[4:5], 0x0
	s_load_dwordx2 s[2:3], s[4:5], 0x10
	v_ashrrev_i32_e32 v1, 31, v0
	s_waitcnt lgkmcnt(0)
	s_cmp_eq_u64 s[14:15], 0
	s_cbranch_scc1 .LBB352_3
; %bb.2:
	v_mov_b32_e32 v3, s15
	v_add_co_u32_e32 v2, vcc, s14, v0
	v_addc_co_u32_e32 v3, vcc, v3, v1, vcc
	global_load_ubyte v2, v[2:3], off
	s_waitcnt vmcnt(0)
	v_and_b32_e32 v2, 1, v2
	v_cmp_eq_u32_e32 vcc, 1, v2
	s_xor_b64 s[0:1], vcc, -1
	s_orn2_b64 s[16:17], s[0:1], exec
	s_branch .LBB352_4
.LBB352_3:
	s_mov_b64 s[16:17], -1
.LBB352_4:
	s_load_dwordx4 s[8:11], s[4:5], 0x30
	s_waitcnt lgkmcnt(0)
	s_bitcmp1_b32 s11, 0
	s_cselect_b64 s[0:1], -1, 0
	s_cmp_gt_i32 s8, 0
	s_cselect_b64 s[14:15], -1, 0
	s_cmp_lt_i32 s8, 1
	s_cbranch_scc1 .LBB352_8
; %bb.5:
	v_lshlrev_b64 v[2:3], 1, v[0:1]
	v_mov_b32_e32 v1, s13
	v_add_co_u32_e32 v2, vcc, s12, v2
	v_addc_co_u32_e32 v3, vcc, v1, v3, vcc
	global_load_ushort v11, v[2:3], off
	v_mul_lo_u32 v2, v0, s8
	s_load_dwordx4 s[4:7], s[4:5], 0x20
	s_cmp_lt_i32 s9, 1
	v_ashrrev_i32_e32 v3, 31, v2
	s_cselect_b64 s[12:13], -1, 0
	s_cmp_gt_i32 s10, 0
	v_lshlrev_b64 v[8:9], 2, v[2:3]
	v_mov_b32_e32 v4, s3
	s_cselect_b64 s[10:11], -1, 0
	s_sub_i32 s9, 0, s9
	v_lshlrev_b64 v[6:7], 3, v[2:3]
	v_add_co_u32_e32 v2, vcc, s2, v8
	s_and_b64 s[10:11], s[12:13], s[10:11]
	s_ashr_i32 s12, s9, 31
	v_addc_co_u32_e32 v3, vcc, v4, v9, vcc
	v_mov_b32_e32 v12, s9
	v_mov_b32_e32 v4, s12
	s_and_b64 vcc, s[16:17], s[10:11]
	v_cndmask_b32_e32 v5, 0, v4, vcc
	v_cndmask_b32_e32 v4, 1, v12, vcc
	s_waitcnt lgkmcnt(0)
	v_mov_b32_e32 v12, s5
	v_add_co_u32_e32 v6, vcc, s4, v6
	v_addc_co_u32_e32 v7, vcc, v12, v7, vcc
	v_mov_b32_e32 v13, s7
	v_add_co_u32_e32 v8, vcc, s6, v8
	v_addc_co_u32_e32 v9, vcc, v13, v9, vcc
	s_movk_i32 s19, 0x1f8
	v_mov_b32_e32 v1, 0
	v_mov_b32_e32 v10, v0
	s_waitcnt vmcnt(0)
	v_lshlrev_b32_e32 v11, 16, v11
	v_mul_f32_e32 v11, 0xbfb8aa3b, v11
	v_exp_f32_e32 v11, v11
	v_add_f32_e32 v11, 1.0, v11
	v_div_scale_f32 v12, s[4:5], v11, v11, 1.0
	v_rcp_f32_e32 v14, v12
	v_div_scale_f32 v13, vcc, 1.0, v11, 1.0
	s_mov_b32 s4, s8
	v_fma_f32 v15, -v12, v14, 1.0
	v_fmac_f32_e32 v14, v15, v14
	v_mul_f32_e32 v15, v13, v14
	v_fma_f32 v16, -v12, v15, v13
	v_fmac_f32_e32 v15, v16, v14
	v_fma_f32 v12, -v12, v15, v13
	v_div_fmas_f32 v12, v12, v14, v15
	v_div_fixup_f32 v11, v12, v11, 1.0
	v_cmp_class_f32_e64 vcc, v11, s19
	v_cndmask_b32_e32 v11, 0, v11, vcc
.LBB352_6:                              ; =>This Inner Loop Header: Depth=1
	global_store_dword v[2:3], v11, off
	global_store_dwordx2 v[6:7], v[4:5], off
	global_store_dword v[8:9], v10, off
	v_add_co_u32_e32 v2, vcc, 4, v2
	v_addc_co_u32_e32 v3, vcc, 0, v3, vcc
	v_add_co_u32_e32 v6, vcc, 8, v6
	v_addc_co_u32_e32 v7, vcc, 0, v7, vcc
	v_add_f32_e32 v12, v1, v11
	s_add_i32 s4, s4, -1
	v_add_co_u32_e32 v8, vcc, 4, v8
	v_cndmask_b32_e64 v1, v1, v12, s[0:1]
	v_add_u32_e32 v10, s18, v10
	s_cmp_lg_u32 s4, 0
	v_addc_co_u32_e32 v9, vcc, 0, v9, vcc
	s_cbranch_scc1 .LBB352_6
; %bb.7:
	s_andn2_b64 vcc, exec, s[0:1]
	s_cbranch_vccz .LBB352_9
	s_branch .LBB352_17
.LBB352_8:
	v_mov_b32_e32 v1, 0
	s_andn2_b64 vcc, exec, s[0:1]
	s_cbranch_vccnz .LBB352_17
.LBB352_9:
	s_andn2_b64 vcc, exec, s[14:15]
	s_cbranch_vccnz .LBB352_17
; %bb.10:
	v_cmp_lt_f32_e32 vcc, 0, v1
	s_mov_b32 s4, 0
	v_cndmask_b32_e32 v2, 1.0, v1, vcc
	v_mul_lo_u32 v0, v0, s8
	s_cmp_eq_u32 s8, 1
	s_mov_b64 s[0:1], -1
	s_cbranch_scc1 .LBB352_14
; %bb.11:
	s_and_b32 s4, s8, 0x7ffffffe
	v_mov_b32_e32 v1, v2
	v_mov_b32_e32 v3, s3
	s_mov_b32 s5, s4
	v_mov_b32_e32 v4, v0
.LBB352_12:                             ; =>This Inner Loop Header: Depth=1
	v_ashrrev_i32_e32 v5, 31, v4
	v_lshlrev_b64 v[6:7], 2, v[4:5]
	v_add_co_u32_e32 v6, vcc, s2, v6
	v_addc_co_u32_e32 v7, vcc, v3, v7, vcc
	global_load_dwordx2 v[8:9], v[6:7], off
	s_add_i32 s5, s5, -2
	s_cmp_lg_u32 s5, 0
	v_add_u32_e32 v4, 2, v4
	s_waitcnt vmcnt(0)
	v_div_scale_f32 v5, s[0:1], v1, v1, v9
	v_div_scale_f32 v11, s[0:1], v2, v2, v8
	v_rcp_f32_e32 v12, v5
	v_rcp_f32_e32 v13, v11
	v_div_scale_f32 v10, vcc, v9, v1, v9
	v_fma_f32 v15, -v5, v12, 1.0
	v_fma_f32 v16, -v11, v13, 1.0
	v_fmac_f32_e32 v12, v15, v12
	v_div_scale_f32 v14, s[0:1], v8, v2, v8
	v_fmac_f32_e32 v13, v16, v13
	v_mul_f32_e32 v15, v10, v12
	v_mul_f32_e32 v16, v14, v13
	v_fma_f32 v17, -v5, v15, v10
	v_fma_f32 v18, -v11, v16, v14
	v_fmac_f32_e32 v15, v17, v12
	v_fmac_f32_e32 v16, v18, v13
	v_fma_f32 v5, -v5, v15, v10
	v_fma_f32 v10, -v11, v16, v14
	v_div_fmas_f32 v5, v5, v12, v15
	s_mov_b64 vcc, s[0:1]
	v_div_fixup_f32 v9, v5, v1, v9
	v_div_fmas_f32 v5, v10, v13, v16
	v_div_fixup_f32 v8, v5, v2, v8
	global_store_dwordx2 v[6:7], v[8:9], off
	s_cbranch_scc1 .LBB352_12
; %bb.13:
	s_cmp_lg_u32 s4, s8
	s_cselect_b64 s[0:1], -1, 0
.LBB352_14:
	s_and_b64 vcc, exec, s[0:1]
	s_cbranch_vccz .LBB352_17
; %bb.15:
	v_ashrrev_i32_e32 v1, 31, v0
	v_add_co_u32_e32 v0, vcc, s4, v0
	v_addc_co_u32_e32 v1, vcc, 0, v1, vcc
	v_lshlrev_b64 v[0:1], 2, v[0:1]
	v_mov_b32_e32 v3, s3
	v_add_co_u32_e32 v0, vcc, s2, v0
	s_sub_i32 s0, s8, s4
	v_addc_co_u32_e32 v1, vcc, v3, v1, vcc
.LBB352_16:                             ; =>This Inner Loop Header: Depth=1
	global_load_dword v3, v[0:1], off
	s_add_i32 s0, s0, -1
	s_cmp_lg_u32 s0, 0
	s_waitcnt vmcnt(0)
	v_div_scale_f32 v4, s[2:3], v2, v2, v3
	v_rcp_f32_e32 v5, v4
	v_div_scale_f32 v6, vcc, v3, v2, v3
	v_fma_f32 v7, -v4, v5, 1.0
	v_fmac_f32_e32 v5, v7, v5
	v_mul_f32_e32 v7, v6, v5
	v_fma_f32 v8, -v4, v7, v6
	v_fmac_f32_e32 v7, v8, v5
	v_fma_f32 v4, -v4, v7, v6
	v_div_fmas_f32 v4, v4, v5, v7
	v_div_fixup_f32 v3, v4, v2, v3
	global_store_dword v[0:1], v3, off
	v_add_co_u32_e32 v0, vcc, 4, v0
	v_addc_co_u32_e32 v1, vcc, 0, v1, vcc
	s_cbranch_scc1 .LBB352_16
.LBB352_17:
	s_endpgm
	.section	.rodata,"a",@progbits
	.p2align	6, 0x0
	.amdhsa_kernel _ZN4vllm3moe10topkGatingILi1ELi1ELi4ELi2ELi32El14__hip_bfloat16LNS0_11ScoringFuncE1EEEvPKT5_PKbPfiPT4_PiiiibPKf
		.amdhsa_group_segment_fixed_size 0
		.amdhsa_private_segment_fixed_size 0
		.amdhsa_kernarg_size 72
		.amdhsa_user_sgpr_count 6
		.amdhsa_user_sgpr_private_segment_buffer 1
		.amdhsa_user_sgpr_dispatch_ptr 0
		.amdhsa_user_sgpr_queue_ptr 0
		.amdhsa_user_sgpr_kernarg_segment_ptr 1
		.amdhsa_user_sgpr_dispatch_id 0
		.amdhsa_user_sgpr_flat_scratch_init 0
		.amdhsa_user_sgpr_kernarg_preload_length 0
		.amdhsa_user_sgpr_kernarg_preload_offset 0
		.amdhsa_user_sgpr_private_segment_size 0
		.amdhsa_uses_dynamic_stack 0
		.amdhsa_system_sgpr_private_segment_wavefront_offset 0
		.amdhsa_system_sgpr_workgroup_id_x 1
		.amdhsa_system_sgpr_workgroup_id_y 0
		.amdhsa_system_sgpr_workgroup_id_z 0
		.amdhsa_system_sgpr_workgroup_info 0
		.amdhsa_system_vgpr_workitem_id 1
		.amdhsa_next_free_vgpr 19
		.amdhsa_next_free_sgpr 20
		.amdhsa_accum_offset 20
		.amdhsa_reserve_vcc 1
		.amdhsa_reserve_flat_scratch 0
		.amdhsa_float_round_mode_32 0
		.amdhsa_float_round_mode_16_64 0
		.amdhsa_float_denorm_mode_32 3
		.amdhsa_float_denorm_mode_16_64 3
		.amdhsa_dx10_clamp 1
		.amdhsa_ieee_mode 1
		.amdhsa_fp16_overflow 0
		.amdhsa_tg_split 0
		.amdhsa_exception_fp_ieee_invalid_op 0
		.amdhsa_exception_fp_denorm_src 0
		.amdhsa_exception_fp_ieee_div_zero 0
		.amdhsa_exception_fp_ieee_overflow 0
		.amdhsa_exception_fp_ieee_underflow 0
		.amdhsa_exception_fp_ieee_inexact 0
		.amdhsa_exception_int_div_zero 0
	.end_amdhsa_kernel
	.section	.text._ZN4vllm3moe10topkGatingILi1ELi1ELi4ELi2ELi32El14__hip_bfloat16LNS0_11ScoringFuncE1EEEvPKT5_PKbPfiPT4_PiiiibPKf,"axG",@progbits,_ZN4vllm3moe10topkGatingILi1ELi1ELi4ELi2ELi32El14__hip_bfloat16LNS0_11ScoringFuncE1EEEvPKT5_PKbPfiPT4_PiiiibPKf,comdat
.Lfunc_end352:
	.size	_ZN4vllm3moe10topkGatingILi1ELi1ELi4ELi2ELi32El14__hip_bfloat16LNS0_11ScoringFuncE1EEEvPKT5_PKbPfiPT4_PiiiibPKf, .Lfunc_end352-_ZN4vllm3moe10topkGatingILi1ELi1ELi4ELi2ELi32El14__hip_bfloat16LNS0_11ScoringFuncE1EEEvPKT5_PKbPfiPT4_PiiiibPKf
                                        ; -- End function
	.section	.AMDGPU.csdata,"",@progbits
; Kernel info:
; codeLenInByte = 984
; NumSgprs: 24
; NumVgprs: 19
; NumAgprs: 0
; TotalNumVgprs: 19
; ScratchSize: 0
; MemoryBound: 0
; FloatMode: 240
; IeeeMode: 1
; LDSByteSize: 0 bytes/workgroup (compile time only)
; SGPRBlocks: 2
; VGPRBlocks: 2
; NumSGPRsForWavesPerEU: 24
; NumVGPRsForWavesPerEU: 19
; AccumOffset: 20
; Occupancy: 8
; WaveLimiterHint : 0
; COMPUTE_PGM_RSRC2:SCRATCH_EN: 0
; COMPUTE_PGM_RSRC2:USER_SGPR: 6
; COMPUTE_PGM_RSRC2:TRAP_HANDLER: 0
; COMPUTE_PGM_RSRC2:TGID_X_EN: 1
; COMPUTE_PGM_RSRC2:TGID_Y_EN: 0
; COMPUTE_PGM_RSRC2:TGID_Z_EN: 0
; COMPUTE_PGM_RSRC2:TIDIG_COMP_CNT: 1
; COMPUTE_PGM_RSRC3_GFX90A:ACCUM_OFFSET: 4
; COMPUTE_PGM_RSRC3_GFX90A:TG_SPLIT: 0
	.section	.text._ZN4vllm3moe10topkGatingILi2ELi2ELi4ELi4ELi64El14__hip_bfloat16LNS0_11ScoringFuncE1EEEvPKT5_PKbPfiPT4_PiiiibPKf,"axG",@progbits,_ZN4vllm3moe10topkGatingILi2ELi2ELi4ELi4ELi64El14__hip_bfloat16LNS0_11ScoringFuncE1EEEvPKT5_PKbPfiPT4_PiiiibPKf,comdat
	.protected	_ZN4vllm3moe10topkGatingILi2ELi2ELi4ELi4ELi64El14__hip_bfloat16LNS0_11ScoringFuncE1EEEvPKT5_PKbPfiPT4_PiiiibPKf ; -- Begin function _ZN4vllm3moe10topkGatingILi2ELi2ELi4ELi4ELi64El14__hip_bfloat16LNS0_11ScoringFuncE1EEEvPKT5_PKbPfiPT4_PiiiibPKf
	.globl	_ZN4vllm3moe10topkGatingILi2ELi2ELi4ELi4ELi64El14__hip_bfloat16LNS0_11ScoringFuncE1EEEvPKT5_PKbPfiPT4_PiiiibPKf
	.p2align	8
	.type	_ZN4vllm3moe10topkGatingILi2ELi2ELi4ELi4ELi64El14__hip_bfloat16LNS0_11ScoringFuncE1EEEvPKT5_PKbPfiPT4_PiiiibPKf,@function
_ZN4vllm3moe10topkGatingILi2ELi2ELi4ELi4ELi64El14__hip_bfloat16LNS0_11ScoringFuncE1EEEvPKT5_PKbPfiPT4_PiiiibPKf: ; @_ZN4vllm3moe10topkGatingILi2ELi2ELi4ELi4ELi64El14__hip_bfloat16LNS0_11ScoringFuncE1EEEvPKT5_PKbPfiPT4_PiiiibPKf
; %bb.0:
	s_load_dword s16, s[4:5], 0x18
	v_bfe_u32 v1, v0, 10, 10
	s_lshl_b32 s0, s6, 8
	v_lshlrev_b32_e32 v1, 6, v1
	v_and_b32_e32 v0, 0x3ff, v0
	v_add3_u32 v10, v1, v0, s0
	s_waitcnt lgkmcnt(0)
	v_cmp_gt_i32_e32 vcc, s16, v10
	s_and_saveexec_b64 s[0:1], vcc
	s_cbranch_execz .LBB353_19
; %bb.1:
	s_load_dwordx4 s[0:3], s[4:5], 0x0
	s_load_dwordx2 s[6:7], s[4:5], 0x10
	s_waitcnt lgkmcnt(0)
	s_cmp_eq_u64 s[2:3], 0
	s_cbranch_scc1 .LBB353_3
; %bb.2:
	v_ashrrev_i32_e32 v1, 31, v10
	v_mov_b32_e32 v2, s3
	v_add_co_u32_e32 v0, vcc, s2, v10
	v_addc_co_u32_e32 v1, vcc, v2, v1, vcc
	global_load_ubyte v0, v[0:1], off
	s_waitcnt vmcnt(0)
	v_and_b32_e32 v0, 1, v0
	v_cmp_eq_u32_e32 vcc, 1, v0
	s_xor_b64 s[2:3], vcc, -1
	s_orn2_b64 s[12:13], s[2:3], exec
	s_branch .LBB353_4
.LBB353_3:
	s_mov_b64 s[12:13], -1
.LBB353_4:
	v_lshlrev_b32_e32 v0, 1, v10
	v_ashrrev_i32_e32 v1, 31, v0
	v_lshlrev_b64 v[0:1], 1, v[0:1]
	v_mov_b32_e32 v2, s1
	v_add_co_u32_e32 v0, vcc, s0, v0
	v_addc_co_u32_e32 v1, vcc, v2, v1, vcc
	global_load_dword v0, v[0:1], off
	s_load_dwordx2 s[2:3], s[4:5], 0x40
	s_movk_i32 s8, 0x1f8
	s_waitcnt lgkmcnt(0)
	s_cmp_eq_u64 s[2:3], 0
	s_waitcnt vmcnt(0)
	v_and_b32_e32 v1, 0xffff0000, v0
	v_lshlrev_b32_e32 v0, 16, v0
	v_mul_f32_e32 v0, 0xbfb8aa3b, v0
	v_mul_f32_e32 v1, 0xbfb8aa3b, v1
	v_exp_f32_e32 v0, v0
	v_exp_f32_e32 v1, v1
	v_pk_add_f32 v[0:1], v[0:1], 1.0 op_sel_hi:[1,0]
	v_div_scale_f32 v2, s[0:1], v1, v1, 1.0
	v_div_scale_f32 v4, s[0:1], v0, v0, 1.0
	v_rcp_f32_e32 v5, v2
	v_rcp_f32_e32 v6, v4
	v_div_scale_f32 v3, vcc, 1.0, v1, 1.0
	v_fma_f32 v8, -v2, v5, 1.0
	v_fma_f32 v9, -v4, v6, 1.0
	v_fmac_f32_e32 v5, v8, v5
	v_div_scale_f32 v7, s[0:1], 1.0, v0, 1.0
	v_fmac_f32_e32 v6, v9, v6
	v_mul_f32_e32 v8, v3, v5
	v_mul_f32_e32 v9, v7, v6
	v_fma_f32 v11, -v2, v8, v3
	v_fma_f32 v12, -v4, v9, v7
	v_fmac_f32_e32 v8, v11, v5
	v_fmac_f32_e32 v9, v12, v6
	v_fma_f32 v2, -v2, v8, v3
	v_fma_f32 v3, -v4, v9, v7
	v_div_fmas_f32 v2, v2, v5, v8
	s_mov_b64 vcc, s[0:1]
	v_div_fixup_f32 v1, v2, v1, 1.0
	v_div_fmas_f32 v2, v3, v6, v9
	v_div_fixup_f32 v0, v2, v0, 1.0
	v_cmp_class_f32_e64 vcc, v1, s8
	v_cndmask_b32_e32 v1, 0, v1, vcc
	v_cmp_class_f32_e64 vcc, v0, s8
	v_cndmask_b32_e32 v0, 0, v0, vcc
	v_pk_mov_b32 v[2:3], v[0:1], v[0:1] op_sel:[0,1]
	s_cbranch_scc1 .LBB353_6
; %bb.5:
	s_load_dwordx2 s[0:1], s[2:3], 0x0
	s_waitcnt lgkmcnt(0)
	v_pk_add_f32 v[2:3], v[0:1], s[0:1]
.LBB353_6:
	s_load_dwordx4 s[8:11], s[4:5], 0x30
	s_waitcnt lgkmcnt(0)
	s_bitcmp1_b32 s11, 0
	s_cselect_b64 vcc, -1, 0
	s_cmp_gt_i32 s8, 0
	s_cselect_b64 s[14:15], -1, 0
	s_cmp_lt_i32 s8, 1
	s_cbranch_scc1 .LBB353_10
; %bb.7:
	s_load_dwordx4 s[20:23], s[4:5], 0x20
	v_mul_lo_u32 v6, v10, s8
	v_ashrrev_i32_e32 v7, 31, v6
	v_lshlrev_b64 v[8:9], 2, v[6:7]
	v_mov_b32_e32 v5, s7
	v_add_co_u32_e64 v4, s[0:1], s6, v8
	v_addc_co_u32_e64 v5, s[0:1], v5, v9, s[0:1]
	v_lshlrev_b64 v[6:7], 3, v[6:7]
	s_waitcnt lgkmcnt(0)
	v_mov_b32_e32 v11, s21
	v_add_co_u32_e64 v6, s[0:1], s20, v6
	v_addc_co_u32_e64 v7, s[0:1], v11, v7, s[0:1]
	v_mov_b32_e32 v11, s23
	v_add_co_u32_e64 v8, s[0:1], s22, v8
	v_addc_co_u32_e64 v9, s[0:1], v11, v9, s[0:1]
	s_mov_b32 s11, 0
	v_mov_b32_e32 v11, 0
	v_mov_b32_e32 v12, 0xc61c4000
	;; [unrolled: 1-line block ×3, first 2 shown]
.LBB353_8:                              ; =>This Inner Loop Header: Depth=1
	v_cmp_gt_f32_e64 s[0:1], v3, v2
	v_cndmask_b32_e64 v14, 0, 1, s[0:1]
	v_cmp_le_i32_e64 s[2:3], s9, v14
	v_cmp_gt_i32_e64 s[4:5], s10, v14
	s_and_b64 s[2:3], s[2:3], s[4:5]
	v_subrev_u32_e32 v14, s9, v14
	v_ashrrev_i32_e32 v15, 31, v14
	s_and_b64 s[2:3], s[12:13], s[2:3]
	v_cndmask_b32_e64 v16, v0, v1, s[0:1]
	v_cndmask_b32_e64 v15, 0, v15, s[2:3]
	;; [unrolled: 1-line block ×3, first 2 shown]
	s_add_i32 s11, s11, 1
	global_store_dword v[4:5], v16, off
	global_store_dwordx2 v[6:7], v[14:15], off
	global_store_dword v[8:9], v13, off
	v_add_f32_e32 v14, v11, v16
	s_cmp_lt_i32 s11, s8
	v_cndmask_b32_e32 v11, v11, v14, vcc
	v_cndmask_b32_e64 v14, v12, v2, s[0:1]
	v_cndmask_b32_e64 v15, v3, v12, s[0:1]
	s_cselect_b64 s[0:1], -1, 0
	v_cndmask_b32_e64 v3, v3, v15, s[0:1]
	v_cndmask_b32_e64 v2, v2, v14, s[0:1]
	v_add_co_u32_e64 v4, s[0:1], 4, v4
	v_addc_co_u32_e64 v5, s[0:1], 0, v5, s[0:1]
	v_add_co_u32_e64 v6, s[0:1], 8, v6
	v_addc_co_u32_e64 v7, s[0:1], 0, v7, s[0:1]
	v_add_co_u32_e64 v8, s[0:1], 4, v8
	v_add_u32_e32 v13, s16, v13
	s_cmp_eq_u32 s8, s11
	v_addc_co_u32_e64 v9, s[0:1], 0, v9, s[0:1]
	s_cbranch_scc0 .LBB353_8
; %bb.9:
	s_and_b64 vcc, exec, vcc
	s_cbranch_vccnz .LBB353_11
	s_branch .LBB353_19
.LBB353_10:
	v_mov_b32_e32 v11, 0
	s_and_b64 vcc, exec, vcc
	s_cbranch_vccz .LBB353_19
.LBB353_11:
	s_andn2_b64 vcc, exec, s[14:15]
	s_cbranch_vccnz .LBB353_19
; %bb.12:
	v_cmp_lt_f32_e32 vcc, 0, v11
	s_mov_b32 s2, 0
	v_cndmask_b32_e32 v0, 1.0, v11, vcc
	v_mul_lo_u32 v4, v10, s8
	s_cmp_eq_u32 s8, 1
	s_mov_b64 s[0:1], -1
	s_cbranch_scc1 .LBB353_16
; %bb.13:
	s_and_b32 s2, s8, 0x7ffffffe
	v_mov_b32_e32 v1, v0
	v_mov_b32_e32 v5, s7
	s_mov_b32 s3, s2
	v_mov_b32_e32 v2, v4
.LBB353_14:                             ; =>This Inner Loop Header: Depth=1
	v_ashrrev_i32_e32 v3, 31, v2
	v_lshlrev_b64 v[6:7], 2, v[2:3]
	v_add_co_u32_e32 v6, vcc, s6, v6
	v_addc_co_u32_e32 v7, vcc, v5, v7, vcc
	global_load_dwordx2 v[8:9], v[6:7], off
	s_add_i32 s3, s3, -2
	s_cmp_lg_u32 s3, 0
	v_add_u32_e32 v2, 2, v2
	s_waitcnt vmcnt(0)
	v_div_scale_f32 v3, s[0:1], v1, v1, v9
	v_div_scale_f32 v11, s[0:1], v0, v0, v8
	v_rcp_f32_e32 v12, v3
	v_rcp_f32_e32 v13, v11
	v_div_scale_f32 v10, vcc, v9, v1, v9
	v_fma_f32 v15, -v3, v12, 1.0
	v_fma_f32 v16, -v11, v13, 1.0
	v_fmac_f32_e32 v12, v15, v12
	v_div_scale_f32 v14, s[0:1], v8, v0, v8
	v_fmac_f32_e32 v13, v16, v13
	v_mul_f32_e32 v15, v10, v12
	v_mul_f32_e32 v16, v14, v13
	v_fma_f32 v17, -v3, v15, v10
	v_fma_f32 v18, -v11, v16, v14
	v_fmac_f32_e32 v15, v17, v12
	v_fmac_f32_e32 v16, v18, v13
	v_fma_f32 v3, -v3, v15, v10
	v_fma_f32 v10, -v11, v16, v14
	v_div_fmas_f32 v3, v3, v12, v15
	s_mov_b64 vcc, s[0:1]
	v_div_fixup_f32 v9, v3, v1, v9
	v_div_fmas_f32 v3, v10, v13, v16
	v_div_fixup_f32 v8, v3, v0, v8
	global_store_dwordx2 v[6:7], v[8:9], off
	s_cbranch_scc1 .LBB353_14
; %bb.15:
	s_cmp_lg_u32 s2, s8
	s_cselect_b64 s[0:1], -1, 0
.LBB353_16:
	s_and_b64 vcc, exec, s[0:1]
	s_cbranch_vccz .LBB353_19
; %bb.17:
	v_ashrrev_i32_e32 v1, 31, v4
	v_add_co_u32_e32 v2, vcc, s2, v4
	v_addc_co_u32_e32 v3, vcc, 0, v1, vcc
	v_lshlrev_b64 v[2:3], 2, v[2:3]
	v_mov_b32_e32 v1, s7
	v_add_co_u32_e32 v2, vcc, s6, v2
	s_sub_i32 s0, s8, s2
	v_addc_co_u32_e32 v3, vcc, v1, v3, vcc
.LBB353_18:                             ; =>This Inner Loop Header: Depth=1
	global_load_dword v1, v[2:3], off
	s_add_i32 s0, s0, -1
	s_cmp_lg_u32 s0, 0
	s_waitcnt vmcnt(0)
	v_div_scale_f32 v4, s[2:3], v0, v0, v1
	v_rcp_f32_e32 v5, v4
	v_div_scale_f32 v6, vcc, v1, v0, v1
	v_fma_f32 v7, -v4, v5, 1.0
	v_fmac_f32_e32 v5, v7, v5
	v_mul_f32_e32 v7, v6, v5
	v_fma_f32 v8, -v4, v7, v6
	v_fmac_f32_e32 v7, v8, v5
	v_fma_f32 v4, -v4, v7, v6
	v_div_fmas_f32 v4, v4, v5, v7
	v_div_fixup_f32 v1, v4, v0, v1
	global_store_dword v[2:3], v1, off
	v_add_co_u32_e32 v2, vcc, 4, v2
	v_addc_co_u32_e32 v3, vcc, 0, v3, vcc
	s_cbranch_scc1 .LBB353_18
.LBB353_19:
	s_endpgm
	.section	.rodata,"a",@progbits
	.p2align	6, 0x0
	.amdhsa_kernel _ZN4vllm3moe10topkGatingILi2ELi2ELi4ELi4ELi64El14__hip_bfloat16LNS0_11ScoringFuncE1EEEvPKT5_PKbPfiPT4_PiiiibPKf
		.amdhsa_group_segment_fixed_size 0
		.amdhsa_private_segment_fixed_size 0
		.amdhsa_kernarg_size 72
		.amdhsa_user_sgpr_count 6
		.amdhsa_user_sgpr_private_segment_buffer 1
		.amdhsa_user_sgpr_dispatch_ptr 0
		.amdhsa_user_sgpr_queue_ptr 0
		.amdhsa_user_sgpr_kernarg_segment_ptr 1
		.amdhsa_user_sgpr_dispatch_id 0
		.amdhsa_user_sgpr_flat_scratch_init 0
		.amdhsa_user_sgpr_kernarg_preload_length 0
		.amdhsa_user_sgpr_kernarg_preload_offset 0
		.amdhsa_user_sgpr_private_segment_size 0
		.amdhsa_uses_dynamic_stack 0
		.amdhsa_system_sgpr_private_segment_wavefront_offset 0
		.amdhsa_system_sgpr_workgroup_id_x 1
		.amdhsa_system_sgpr_workgroup_id_y 0
		.amdhsa_system_sgpr_workgroup_id_z 0
		.amdhsa_system_sgpr_workgroup_info 0
		.amdhsa_system_vgpr_workitem_id 1
		.amdhsa_next_free_vgpr 19
		.amdhsa_next_free_sgpr 24
		.amdhsa_accum_offset 20
		.amdhsa_reserve_vcc 1
		.amdhsa_reserve_flat_scratch 0
		.amdhsa_float_round_mode_32 0
		.amdhsa_float_round_mode_16_64 0
		.amdhsa_float_denorm_mode_32 3
		.amdhsa_float_denorm_mode_16_64 3
		.amdhsa_dx10_clamp 1
		.amdhsa_ieee_mode 1
		.amdhsa_fp16_overflow 0
		.amdhsa_tg_split 0
		.amdhsa_exception_fp_ieee_invalid_op 0
		.amdhsa_exception_fp_denorm_src 0
		.amdhsa_exception_fp_ieee_div_zero 0
		.amdhsa_exception_fp_ieee_overflow 0
		.amdhsa_exception_fp_ieee_underflow 0
		.amdhsa_exception_fp_ieee_inexact 0
		.amdhsa_exception_int_div_zero 0
	.end_amdhsa_kernel
	.section	.text._ZN4vllm3moe10topkGatingILi2ELi2ELi4ELi4ELi64El14__hip_bfloat16LNS0_11ScoringFuncE1EEEvPKT5_PKbPfiPT4_PiiiibPKf,"axG",@progbits,_ZN4vllm3moe10topkGatingILi2ELi2ELi4ELi4ELi64El14__hip_bfloat16LNS0_11ScoringFuncE1EEEvPKT5_PKbPfiPT4_PiiiibPKf,comdat
.Lfunc_end353:
	.size	_ZN4vllm3moe10topkGatingILi2ELi2ELi4ELi4ELi64El14__hip_bfloat16LNS0_11ScoringFuncE1EEEvPKT5_PKbPfiPT4_PiiiibPKf, .Lfunc_end353-_ZN4vllm3moe10topkGatingILi2ELi2ELi4ELi4ELi64El14__hip_bfloat16LNS0_11ScoringFuncE1EEEvPKT5_PKbPfiPT4_PiiiibPKf
                                        ; -- End function
	.section	.AMDGPU.csdata,"",@progbits
; Kernel info:
; codeLenInByte = 1268
; NumSgprs: 28
; NumVgprs: 19
; NumAgprs: 0
; TotalNumVgprs: 19
; ScratchSize: 0
; MemoryBound: 1
; FloatMode: 240
; IeeeMode: 1
; LDSByteSize: 0 bytes/workgroup (compile time only)
; SGPRBlocks: 3
; VGPRBlocks: 2
; NumSGPRsForWavesPerEU: 28
; NumVGPRsForWavesPerEU: 19
; AccumOffset: 20
; Occupancy: 8
; WaveLimiterHint : 0
; COMPUTE_PGM_RSRC2:SCRATCH_EN: 0
; COMPUTE_PGM_RSRC2:USER_SGPR: 6
; COMPUTE_PGM_RSRC2:TRAP_HANDLER: 0
; COMPUTE_PGM_RSRC2:TGID_X_EN: 1
; COMPUTE_PGM_RSRC2:TGID_Y_EN: 0
; COMPUTE_PGM_RSRC2:TGID_Z_EN: 0
; COMPUTE_PGM_RSRC2:TIDIG_COMP_CNT: 1
; COMPUTE_PGM_RSRC3_GFX90A:ACCUM_OFFSET: 4
; COMPUTE_PGM_RSRC3_GFX90A:TG_SPLIT: 0
	.section	.text._ZN4vllm3moe10topkGatingILi2ELi2ELi4ELi4ELi32El14__hip_bfloat16LNS0_11ScoringFuncE1EEEvPKT5_PKbPfiPT4_PiiiibPKf,"axG",@progbits,_ZN4vllm3moe10topkGatingILi2ELi2ELi4ELi4ELi32El14__hip_bfloat16LNS0_11ScoringFuncE1EEEvPKT5_PKbPfiPT4_PiiiibPKf,comdat
	.protected	_ZN4vllm3moe10topkGatingILi2ELi2ELi4ELi4ELi32El14__hip_bfloat16LNS0_11ScoringFuncE1EEEvPKT5_PKbPfiPT4_PiiiibPKf ; -- Begin function _ZN4vllm3moe10topkGatingILi2ELi2ELi4ELi4ELi32El14__hip_bfloat16LNS0_11ScoringFuncE1EEEvPKT5_PKbPfiPT4_PiiiibPKf
	.globl	_ZN4vllm3moe10topkGatingILi2ELi2ELi4ELi4ELi32El14__hip_bfloat16LNS0_11ScoringFuncE1EEEvPKT5_PKbPfiPT4_PiiiibPKf
	.p2align	8
	.type	_ZN4vllm3moe10topkGatingILi2ELi2ELi4ELi4ELi32El14__hip_bfloat16LNS0_11ScoringFuncE1EEEvPKT5_PKbPfiPT4_PiiiibPKf,@function
_ZN4vllm3moe10topkGatingILi2ELi2ELi4ELi4ELi32El14__hip_bfloat16LNS0_11ScoringFuncE1EEEvPKT5_PKbPfiPT4_PiiiibPKf: ; @_ZN4vllm3moe10topkGatingILi2ELi2ELi4ELi4ELi32El14__hip_bfloat16LNS0_11ScoringFuncE1EEEvPKT5_PKbPfiPT4_PiiiibPKf
; %bb.0:
	s_load_dword s16, s[4:5], 0x18
	v_bfe_u32 v1, v0, 10, 10
	s_lshl_b32 s0, s6, 7
	v_lshlrev_b32_e32 v1, 5, v1
	v_and_b32_e32 v0, 0x3ff, v0
	v_add3_u32 v10, v1, v0, s0
	s_waitcnt lgkmcnt(0)
	v_cmp_gt_i32_e32 vcc, s16, v10
	s_and_saveexec_b64 s[0:1], vcc
	s_cbranch_execz .LBB354_19
; %bb.1:
	s_load_dwordx4 s[0:3], s[4:5], 0x0
	s_load_dwordx2 s[6:7], s[4:5], 0x10
	s_waitcnt lgkmcnt(0)
	s_cmp_eq_u64 s[2:3], 0
	s_cbranch_scc1 .LBB354_3
; %bb.2:
	v_ashrrev_i32_e32 v1, 31, v10
	v_mov_b32_e32 v2, s3
	v_add_co_u32_e32 v0, vcc, s2, v10
	v_addc_co_u32_e32 v1, vcc, v2, v1, vcc
	global_load_ubyte v0, v[0:1], off
	s_waitcnt vmcnt(0)
	v_and_b32_e32 v0, 1, v0
	v_cmp_eq_u32_e32 vcc, 1, v0
	s_xor_b64 s[2:3], vcc, -1
	s_orn2_b64 s[12:13], s[2:3], exec
	s_branch .LBB354_4
.LBB354_3:
	s_mov_b64 s[12:13], -1
.LBB354_4:
	v_lshlrev_b32_e32 v0, 1, v10
	v_ashrrev_i32_e32 v1, 31, v0
	v_lshlrev_b64 v[0:1], 1, v[0:1]
	v_mov_b32_e32 v2, s1
	v_add_co_u32_e32 v0, vcc, s0, v0
	v_addc_co_u32_e32 v1, vcc, v2, v1, vcc
	global_load_dword v0, v[0:1], off
	s_load_dwordx2 s[2:3], s[4:5], 0x40
	s_movk_i32 s8, 0x1f8
	s_waitcnt lgkmcnt(0)
	s_cmp_eq_u64 s[2:3], 0
	s_waitcnt vmcnt(0)
	v_and_b32_e32 v1, 0xffff0000, v0
	v_lshlrev_b32_e32 v0, 16, v0
	v_mul_f32_e32 v0, 0xbfb8aa3b, v0
	v_mul_f32_e32 v1, 0xbfb8aa3b, v1
	v_exp_f32_e32 v0, v0
	v_exp_f32_e32 v1, v1
	v_pk_add_f32 v[0:1], v[0:1], 1.0 op_sel_hi:[1,0]
	v_div_scale_f32 v2, s[0:1], v1, v1, 1.0
	v_div_scale_f32 v4, s[0:1], v0, v0, 1.0
	v_rcp_f32_e32 v5, v2
	v_rcp_f32_e32 v6, v4
	v_div_scale_f32 v3, vcc, 1.0, v1, 1.0
	v_fma_f32 v8, -v2, v5, 1.0
	v_fma_f32 v9, -v4, v6, 1.0
	v_fmac_f32_e32 v5, v8, v5
	v_div_scale_f32 v7, s[0:1], 1.0, v0, 1.0
	v_fmac_f32_e32 v6, v9, v6
	v_mul_f32_e32 v8, v3, v5
	v_mul_f32_e32 v9, v7, v6
	v_fma_f32 v11, -v2, v8, v3
	v_fma_f32 v12, -v4, v9, v7
	v_fmac_f32_e32 v8, v11, v5
	v_fmac_f32_e32 v9, v12, v6
	v_fma_f32 v2, -v2, v8, v3
	v_fma_f32 v3, -v4, v9, v7
	v_div_fmas_f32 v2, v2, v5, v8
	s_mov_b64 vcc, s[0:1]
	v_div_fixup_f32 v1, v2, v1, 1.0
	v_div_fmas_f32 v2, v3, v6, v9
	v_div_fixup_f32 v0, v2, v0, 1.0
	v_cmp_class_f32_e64 vcc, v1, s8
	v_cndmask_b32_e32 v1, 0, v1, vcc
	v_cmp_class_f32_e64 vcc, v0, s8
	v_cndmask_b32_e32 v0, 0, v0, vcc
	v_pk_mov_b32 v[2:3], v[0:1], v[0:1] op_sel:[0,1]
	s_cbranch_scc1 .LBB354_6
; %bb.5:
	s_load_dwordx2 s[0:1], s[2:3], 0x0
	s_waitcnt lgkmcnt(0)
	v_pk_add_f32 v[2:3], v[0:1], s[0:1]
.LBB354_6:
	s_load_dwordx4 s[8:11], s[4:5], 0x30
	s_waitcnt lgkmcnt(0)
	s_bitcmp1_b32 s11, 0
	s_cselect_b64 vcc, -1, 0
	s_cmp_gt_i32 s8, 0
	s_cselect_b64 s[14:15], -1, 0
	s_cmp_lt_i32 s8, 1
	s_cbranch_scc1 .LBB354_10
; %bb.7:
	s_load_dwordx4 s[20:23], s[4:5], 0x20
	v_mul_lo_u32 v6, v10, s8
	v_ashrrev_i32_e32 v7, 31, v6
	v_lshlrev_b64 v[8:9], 2, v[6:7]
	v_mov_b32_e32 v5, s7
	v_add_co_u32_e64 v4, s[0:1], s6, v8
	v_addc_co_u32_e64 v5, s[0:1], v5, v9, s[0:1]
	v_lshlrev_b64 v[6:7], 3, v[6:7]
	s_waitcnt lgkmcnt(0)
	v_mov_b32_e32 v11, s21
	v_add_co_u32_e64 v6, s[0:1], s20, v6
	v_addc_co_u32_e64 v7, s[0:1], v11, v7, s[0:1]
	v_mov_b32_e32 v11, s23
	v_add_co_u32_e64 v8, s[0:1], s22, v8
	v_addc_co_u32_e64 v9, s[0:1], v11, v9, s[0:1]
	s_mov_b32 s11, 0
	v_mov_b32_e32 v11, 0
	v_mov_b32_e32 v12, 0xc61c4000
	;; [unrolled: 1-line block ×3, first 2 shown]
.LBB354_8:                              ; =>This Inner Loop Header: Depth=1
	v_cmp_gt_f32_e64 s[0:1], v3, v2
	v_cndmask_b32_e64 v14, 0, 1, s[0:1]
	v_cmp_le_i32_e64 s[2:3], s9, v14
	v_cmp_gt_i32_e64 s[4:5], s10, v14
	s_and_b64 s[2:3], s[2:3], s[4:5]
	v_subrev_u32_e32 v14, s9, v14
	v_ashrrev_i32_e32 v15, 31, v14
	s_and_b64 s[2:3], s[12:13], s[2:3]
	v_cndmask_b32_e64 v16, v0, v1, s[0:1]
	v_cndmask_b32_e64 v15, 0, v15, s[2:3]
	;; [unrolled: 1-line block ×3, first 2 shown]
	s_add_i32 s11, s11, 1
	global_store_dword v[4:5], v16, off
	global_store_dwordx2 v[6:7], v[14:15], off
	global_store_dword v[8:9], v13, off
	v_add_f32_e32 v14, v11, v16
	s_cmp_lt_i32 s11, s8
	v_cndmask_b32_e32 v11, v11, v14, vcc
	v_cndmask_b32_e64 v14, v12, v2, s[0:1]
	v_cndmask_b32_e64 v15, v3, v12, s[0:1]
	s_cselect_b64 s[0:1], -1, 0
	v_cndmask_b32_e64 v3, v3, v15, s[0:1]
	v_cndmask_b32_e64 v2, v2, v14, s[0:1]
	v_add_co_u32_e64 v4, s[0:1], 4, v4
	v_addc_co_u32_e64 v5, s[0:1], 0, v5, s[0:1]
	v_add_co_u32_e64 v6, s[0:1], 8, v6
	v_addc_co_u32_e64 v7, s[0:1], 0, v7, s[0:1]
	v_add_co_u32_e64 v8, s[0:1], 4, v8
	v_add_u32_e32 v13, s16, v13
	s_cmp_eq_u32 s8, s11
	v_addc_co_u32_e64 v9, s[0:1], 0, v9, s[0:1]
	s_cbranch_scc0 .LBB354_8
; %bb.9:
	s_and_b64 vcc, exec, vcc
	s_cbranch_vccnz .LBB354_11
	s_branch .LBB354_19
.LBB354_10:
	v_mov_b32_e32 v11, 0
	s_and_b64 vcc, exec, vcc
	s_cbranch_vccz .LBB354_19
.LBB354_11:
	s_andn2_b64 vcc, exec, s[14:15]
	s_cbranch_vccnz .LBB354_19
; %bb.12:
	v_cmp_lt_f32_e32 vcc, 0, v11
	s_mov_b32 s2, 0
	v_cndmask_b32_e32 v0, 1.0, v11, vcc
	v_mul_lo_u32 v4, v10, s8
	s_cmp_eq_u32 s8, 1
	s_mov_b64 s[0:1], -1
	s_cbranch_scc1 .LBB354_16
; %bb.13:
	s_and_b32 s2, s8, 0x7ffffffe
	v_mov_b32_e32 v1, v0
	v_mov_b32_e32 v5, s7
	s_mov_b32 s3, s2
	v_mov_b32_e32 v2, v4
.LBB354_14:                             ; =>This Inner Loop Header: Depth=1
	v_ashrrev_i32_e32 v3, 31, v2
	v_lshlrev_b64 v[6:7], 2, v[2:3]
	v_add_co_u32_e32 v6, vcc, s6, v6
	v_addc_co_u32_e32 v7, vcc, v5, v7, vcc
	global_load_dwordx2 v[8:9], v[6:7], off
	s_add_i32 s3, s3, -2
	s_cmp_lg_u32 s3, 0
	v_add_u32_e32 v2, 2, v2
	s_waitcnt vmcnt(0)
	v_div_scale_f32 v3, s[0:1], v1, v1, v9
	v_div_scale_f32 v11, s[0:1], v0, v0, v8
	v_rcp_f32_e32 v12, v3
	v_rcp_f32_e32 v13, v11
	v_div_scale_f32 v10, vcc, v9, v1, v9
	v_fma_f32 v15, -v3, v12, 1.0
	v_fma_f32 v16, -v11, v13, 1.0
	v_fmac_f32_e32 v12, v15, v12
	v_div_scale_f32 v14, s[0:1], v8, v0, v8
	v_fmac_f32_e32 v13, v16, v13
	v_mul_f32_e32 v15, v10, v12
	v_mul_f32_e32 v16, v14, v13
	v_fma_f32 v17, -v3, v15, v10
	v_fma_f32 v18, -v11, v16, v14
	v_fmac_f32_e32 v15, v17, v12
	v_fmac_f32_e32 v16, v18, v13
	v_fma_f32 v3, -v3, v15, v10
	v_fma_f32 v10, -v11, v16, v14
	v_div_fmas_f32 v3, v3, v12, v15
	s_mov_b64 vcc, s[0:1]
	v_div_fixup_f32 v9, v3, v1, v9
	v_div_fmas_f32 v3, v10, v13, v16
	v_div_fixup_f32 v8, v3, v0, v8
	global_store_dwordx2 v[6:7], v[8:9], off
	s_cbranch_scc1 .LBB354_14
; %bb.15:
	s_cmp_lg_u32 s2, s8
	s_cselect_b64 s[0:1], -1, 0
.LBB354_16:
	s_and_b64 vcc, exec, s[0:1]
	s_cbranch_vccz .LBB354_19
; %bb.17:
	v_ashrrev_i32_e32 v1, 31, v4
	v_add_co_u32_e32 v2, vcc, s2, v4
	v_addc_co_u32_e32 v3, vcc, 0, v1, vcc
	v_lshlrev_b64 v[2:3], 2, v[2:3]
	v_mov_b32_e32 v1, s7
	v_add_co_u32_e32 v2, vcc, s6, v2
	s_sub_i32 s0, s8, s2
	v_addc_co_u32_e32 v3, vcc, v1, v3, vcc
.LBB354_18:                             ; =>This Inner Loop Header: Depth=1
	global_load_dword v1, v[2:3], off
	s_add_i32 s0, s0, -1
	s_cmp_lg_u32 s0, 0
	s_waitcnt vmcnt(0)
	v_div_scale_f32 v4, s[2:3], v0, v0, v1
	v_rcp_f32_e32 v5, v4
	v_div_scale_f32 v6, vcc, v1, v0, v1
	v_fma_f32 v7, -v4, v5, 1.0
	v_fmac_f32_e32 v5, v7, v5
	v_mul_f32_e32 v7, v6, v5
	v_fma_f32 v8, -v4, v7, v6
	v_fmac_f32_e32 v7, v8, v5
	v_fma_f32 v4, -v4, v7, v6
	v_div_fmas_f32 v4, v4, v5, v7
	v_div_fixup_f32 v1, v4, v0, v1
	global_store_dword v[2:3], v1, off
	v_add_co_u32_e32 v2, vcc, 4, v2
	v_addc_co_u32_e32 v3, vcc, 0, v3, vcc
	s_cbranch_scc1 .LBB354_18
.LBB354_19:
	s_endpgm
	.section	.rodata,"a",@progbits
	.p2align	6, 0x0
	.amdhsa_kernel _ZN4vllm3moe10topkGatingILi2ELi2ELi4ELi4ELi32El14__hip_bfloat16LNS0_11ScoringFuncE1EEEvPKT5_PKbPfiPT4_PiiiibPKf
		.amdhsa_group_segment_fixed_size 0
		.amdhsa_private_segment_fixed_size 0
		.amdhsa_kernarg_size 72
		.amdhsa_user_sgpr_count 6
		.amdhsa_user_sgpr_private_segment_buffer 1
		.amdhsa_user_sgpr_dispatch_ptr 0
		.amdhsa_user_sgpr_queue_ptr 0
		.amdhsa_user_sgpr_kernarg_segment_ptr 1
		.amdhsa_user_sgpr_dispatch_id 0
		.amdhsa_user_sgpr_flat_scratch_init 0
		.amdhsa_user_sgpr_kernarg_preload_length 0
		.amdhsa_user_sgpr_kernarg_preload_offset 0
		.amdhsa_user_sgpr_private_segment_size 0
		.amdhsa_uses_dynamic_stack 0
		.amdhsa_system_sgpr_private_segment_wavefront_offset 0
		.amdhsa_system_sgpr_workgroup_id_x 1
		.amdhsa_system_sgpr_workgroup_id_y 0
		.amdhsa_system_sgpr_workgroup_id_z 0
		.amdhsa_system_sgpr_workgroup_info 0
		.amdhsa_system_vgpr_workitem_id 1
		.amdhsa_next_free_vgpr 19
		.amdhsa_next_free_sgpr 24
		.amdhsa_accum_offset 20
		.amdhsa_reserve_vcc 1
		.amdhsa_reserve_flat_scratch 0
		.amdhsa_float_round_mode_32 0
		.amdhsa_float_round_mode_16_64 0
		.amdhsa_float_denorm_mode_32 3
		.amdhsa_float_denorm_mode_16_64 3
		.amdhsa_dx10_clamp 1
		.amdhsa_ieee_mode 1
		.amdhsa_fp16_overflow 0
		.amdhsa_tg_split 0
		.amdhsa_exception_fp_ieee_invalid_op 0
		.amdhsa_exception_fp_denorm_src 0
		.amdhsa_exception_fp_ieee_div_zero 0
		.amdhsa_exception_fp_ieee_overflow 0
		.amdhsa_exception_fp_ieee_underflow 0
		.amdhsa_exception_fp_ieee_inexact 0
		.amdhsa_exception_int_div_zero 0
	.end_amdhsa_kernel
	.section	.text._ZN4vllm3moe10topkGatingILi2ELi2ELi4ELi4ELi32El14__hip_bfloat16LNS0_11ScoringFuncE1EEEvPKT5_PKbPfiPT4_PiiiibPKf,"axG",@progbits,_ZN4vllm3moe10topkGatingILi2ELi2ELi4ELi4ELi32El14__hip_bfloat16LNS0_11ScoringFuncE1EEEvPKT5_PKbPfiPT4_PiiiibPKf,comdat
.Lfunc_end354:
	.size	_ZN4vllm3moe10topkGatingILi2ELi2ELi4ELi4ELi32El14__hip_bfloat16LNS0_11ScoringFuncE1EEEvPKT5_PKbPfiPT4_PiiiibPKf, .Lfunc_end354-_ZN4vllm3moe10topkGatingILi2ELi2ELi4ELi4ELi32El14__hip_bfloat16LNS0_11ScoringFuncE1EEEvPKT5_PKbPfiPT4_PiiiibPKf
                                        ; -- End function
	.section	.AMDGPU.csdata,"",@progbits
; Kernel info:
; codeLenInByte = 1268
; NumSgprs: 28
; NumVgprs: 19
; NumAgprs: 0
; TotalNumVgprs: 19
; ScratchSize: 0
; MemoryBound: 1
; FloatMode: 240
; IeeeMode: 1
; LDSByteSize: 0 bytes/workgroup (compile time only)
; SGPRBlocks: 3
; VGPRBlocks: 2
; NumSGPRsForWavesPerEU: 28
; NumVGPRsForWavesPerEU: 19
; AccumOffset: 20
; Occupancy: 8
; WaveLimiterHint : 0
; COMPUTE_PGM_RSRC2:SCRATCH_EN: 0
; COMPUTE_PGM_RSRC2:USER_SGPR: 6
; COMPUTE_PGM_RSRC2:TRAP_HANDLER: 0
; COMPUTE_PGM_RSRC2:TGID_X_EN: 1
; COMPUTE_PGM_RSRC2:TGID_Y_EN: 0
; COMPUTE_PGM_RSRC2:TGID_Z_EN: 0
; COMPUTE_PGM_RSRC2:TIDIG_COMP_CNT: 1
; COMPUTE_PGM_RSRC3_GFX90A:ACCUM_OFFSET: 4
; COMPUTE_PGM_RSRC3_GFX90A:TG_SPLIT: 0
	.section	.text._ZN4vllm3moe10topkGatingILi4ELi4ELi4ELi8ELi64El14__hip_bfloat16LNS0_11ScoringFuncE1EEEvPKT5_PKbPfiPT4_PiiiibPKf,"axG",@progbits,_ZN4vllm3moe10topkGatingILi4ELi4ELi4ELi8ELi64El14__hip_bfloat16LNS0_11ScoringFuncE1EEEvPKT5_PKbPfiPT4_PiiiibPKf,comdat
	.protected	_ZN4vllm3moe10topkGatingILi4ELi4ELi4ELi8ELi64El14__hip_bfloat16LNS0_11ScoringFuncE1EEEvPKT5_PKbPfiPT4_PiiiibPKf ; -- Begin function _ZN4vllm3moe10topkGatingILi4ELi4ELi4ELi8ELi64El14__hip_bfloat16LNS0_11ScoringFuncE1EEEvPKT5_PKbPfiPT4_PiiiibPKf
	.globl	_ZN4vllm3moe10topkGatingILi4ELi4ELi4ELi8ELi64El14__hip_bfloat16LNS0_11ScoringFuncE1EEEvPKT5_PKbPfiPT4_PiiiibPKf
	.p2align	8
	.type	_ZN4vllm3moe10topkGatingILi4ELi4ELi4ELi8ELi64El14__hip_bfloat16LNS0_11ScoringFuncE1EEEvPKT5_PKbPfiPT4_PiiiibPKf,@function
_ZN4vllm3moe10topkGatingILi4ELi4ELi4ELi8ELi64El14__hip_bfloat16LNS0_11ScoringFuncE1EEEvPKT5_PKbPfiPT4_PiiiibPKf: ; @_ZN4vllm3moe10topkGatingILi4ELi4ELi4ELi8ELi64El14__hip_bfloat16LNS0_11ScoringFuncE1EEEvPKT5_PKbPfiPT4_PiiiibPKf
; %bb.0:
	s_load_dword s16, s[4:5], 0x18
	v_bfe_u32 v1, v0, 10, 10
	s_lshl_b32 s0, s6, 8
	v_lshlrev_b32_e32 v1, 6, v1
	v_and_b32_e32 v0, 0x3ff, v0
	v_add3_u32 v14, v1, v0, s0
	s_waitcnt lgkmcnt(0)
	v_cmp_gt_i32_e32 vcc, s16, v14
	s_and_saveexec_b64 s[0:1], vcc
	s_cbranch_execz .LBB355_20
; %bb.1:
	s_load_dwordx4 s[0:3], s[4:5], 0x0
	s_load_dwordx2 s[12:13], s[4:5], 0x10
	s_mov_b64 s[8:9], -1
	s_mov_b64 s[14:15], -1
	s_waitcnt lgkmcnt(0)
	s_cmp_eq_u64 s[2:3], 0
	s_cbranch_scc1 .LBB355_3
; %bb.2:
	v_ashrrev_i32_e32 v1, 31, v14
	v_mov_b32_e32 v2, s3
	v_add_co_u32_e32 v0, vcc, s2, v14
	v_addc_co_u32_e32 v1, vcc, v2, v1, vcc
	global_load_ubyte v0, v[0:1], off
	s_waitcnt vmcnt(0)
	v_and_b32_e32 v0, 1, v0
	v_cmp_eq_u32_e32 vcc, 1, v0
	s_xor_b64 s[2:3], vcc, -1
	s_orn2_b64 s[14:15], s[2:3], exec
.LBB355_3:
	v_lshlrev_b32_e32 v0, 2, v14
	v_ashrrev_i32_e32 v1, 31, v0
	v_lshlrev_b64 v[0:1], 1, v[0:1]
	v_mov_b32_e32 v2, s1
	v_add_co_u32_e32 v0, vcc, s0, v0
	v_addc_co_u32_e32 v1, vcc, v2, v1, vcc
	global_load_dwordx2 v[0:1], v[0:1], off
	v_mov_b32_e32 v4, 0x207
	s_load_dwordx2 s[10:11], s[4:5], 0x40
	s_waitcnt lgkmcnt(0)
	s_cmp_eq_u64 s[10:11], 0
	s_waitcnt vmcnt(0)
	v_and_b32_e32 v2, 0xffff0000, v0
	v_lshlrev_b32_e32 v3, 16, v0
	v_alignbit_b32 v0, v1, v0, 16
	v_and_b32_e32 v1, 0xffff0000, v1
	v_and_b32_e32 v5, 0xffff0000, v0
	v_mul_f32_e32 v0, 0xbfb8aa3b, v3
	v_mul_f32_e32 v2, 0xbfb8aa3b, v2
	;; [unrolled: 1-line block ×3, first 2 shown]
	v_exp_f32_e32 v0, v0
	v_exp_f32_e32 v1, v2
	v_mul_f32_e32 v2, 0xbfb8aa3b, v5
	v_exp_f32_e32 v3, v3
	v_exp_f32_e32 v2, v2
	v_pk_add_f32 v[0:1], v[0:1], 1.0 op_sel_hi:[1,0]
	v_div_scale_f32 v5, s[0:1], v1, v1, 1.0
	v_pk_add_f32 v[2:3], v[2:3], 1.0 op_sel_hi:[1,0]
	v_rcp_f32_e32 v9, v5
	v_div_scale_f32 v7, s[0:1], v0, v0, 1.0
	v_div_scale_f32 v11, s[2:3], v3, v3, 1.0
	v_rcp_f32_e32 v10, v7
	v_rcp_f32_e32 v16, v11
	v_div_scale_f32 v13, s[6:7], v2, v2, 1.0
	v_rcp_f32_e32 v17, v13
	v_fma_f32 v18, -v5, v9, 1.0
	v_div_scale_f32 v6, vcc, 1.0, v1, 1.0
	v_fmac_f32_e32 v9, v18, v9
	v_fma_f32 v19, -v7, v10, 1.0
	v_fma_f32 v18, -v11, v16, 1.0
	v_mul_f32_e32 v20, v6, v9
	v_div_scale_f32 v8, s[0:1], 1.0, v0, 1.0
	v_fmac_f32_e32 v10, v19, v10
	v_fmac_f32_e32 v16, v18, v16
	v_fma_f32 v18, -v5, v20, v6
	v_fma_f32 v19, -v13, v17, 1.0
	v_mul_f32_e32 v21, v8, v10
	v_fmac_f32_e32 v20, v18, v9
	v_div_scale_f32 v12, s[2:3], 1.0, v3, 1.0
	v_fmac_f32_e32 v17, v19, v17
	v_fma_f32 v19, -v7, v21, v8
	v_fma_f32 v5, -v5, v20, v6
	v_mul_f32_e32 v22, v12, v16
	v_fmac_f32_e32 v21, v19, v10
	v_div_fmas_f32 v5, v5, v9, v20
	v_div_scale_f32 v15, s[6:7], 1.0, v2, 1.0
	v_fma_f32 v18, -v11, v22, v12
	v_fma_f32 v6, -v7, v21, v8
	v_div_fixup_f32 v1, v5, v1, 1.0
	s_mov_b64 vcc, s[0:1]
	v_mul_f32_e32 v23, v15, v17
	v_fmac_f32_e32 v22, v18, v16
	v_div_fmas_f32 v5, v6, v10, v21
	v_cmp_class_f32_e32 vcc, v1, v4
	v_fma_f32 v19, -v13, v23, v15
	v_fma_f32 v7, -v11, v22, v12
	v_div_fixup_f32 v0, v5, v0, 1.0
	v_cndmask_b32_e64 v1, v1, 0, vcc
	s_mov_b64 vcc, s[2:3]
	v_fmac_f32_e32 v23, v19, v17
	v_div_fmas_f32 v5, v7, v16, v22
	v_cmp_class_f32_e32 vcc, v0, v4
	v_fma_f32 v8, -v13, v23, v15
	v_cndmask_b32_e64 v0, v0, 0, vcc
	s_mov_b64 vcc, s[6:7]
	v_div_fixup_f32 v3, v5, v3, 1.0
	v_div_fmas_f32 v5, v8, v17, v23
	v_div_fixup_f32 v2, v5, v2, 1.0
	v_cmp_class_f32_e32 vcc, v3, v4
	v_cndmask_b32_e64 v3, v3, 0, vcc
	v_cmp_class_f32_e32 vcc, v2, v4
	v_cndmask_b32_e64 v2, v2, 0, vcc
	s_cbranch_scc1 .LBB355_10
; %bb.4:
	s_load_dwordx4 s[0:3], s[10:11], 0x0
	s_waitcnt lgkmcnt(0)
	v_pk_add_f32 v[4:5], s[0:1], v[0:1]
	v_pk_add_f32 v[6:7], s[2:3], v[2:3]
	s_cbranch_execnz .LBB355_6
.LBB355_5:
	v_pk_mov_b32 v[6:7], v[2:3], v[2:3] op_sel:[0,1]
	v_pk_mov_b32 v[4:5], v[0:1], v[0:1] op_sel:[0,1]
.LBB355_6:
	s_load_dwordx4 s[8:11], s[4:5], 0x30
	s_waitcnt lgkmcnt(0)
	s_bitcmp1_b32 s11, 0
	s_cselect_b64 vcc, -1, 0
	s_cmp_gt_i32 s8, 0
	s_cselect_b64 s[6:7], -1, 0
	s_cmp_lt_i32 s8, 1
	s_mov_b32 s11, 0
	s_cbranch_scc1 .LBB355_11
; %bb.7:
	s_load_dwordx4 s[20:23], s[4:5], 0x20
	v_mul_lo_u32 v10, v14, s8
	v_ashrrev_i32_e32 v11, 31, v10
	v_lshlrev_b64 v[12:13], 2, v[10:11]
	v_mov_b32_e32 v9, s13
	v_add_co_u32_e64 v8, s[0:1], s12, v12
	v_addc_co_u32_e64 v9, s[0:1], v9, v13, s[0:1]
	v_lshlrev_b64 v[10:11], 3, v[10:11]
	s_waitcnt lgkmcnt(0)
	v_mov_b32_e32 v15, s21
	v_add_co_u32_e64 v10, s[0:1], s20, v10
	v_addc_co_u32_e64 v11, s[0:1], v15, v11, s[0:1]
	v_mov_b32_e32 v15, s23
	v_add_co_u32_e64 v12, s[0:1], s22, v12
	v_addc_co_u32_e64 v13, s[0:1], v15, v13, s[0:1]
	v_mov_b32_e32 v15, 0
	v_mov_b32_e32 v16, 0xc61c4000
	;; [unrolled: 1-line block ×3, first 2 shown]
.LBB355_8:                              ; =>This Inner Loop Header: Depth=1
	v_cmp_gt_f32_e64 s[0:1], v5, v4
	v_cndmask_b32_e64 v20, v4, v5, s[0:1]
	v_cndmask_b32_e64 v18, 0, 1, s[0:1]
	;; [unrolled: 1-line block ×3, first 2 shown]
	v_cmp_gt_f32_e64 s[0:1], v6, v20
	v_cndmask_b32_e64 v20, v20, v6, s[0:1]
	v_cndmask_b32_e64 v18, v18, 2, s[0:1]
	v_cndmask_b32_e64 v19, v19, v2, s[0:1]
	v_cmp_gt_f32_e64 s[0:1], v7, v20
	v_cndmask_b32_e64 v20, v18, 3, s[0:1]
	v_cndmask_b32_e64 v21, v19, v3, s[0:1]
	v_cmp_le_i32_e64 s[0:1], s9, v20
	v_cmp_gt_i32_e64 s[2:3], s10, v20
	s_and_b64 s[0:1], s[0:1], s[2:3]
	v_subrev_u32_e32 v18, s9, v20
	v_ashrrev_i32_e32 v19, 31, v18
	s_and_b64 s[0:1], s[14:15], s[0:1]
	v_cndmask_b32_e64 v19, 0, v19, s[0:1]
	v_cndmask_b32_e64 v18, 4, v18, s[0:1]
	global_store_dword v[8:9], v21, off
	global_store_dwordx2 v[10:11], v[18:19], off
	global_store_dword v[12:13], v17, off
	v_add_f32_e32 v18, v15, v21
	v_cmp_ne_u32_e64 s[0:1], 0, v20
	v_cndmask_b32_e32 v15, v15, v18, vcc
	v_cndmask_b32_e64 v18, v16, v4, s[0:1]
	v_cmp_ne_u32_e64 s[0:1], 1, v20
	s_add_i32 s11, s11, 1
	v_cndmask_b32_e64 v19, v16, v5, s[0:1]
	v_cmp_ne_u32_e64 s[0:1], 2, v20
	s_cmp_lt_i32 s11, s8
	v_cndmask_b32_e64 v21, v16, v6, s[0:1]
	v_cmp_ne_u32_e64 s[0:1], 3, v20
	v_cndmask_b32_e64 v20, v16, v7, s[0:1]
	s_cselect_b64 s[0:1], -1, 0
	v_cndmask_b32_e64 v7, v7, v20, s[0:1]
	v_cndmask_b32_e64 v6, v6, v21, s[0:1]
	;; [unrolled: 1-line block ×4, first 2 shown]
	v_add_co_u32_e64 v8, s[0:1], 4, v8
	v_addc_co_u32_e64 v9, s[0:1], 0, v9, s[0:1]
	v_add_co_u32_e64 v10, s[0:1], 8, v10
	v_addc_co_u32_e64 v11, s[0:1], 0, v11, s[0:1]
	v_add_co_u32_e64 v12, s[0:1], 4, v12
	v_add_u32_e32 v17, s16, v17
	s_cmp_eq_u32 s8, s11
	v_addc_co_u32_e64 v13, s[0:1], 0, v13, s[0:1]
	s_cbranch_scc0 .LBB355_8
; %bb.9:
	s_and_b64 vcc, exec, vcc
	s_cbranch_vccnz .LBB355_12
	s_branch .LBB355_20
.LBB355_10:
                                        ; implicit-def: $vgpr4_vgpr5_vgpr6_vgpr7
	s_andn2_b64 vcc, exec, s[8:9]
	s_cbranch_vccz .LBB355_5
	s_branch .LBB355_6
.LBB355_11:
	v_mov_b32_e32 v15, 0
	s_and_b64 vcc, exec, vcc
	s_cbranch_vccz .LBB355_20
.LBB355_12:
	s_andn2_b64 vcc, exec, s[6:7]
	s_cbranch_vccnz .LBB355_20
; %bb.13:
	v_cmp_lt_f32_e32 vcc, 0, v15
	s_mov_b32 s2, 0
	v_cndmask_b32_e32 v0, 1.0, v15, vcc
	v_mul_lo_u32 v4, v14, s8
	s_cmp_eq_u32 s8, 1
	s_mov_b64 s[0:1], -1
	s_cbranch_scc1 .LBB355_17
; %bb.14:
	s_and_b32 s2, s8, 0x7ffffffe
	v_mov_b32_e32 v1, v0
	v_mov_b32_e32 v5, s13
	s_mov_b32 s3, s2
	v_mov_b32_e32 v2, v4
.LBB355_15:                             ; =>This Inner Loop Header: Depth=1
	v_ashrrev_i32_e32 v3, 31, v2
	v_lshlrev_b64 v[6:7], 2, v[2:3]
	v_add_co_u32_e32 v6, vcc, s12, v6
	v_addc_co_u32_e32 v7, vcc, v5, v7, vcc
	global_load_dwordx2 v[8:9], v[6:7], off
	s_add_i32 s3, s3, -2
	s_cmp_lg_u32 s3, 0
	v_add_u32_e32 v2, 2, v2
	s_waitcnt vmcnt(0)
	v_div_scale_f32 v3, s[0:1], v1, v1, v9
	v_div_scale_f32 v11, s[0:1], v0, v0, v8
	v_rcp_f32_e32 v12, v3
	v_rcp_f32_e32 v13, v11
	v_div_scale_f32 v10, vcc, v9, v1, v9
	v_fma_f32 v15, -v3, v12, 1.0
	v_fma_f32 v16, -v11, v13, 1.0
	v_fmac_f32_e32 v12, v15, v12
	v_div_scale_f32 v14, s[0:1], v8, v0, v8
	v_fmac_f32_e32 v13, v16, v13
	v_mul_f32_e32 v15, v10, v12
	v_mul_f32_e32 v16, v14, v13
	v_fma_f32 v17, -v3, v15, v10
	v_fma_f32 v18, -v11, v16, v14
	v_fmac_f32_e32 v15, v17, v12
	v_fmac_f32_e32 v16, v18, v13
	v_fma_f32 v3, -v3, v15, v10
	v_fma_f32 v10, -v11, v16, v14
	v_div_fmas_f32 v3, v3, v12, v15
	s_mov_b64 vcc, s[0:1]
	v_div_fixup_f32 v9, v3, v1, v9
	v_div_fmas_f32 v3, v10, v13, v16
	v_div_fixup_f32 v8, v3, v0, v8
	global_store_dwordx2 v[6:7], v[8:9], off
	s_cbranch_scc1 .LBB355_15
; %bb.16:
	s_cmp_lg_u32 s2, s8
	s_cselect_b64 s[0:1], -1, 0
.LBB355_17:
	s_and_b64 vcc, exec, s[0:1]
	s_cbranch_vccz .LBB355_20
; %bb.18:
	v_ashrrev_i32_e32 v1, 31, v4
	v_add_co_u32_e32 v2, vcc, s2, v4
	v_addc_co_u32_e32 v3, vcc, 0, v1, vcc
	v_lshlrev_b64 v[2:3], 2, v[2:3]
	v_mov_b32_e32 v1, s13
	v_add_co_u32_e32 v2, vcc, s12, v2
	s_sub_i32 s0, s8, s2
	v_addc_co_u32_e32 v3, vcc, v1, v3, vcc
.LBB355_19:                             ; =>This Inner Loop Header: Depth=1
	global_load_dword v1, v[2:3], off
	s_add_i32 s0, s0, -1
	s_cmp_lg_u32 s0, 0
	s_waitcnt vmcnt(0)
	v_div_scale_f32 v4, s[2:3], v0, v0, v1
	v_rcp_f32_e32 v5, v4
	v_div_scale_f32 v6, vcc, v1, v0, v1
	v_fma_f32 v7, -v4, v5, 1.0
	v_fmac_f32_e32 v5, v7, v5
	v_mul_f32_e32 v7, v6, v5
	v_fma_f32 v8, -v4, v7, v6
	v_fmac_f32_e32 v7, v8, v5
	v_fma_f32 v4, -v4, v7, v6
	v_div_fmas_f32 v4, v4, v5, v7
	v_div_fixup_f32 v1, v4, v0, v1
	global_store_dword v[2:3], v1, off
	v_add_co_u32_e32 v2, vcc, 4, v2
	v_addc_co_u32_e32 v3, vcc, 0, v3, vcc
	s_cbranch_scc1 .LBB355_19
.LBB355_20:
	s_endpgm
	.section	.rodata,"a",@progbits
	.p2align	6, 0x0
	.amdhsa_kernel _ZN4vllm3moe10topkGatingILi4ELi4ELi4ELi8ELi64El14__hip_bfloat16LNS0_11ScoringFuncE1EEEvPKT5_PKbPfiPT4_PiiiibPKf
		.amdhsa_group_segment_fixed_size 0
		.amdhsa_private_segment_fixed_size 0
		.amdhsa_kernarg_size 72
		.amdhsa_user_sgpr_count 6
		.amdhsa_user_sgpr_private_segment_buffer 1
		.amdhsa_user_sgpr_dispatch_ptr 0
		.amdhsa_user_sgpr_queue_ptr 0
		.amdhsa_user_sgpr_kernarg_segment_ptr 1
		.amdhsa_user_sgpr_dispatch_id 0
		.amdhsa_user_sgpr_flat_scratch_init 0
		.amdhsa_user_sgpr_kernarg_preload_length 0
		.amdhsa_user_sgpr_kernarg_preload_offset 0
		.amdhsa_user_sgpr_private_segment_size 0
		.amdhsa_uses_dynamic_stack 0
		.amdhsa_system_sgpr_private_segment_wavefront_offset 0
		.amdhsa_system_sgpr_workgroup_id_x 1
		.amdhsa_system_sgpr_workgroup_id_y 0
		.amdhsa_system_sgpr_workgroup_id_z 0
		.amdhsa_system_sgpr_workgroup_info 0
		.amdhsa_system_vgpr_workitem_id 1
		.amdhsa_next_free_vgpr 24
		.amdhsa_next_free_sgpr 24
		.amdhsa_accum_offset 24
		.amdhsa_reserve_vcc 1
		.amdhsa_reserve_flat_scratch 0
		.amdhsa_float_round_mode_32 0
		.amdhsa_float_round_mode_16_64 0
		.amdhsa_float_denorm_mode_32 3
		.amdhsa_float_denorm_mode_16_64 3
		.amdhsa_dx10_clamp 1
		.amdhsa_ieee_mode 1
		.amdhsa_fp16_overflow 0
		.amdhsa_tg_split 0
		.amdhsa_exception_fp_ieee_invalid_op 0
		.amdhsa_exception_fp_denorm_src 0
		.amdhsa_exception_fp_ieee_div_zero 0
		.amdhsa_exception_fp_ieee_overflow 0
		.amdhsa_exception_fp_ieee_underflow 0
		.amdhsa_exception_fp_ieee_inexact 0
		.amdhsa_exception_int_div_zero 0
	.end_amdhsa_kernel
	.section	.text._ZN4vllm3moe10topkGatingILi4ELi4ELi4ELi8ELi64El14__hip_bfloat16LNS0_11ScoringFuncE1EEEvPKT5_PKbPfiPT4_PiiiibPKf,"axG",@progbits,_ZN4vllm3moe10topkGatingILi4ELi4ELi4ELi8ELi64El14__hip_bfloat16LNS0_11ScoringFuncE1EEEvPKT5_PKbPfiPT4_PiiiibPKf,comdat
.Lfunc_end355:
	.size	_ZN4vllm3moe10topkGatingILi4ELi4ELi4ELi8ELi64El14__hip_bfloat16LNS0_11ScoringFuncE1EEEvPKT5_PKbPfiPT4_PiiiibPKf, .Lfunc_end355-_ZN4vllm3moe10topkGatingILi4ELi4ELi4ELi8ELi64El14__hip_bfloat16LNS0_11ScoringFuncE1EEEvPKT5_PKbPfiPT4_PiiiibPKf
                                        ; -- End function
	.section	.AMDGPU.csdata,"",@progbits
; Kernel info:
; codeLenInByte = 1664
; NumSgprs: 28
; NumVgprs: 24
; NumAgprs: 0
; TotalNumVgprs: 24
; ScratchSize: 0
; MemoryBound: 1
; FloatMode: 240
; IeeeMode: 1
; LDSByteSize: 0 bytes/workgroup (compile time only)
; SGPRBlocks: 3
; VGPRBlocks: 2
; NumSGPRsForWavesPerEU: 28
; NumVGPRsForWavesPerEU: 24
; AccumOffset: 24
; Occupancy: 8
; WaveLimiterHint : 0
; COMPUTE_PGM_RSRC2:SCRATCH_EN: 0
; COMPUTE_PGM_RSRC2:USER_SGPR: 6
; COMPUTE_PGM_RSRC2:TRAP_HANDLER: 0
; COMPUTE_PGM_RSRC2:TGID_X_EN: 1
; COMPUTE_PGM_RSRC2:TGID_Y_EN: 0
; COMPUTE_PGM_RSRC2:TGID_Z_EN: 0
; COMPUTE_PGM_RSRC2:TIDIG_COMP_CNT: 1
; COMPUTE_PGM_RSRC3_GFX90A:ACCUM_OFFSET: 5
; COMPUTE_PGM_RSRC3_GFX90A:TG_SPLIT: 0
	.section	.text._ZN4vllm3moe10topkGatingILi4ELi4ELi4ELi8ELi32El14__hip_bfloat16LNS0_11ScoringFuncE1EEEvPKT5_PKbPfiPT4_PiiiibPKf,"axG",@progbits,_ZN4vllm3moe10topkGatingILi4ELi4ELi4ELi8ELi32El14__hip_bfloat16LNS0_11ScoringFuncE1EEEvPKT5_PKbPfiPT4_PiiiibPKf,comdat
	.protected	_ZN4vllm3moe10topkGatingILi4ELi4ELi4ELi8ELi32El14__hip_bfloat16LNS0_11ScoringFuncE1EEEvPKT5_PKbPfiPT4_PiiiibPKf ; -- Begin function _ZN4vllm3moe10topkGatingILi4ELi4ELi4ELi8ELi32El14__hip_bfloat16LNS0_11ScoringFuncE1EEEvPKT5_PKbPfiPT4_PiiiibPKf
	.globl	_ZN4vllm3moe10topkGatingILi4ELi4ELi4ELi8ELi32El14__hip_bfloat16LNS0_11ScoringFuncE1EEEvPKT5_PKbPfiPT4_PiiiibPKf
	.p2align	8
	.type	_ZN4vllm3moe10topkGatingILi4ELi4ELi4ELi8ELi32El14__hip_bfloat16LNS0_11ScoringFuncE1EEEvPKT5_PKbPfiPT4_PiiiibPKf,@function
_ZN4vllm3moe10topkGatingILi4ELi4ELi4ELi8ELi32El14__hip_bfloat16LNS0_11ScoringFuncE1EEEvPKT5_PKbPfiPT4_PiiiibPKf: ; @_ZN4vllm3moe10topkGatingILi4ELi4ELi4ELi8ELi32El14__hip_bfloat16LNS0_11ScoringFuncE1EEEvPKT5_PKbPfiPT4_PiiiibPKf
; %bb.0:
	s_load_dword s16, s[4:5], 0x18
	v_bfe_u32 v1, v0, 10, 10
	s_lshl_b32 s0, s6, 7
	v_lshlrev_b32_e32 v1, 5, v1
	v_and_b32_e32 v0, 0x3ff, v0
	v_add3_u32 v14, v1, v0, s0
	s_waitcnt lgkmcnt(0)
	v_cmp_gt_i32_e32 vcc, s16, v14
	s_and_saveexec_b64 s[0:1], vcc
	s_cbranch_execz .LBB356_20
; %bb.1:
	s_load_dwordx4 s[0:3], s[4:5], 0x0
	s_load_dwordx2 s[12:13], s[4:5], 0x10
	s_mov_b64 s[8:9], -1
	s_mov_b64 s[14:15], -1
	s_waitcnt lgkmcnt(0)
	s_cmp_eq_u64 s[2:3], 0
	s_cbranch_scc1 .LBB356_3
; %bb.2:
	v_ashrrev_i32_e32 v1, 31, v14
	v_mov_b32_e32 v2, s3
	v_add_co_u32_e32 v0, vcc, s2, v14
	v_addc_co_u32_e32 v1, vcc, v2, v1, vcc
	global_load_ubyte v0, v[0:1], off
	s_waitcnt vmcnt(0)
	v_and_b32_e32 v0, 1, v0
	v_cmp_eq_u32_e32 vcc, 1, v0
	s_xor_b64 s[2:3], vcc, -1
	s_orn2_b64 s[14:15], s[2:3], exec
.LBB356_3:
	v_lshlrev_b32_e32 v0, 2, v14
	v_ashrrev_i32_e32 v1, 31, v0
	v_lshlrev_b64 v[0:1], 1, v[0:1]
	v_mov_b32_e32 v2, s1
	v_add_co_u32_e32 v0, vcc, s0, v0
	v_addc_co_u32_e32 v1, vcc, v2, v1, vcc
	global_load_dwordx2 v[0:1], v[0:1], off
	v_mov_b32_e32 v4, 0x207
	s_load_dwordx2 s[10:11], s[4:5], 0x40
	s_waitcnt lgkmcnt(0)
	s_cmp_eq_u64 s[10:11], 0
	s_waitcnt vmcnt(0)
	v_and_b32_e32 v2, 0xffff0000, v0
	v_lshlrev_b32_e32 v3, 16, v0
	v_alignbit_b32 v0, v1, v0, 16
	v_and_b32_e32 v1, 0xffff0000, v1
	v_and_b32_e32 v5, 0xffff0000, v0
	v_mul_f32_e32 v0, 0xbfb8aa3b, v3
	v_mul_f32_e32 v2, 0xbfb8aa3b, v2
	;; [unrolled: 1-line block ×3, first 2 shown]
	v_exp_f32_e32 v0, v0
	v_exp_f32_e32 v1, v2
	v_mul_f32_e32 v2, 0xbfb8aa3b, v5
	v_exp_f32_e32 v3, v3
	v_exp_f32_e32 v2, v2
	v_pk_add_f32 v[0:1], v[0:1], 1.0 op_sel_hi:[1,0]
	v_div_scale_f32 v5, s[0:1], v1, v1, 1.0
	v_pk_add_f32 v[2:3], v[2:3], 1.0 op_sel_hi:[1,0]
	v_rcp_f32_e32 v9, v5
	v_div_scale_f32 v7, s[0:1], v0, v0, 1.0
	v_div_scale_f32 v11, s[2:3], v3, v3, 1.0
	v_rcp_f32_e32 v10, v7
	v_rcp_f32_e32 v16, v11
	v_div_scale_f32 v13, s[6:7], v2, v2, 1.0
	v_rcp_f32_e32 v17, v13
	v_fma_f32 v18, -v5, v9, 1.0
	v_div_scale_f32 v6, vcc, 1.0, v1, 1.0
	v_fmac_f32_e32 v9, v18, v9
	v_fma_f32 v19, -v7, v10, 1.0
	v_fma_f32 v18, -v11, v16, 1.0
	v_mul_f32_e32 v20, v6, v9
	v_div_scale_f32 v8, s[0:1], 1.0, v0, 1.0
	v_fmac_f32_e32 v10, v19, v10
	v_fmac_f32_e32 v16, v18, v16
	v_fma_f32 v18, -v5, v20, v6
	v_fma_f32 v19, -v13, v17, 1.0
	v_mul_f32_e32 v21, v8, v10
	v_fmac_f32_e32 v20, v18, v9
	v_div_scale_f32 v12, s[2:3], 1.0, v3, 1.0
	v_fmac_f32_e32 v17, v19, v17
	v_fma_f32 v19, -v7, v21, v8
	v_fma_f32 v5, -v5, v20, v6
	v_mul_f32_e32 v22, v12, v16
	v_fmac_f32_e32 v21, v19, v10
	v_div_fmas_f32 v5, v5, v9, v20
	v_div_scale_f32 v15, s[6:7], 1.0, v2, 1.0
	v_fma_f32 v18, -v11, v22, v12
	v_fma_f32 v6, -v7, v21, v8
	v_div_fixup_f32 v1, v5, v1, 1.0
	s_mov_b64 vcc, s[0:1]
	v_mul_f32_e32 v23, v15, v17
	v_fmac_f32_e32 v22, v18, v16
	v_div_fmas_f32 v5, v6, v10, v21
	v_cmp_class_f32_e32 vcc, v1, v4
	v_fma_f32 v19, -v13, v23, v15
	v_fma_f32 v7, -v11, v22, v12
	v_div_fixup_f32 v0, v5, v0, 1.0
	v_cndmask_b32_e64 v1, v1, 0, vcc
	s_mov_b64 vcc, s[2:3]
	v_fmac_f32_e32 v23, v19, v17
	v_div_fmas_f32 v5, v7, v16, v22
	v_cmp_class_f32_e32 vcc, v0, v4
	v_fma_f32 v8, -v13, v23, v15
	v_cndmask_b32_e64 v0, v0, 0, vcc
	s_mov_b64 vcc, s[6:7]
	v_div_fixup_f32 v3, v5, v3, 1.0
	v_div_fmas_f32 v5, v8, v17, v23
	v_div_fixup_f32 v2, v5, v2, 1.0
	v_cmp_class_f32_e32 vcc, v3, v4
	v_cndmask_b32_e64 v3, v3, 0, vcc
	v_cmp_class_f32_e32 vcc, v2, v4
	v_cndmask_b32_e64 v2, v2, 0, vcc
	s_cbranch_scc1 .LBB356_10
; %bb.4:
	s_load_dwordx4 s[0:3], s[10:11], 0x0
	s_waitcnt lgkmcnt(0)
	v_pk_add_f32 v[4:5], s[0:1], v[0:1]
	v_pk_add_f32 v[6:7], s[2:3], v[2:3]
	s_cbranch_execnz .LBB356_6
.LBB356_5:
	v_pk_mov_b32 v[6:7], v[2:3], v[2:3] op_sel:[0,1]
	v_pk_mov_b32 v[4:5], v[0:1], v[0:1] op_sel:[0,1]
.LBB356_6:
	s_load_dwordx4 s[8:11], s[4:5], 0x30
	s_waitcnt lgkmcnt(0)
	s_bitcmp1_b32 s11, 0
	s_cselect_b64 vcc, -1, 0
	s_cmp_gt_i32 s8, 0
	s_cselect_b64 s[6:7], -1, 0
	s_cmp_lt_i32 s8, 1
	s_mov_b32 s11, 0
	s_cbranch_scc1 .LBB356_11
; %bb.7:
	s_load_dwordx4 s[20:23], s[4:5], 0x20
	v_mul_lo_u32 v10, v14, s8
	v_ashrrev_i32_e32 v11, 31, v10
	v_lshlrev_b64 v[12:13], 2, v[10:11]
	v_mov_b32_e32 v9, s13
	v_add_co_u32_e64 v8, s[0:1], s12, v12
	v_addc_co_u32_e64 v9, s[0:1], v9, v13, s[0:1]
	v_lshlrev_b64 v[10:11], 3, v[10:11]
	s_waitcnt lgkmcnt(0)
	v_mov_b32_e32 v15, s21
	v_add_co_u32_e64 v10, s[0:1], s20, v10
	v_addc_co_u32_e64 v11, s[0:1], v15, v11, s[0:1]
	v_mov_b32_e32 v15, s23
	v_add_co_u32_e64 v12, s[0:1], s22, v12
	v_addc_co_u32_e64 v13, s[0:1], v15, v13, s[0:1]
	v_mov_b32_e32 v15, 0
	v_mov_b32_e32 v16, 0xc61c4000
	;; [unrolled: 1-line block ×3, first 2 shown]
.LBB356_8:                              ; =>This Inner Loop Header: Depth=1
	v_cmp_gt_f32_e64 s[0:1], v5, v4
	v_cndmask_b32_e64 v20, v4, v5, s[0:1]
	v_cndmask_b32_e64 v18, 0, 1, s[0:1]
	;; [unrolled: 1-line block ×3, first 2 shown]
	v_cmp_gt_f32_e64 s[0:1], v6, v20
	v_cndmask_b32_e64 v20, v20, v6, s[0:1]
	v_cndmask_b32_e64 v18, v18, 2, s[0:1]
	;; [unrolled: 1-line block ×3, first 2 shown]
	v_cmp_gt_f32_e64 s[0:1], v7, v20
	v_cndmask_b32_e64 v20, v18, 3, s[0:1]
	v_cndmask_b32_e64 v21, v19, v3, s[0:1]
	v_cmp_le_i32_e64 s[0:1], s9, v20
	v_cmp_gt_i32_e64 s[2:3], s10, v20
	s_and_b64 s[0:1], s[0:1], s[2:3]
	v_subrev_u32_e32 v18, s9, v20
	v_ashrrev_i32_e32 v19, 31, v18
	s_and_b64 s[0:1], s[14:15], s[0:1]
	v_cndmask_b32_e64 v19, 0, v19, s[0:1]
	v_cndmask_b32_e64 v18, 4, v18, s[0:1]
	global_store_dword v[8:9], v21, off
	global_store_dwordx2 v[10:11], v[18:19], off
	global_store_dword v[12:13], v17, off
	v_add_f32_e32 v18, v15, v21
	v_cmp_ne_u32_e64 s[0:1], 0, v20
	v_cndmask_b32_e32 v15, v15, v18, vcc
	v_cndmask_b32_e64 v18, v16, v4, s[0:1]
	v_cmp_ne_u32_e64 s[0:1], 1, v20
	s_add_i32 s11, s11, 1
	v_cndmask_b32_e64 v19, v16, v5, s[0:1]
	v_cmp_ne_u32_e64 s[0:1], 2, v20
	s_cmp_lt_i32 s11, s8
	v_cndmask_b32_e64 v21, v16, v6, s[0:1]
	v_cmp_ne_u32_e64 s[0:1], 3, v20
	v_cndmask_b32_e64 v20, v16, v7, s[0:1]
	s_cselect_b64 s[0:1], -1, 0
	v_cndmask_b32_e64 v7, v7, v20, s[0:1]
	v_cndmask_b32_e64 v6, v6, v21, s[0:1]
	;; [unrolled: 1-line block ×4, first 2 shown]
	v_add_co_u32_e64 v8, s[0:1], 4, v8
	v_addc_co_u32_e64 v9, s[0:1], 0, v9, s[0:1]
	v_add_co_u32_e64 v10, s[0:1], 8, v10
	v_addc_co_u32_e64 v11, s[0:1], 0, v11, s[0:1]
	v_add_co_u32_e64 v12, s[0:1], 4, v12
	v_add_u32_e32 v17, s16, v17
	s_cmp_eq_u32 s8, s11
	v_addc_co_u32_e64 v13, s[0:1], 0, v13, s[0:1]
	s_cbranch_scc0 .LBB356_8
; %bb.9:
	s_and_b64 vcc, exec, vcc
	s_cbranch_vccnz .LBB356_12
	s_branch .LBB356_20
.LBB356_10:
                                        ; implicit-def: $vgpr4_vgpr5_vgpr6_vgpr7
	s_andn2_b64 vcc, exec, s[8:9]
	s_cbranch_vccz .LBB356_5
	s_branch .LBB356_6
.LBB356_11:
	v_mov_b32_e32 v15, 0
	s_and_b64 vcc, exec, vcc
	s_cbranch_vccz .LBB356_20
.LBB356_12:
	s_andn2_b64 vcc, exec, s[6:7]
	s_cbranch_vccnz .LBB356_20
; %bb.13:
	v_cmp_lt_f32_e32 vcc, 0, v15
	s_mov_b32 s2, 0
	v_cndmask_b32_e32 v0, 1.0, v15, vcc
	v_mul_lo_u32 v4, v14, s8
	s_cmp_eq_u32 s8, 1
	s_mov_b64 s[0:1], -1
	s_cbranch_scc1 .LBB356_17
; %bb.14:
	s_and_b32 s2, s8, 0x7ffffffe
	v_mov_b32_e32 v1, v0
	v_mov_b32_e32 v5, s13
	s_mov_b32 s3, s2
	v_mov_b32_e32 v2, v4
.LBB356_15:                             ; =>This Inner Loop Header: Depth=1
	v_ashrrev_i32_e32 v3, 31, v2
	v_lshlrev_b64 v[6:7], 2, v[2:3]
	v_add_co_u32_e32 v6, vcc, s12, v6
	v_addc_co_u32_e32 v7, vcc, v5, v7, vcc
	global_load_dwordx2 v[8:9], v[6:7], off
	s_add_i32 s3, s3, -2
	s_cmp_lg_u32 s3, 0
	v_add_u32_e32 v2, 2, v2
	s_waitcnt vmcnt(0)
	v_div_scale_f32 v3, s[0:1], v1, v1, v9
	v_div_scale_f32 v11, s[0:1], v0, v0, v8
	v_rcp_f32_e32 v12, v3
	v_rcp_f32_e32 v13, v11
	v_div_scale_f32 v10, vcc, v9, v1, v9
	v_fma_f32 v15, -v3, v12, 1.0
	v_fma_f32 v16, -v11, v13, 1.0
	v_fmac_f32_e32 v12, v15, v12
	v_div_scale_f32 v14, s[0:1], v8, v0, v8
	v_fmac_f32_e32 v13, v16, v13
	v_mul_f32_e32 v15, v10, v12
	v_mul_f32_e32 v16, v14, v13
	v_fma_f32 v17, -v3, v15, v10
	v_fma_f32 v18, -v11, v16, v14
	v_fmac_f32_e32 v15, v17, v12
	v_fmac_f32_e32 v16, v18, v13
	v_fma_f32 v3, -v3, v15, v10
	v_fma_f32 v10, -v11, v16, v14
	v_div_fmas_f32 v3, v3, v12, v15
	s_mov_b64 vcc, s[0:1]
	v_div_fixup_f32 v9, v3, v1, v9
	v_div_fmas_f32 v3, v10, v13, v16
	v_div_fixup_f32 v8, v3, v0, v8
	global_store_dwordx2 v[6:7], v[8:9], off
	s_cbranch_scc1 .LBB356_15
; %bb.16:
	s_cmp_lg_u32 s2, s8
	s_cselect_b64 s[0:1], -1, 0
.LBB356_17:
	s_and_b64 vcc, exec, s[0:1]
	s_cbranch_vccz .LBB356_20
; %bb.18:
	v_ashrrev_i32_e32 v1, 31, v4
	v_add_co_u32_e32 v2, vcc, s2, v4
	v_addc_co_u32_e32 v3, vcc, 0, v1, vcc
	v_lshlrev_b64 v[2:3], 2, v[2:3]
	v_mov_b32_e32 v1, s13
	v_add_co_u32_e32 v2, vcc, s12, v2
	s_sub_i32 s0, s8, s2
	v_addc_co_u32_e32 v3, vcc, v1, v3, vcc
.LBB356_19:                             ; =>This Inner Loop Header: Depth=1
	global_load_dword v1, v[2:3], off
	s_add_i32 s0, s0, -1
	s_cmp_lg_u32 s0, 0
	s_waitcnt vmcnt(0)
	v_div_scale_f32 v4, s[2:3], v0, v0, v1
	v_rcp_f32_e32 v5, v4
	v_div_scale_f32 v6, vcc, v1, v0, v1
	v_fma_f32 v7, -v4, v5, 1.0
	v_fmac_f32_e32 v5, v7, v5
	v_mul_f32_e32 v7, v6, v5
	v_fma_f32 v8, -v4, v7, v6
	v_fmac_f32_e32 v7, v8, v5
	v_fma_f32 v4, -v4, v7, v6
	v_div_fmas_f32 v4, v4, v5, v7
	v_div_fixup_f32 v1, v4, v0, v1
	global_store_dword v[2:3], v1, off
	v_add_co_u32_e32 v2, vcc, 4, v2
	v_addc_co_u32_e32 v3, vcc, 0, v3, vcc
	s_cbranch_scc1 .LBB356_19
.LBB356_20:
	s_endpgm
	.section	.rodata,"a",@progbits
	.p2align	6, 0x0
	.amdhsa_kernel _ZN4vllm3moe10topkGatingILi4ELi4ELi4ELi8ELi32El14__hip_bfloat16LNS0_11ScoringFuncE1EEEvPKT5_PKbPfiPT4_PiiiibPKf
		.amdhsa_group_segment_fixed_size 0
		.amdhsa_private_segment_fixed_size 0
		.amdhsa_kernarg_size 72
		.amdhsa_user_sgpr_count 6
		.amdhsa_user_sgpr_private_segment_buffer 1
		.amdhsa_user_sgpr_dispatch_ptr 0
		.amdhsa_user_sgpr_queue_ptr 0
		.amdhsa_user_sgpr_kernarg_segment_ptr 1
		.amdhsa_user_sgpr_dispatch_id 0
		.amdhsa_user_sgpr_flat_scratch_init 0
		.amdhsa_user_sgpr_kernarg_preload_length 0
		.amdhsa_user_sgpr_kernarg_preload_offset 0
		.amdhsa_user_sgpr_private_segment_size 0
		.amdhsa_uses_dynamic_stack 0
		.amdhsa_system_sgpr_private_segment_wavefront_offset 0
		.amdhsa_system_sgpr_workgroup_id_x 1
		.amdhsa_system_sgpr_workgroup_id_y 0
		.amdhsa_system_sgpr_workgroup_id_z 0
		.amdhsa_system_sgpr_workgroup_info 0
		.amdhsa_system_vgpr_workitem_id 1
		.amdhsa_next_free_vgpr 24
		.amdhsa_next_free_sgpr 24
		.amdhsa_accum_offset 24
		.amdhsa_reserve_vcc 1
		.amdhsa_reserve_flat_scratch 0
		.amdhsa_float_round_mode_32 0
		.amdhsa_float_round_mode_16_64 0
		.amdhsa_float_denorm_mode_32 3
		.amdhsa_float_denorm_mode_16_64 3
		.amdhsa_dx10_clamp 1
		.amdhsa_ieee_mode 1
		.amdhsa_fp16_overflow 0
		.amdhsa_tg_split 0
		.amdhsa_exception_fp_ieee_invalid_op 0
		.amdhsa_exception_fp_denorm_src 0
		.amdhsa_exception_fp_ieee_div_zero 0
		.amdhsa_exception_fp_ieee_overflow 0
		.amdhsa_exception_fp_ieee_underflow 0
		.amdhsa_exception_fp_ieee_inexact 0
		.amdhsa_exception_int_div_zero 0
	.end_amdhsa_kernel
	.section	.text._ZN4vllm3moe10topkGatingILi4ELi4ELi4ELi8ELi32El14__hip_bfloat16LNS0_11ScoringFuncE1EEEvPKT5_PKbPfiPT4_PiiiibPKf,"axG",@progbits,_ZN4vllm3moe10topkGatingILi4ELi4ELi4ELi8ELi32El14__hip_bfloat16LNS0_11ScoringFuncE1EEEvPKT5_PKbPfiPT4_PiiiibPKf,comdat
.Lfunc_end356:
	.size	_ZN4vllm3moe10topkGatingILi4ELi4ELi4ELi8ELi32El14__hip_bfloat16LNS0_11ScoringFuncE1EEEvPKT5_PKbPfiPT4_PiiiibPKf, .Lfunc_end356-_ZN4vllm3moe10topkGatingILi4ELi4ELi4ELi8ELi32El14__hip_bfloat16LNS0_11ScoringFuncE1EEEvPKT5_PKbPfiPT4_PiiiibPKf
                                        ; -- End function
	.section	.AMDGPU.csdata,"",@progbits
; Kernel info:
; codeLenInByte = 1664
; NumSgprs: 28
; NumVgprs: 24
; NumAgprs: 0
; TotalNumVgprs: 24
; ScratchSize: 0
; MemoryBound: 1
; FloatMode: 240
; IeeeMode: 1
; LDSByteSize: 0 bytes/workgroup (compile time only)
; SGPRBlocks: 3
; VGPRBlocks: 2
; NumSGPRsForWavesPerEU: 28
; NumVGPRsForWavesPerEU: 24
; AccumOffset: 24
; Occupancy: 8
; WaveLimiterHint : 0
; COMPUTE_PGM_RSRC2:SCRATCH_EN: 0
; COMPUTE_PGM_RSRC2:USER_SGPR: 6
; COMPUTE_PGM_RSRC2:TRAP_HANDLER: 0
; COMPUTE_PGM_RSRC2:TGID_X_EN: 1
; COMPUTE_PGM_RSRC2:TGID_Y_EN: 0
; COMPUTE_PGM_RSRC2:TGID_Z_EN: 0
; COMPUTE_PGM_RSRC2:TIDIG_COMP_CNT: 1
; COMPUTE_PGM_RSRC3_GFX90A:ACCUM_OFFSET: 5
; COMPUTE_PGM_RSRC3_GFX90A:TG_SPLIT: 0
	.section	.text._ZN4vllm3moe10topkGatingILi8ELi8ELi4ELi16ELi64El14__hip_bfloat16LNS0_11ScoringFuncE1EEEvPKT5_PKbPfiPT4_PiiiibPKf,"axG",@progbits,_ZN4vllm3moe10topkGatingILi8ELi8ELi4ELi16ELi64El14__hip_bfloat16LNS0_11ScoringFuncE1EEEvPKT5_PKbPfiPT4_PiiiibPKf,comdat
	.protected	_ZN4vllm3moe10topkGatingILi8ELi8ELi4ELi16ELi64El14__hip_bfloat16LNS0_11ScoringFuncE1EEEvPKT5_PKbPfiPT4_PiiiibPKf ; -- Begin function _ZN4vllm3moe10topkGatingILi8ELi8ELi4ELi16ELi64El14__hip_bfloat16LNS0_11ScoringFuncE1EEEvPKT5_PKbPfiPT4_PiiiibPKf
	.globl	_ZN4vllm3moe10topkGatingILi8ELi8ELi4ELi16ELi64El14__hip_bfloat16LNS0_11ScoringFuncE1EEEvPKT5_PKbPfiPT4_PiiiibPKf
	.p2align	8
	.type	_ZN4vllm3moe10topkGatingILi8ELi8ELi4ELi16ELi64El14__hip_bfloat16LNS0_11ScoringFuncE1EEEvPKT5_PKbPfiPT4_PiiiibPKf,@function
_ZN4vllm3moe10topkGatingILi8ELi8ELi4ELi16ELi64El14__hip_bfloat16LNS0_11ScoringFuncE1EEEvPKT5_PKbPfiPT4_PiiiibPKf: ; @_ZN4vllm3moe10topkGatingILi8ELi8ELi4ELi16ELi64El14__hip_bfloat16LNS0_11ScoringFuncE1EEEvPKT5_PKbPfiPT4_PiiiibPKf
; %bb.0:
	s_load_dword s18, s[4:5], 0x18
	v_bfe_u32 v1, v0, 10, 10
	s_lshl_b32 s0, s6, 8
	v_lshlrev_b32_e32 v1, 6, v1
	v_and_b32_e32 v0, 0x3ff, v0
	v_add3_u32 v16, v1, v0, s0
	s_waitcnt lgkmcnt(0)
	v_cmp_gt_i32_e32 vcc, s18, v16
	s_and_saveexec_b64 s[0:1], vcc
	s_cbranch_execz .LBB357_20
; %bb.1:
	s_load_dwordx4 s[0:3], s[4:5], 0x0
	s_load_dwordx2 s[12:13], s[4:5], 0x10
	s_mov_b64 s[8:9], -1
	s_mov_b64 s[14:15], -1
	s_waitcnt lgkmcnt(0)
	s_cmp_eq_u64 s[2:3], 0
	s_cbranch_scc1 .LBB357_3
; %bb.2:
	v_ashrrev_i32_e32 v1, 31, v16
	v_mov_b32_e32 v2, s3
	v_add_co_u32_e32 v0, vcc, s2, v16
	v_addc_co_u32_e32 v1, vcc, v2, v1, vcc
	global_load_ubyte v0, v[0:1], off
	s_waitcnt vmcnt(0)
	v_and_b32_e32 v0, 1, v0
	v_cmp_eq_u32_e32 vcc, 1, v0
	s_xor_b64 s[2:3], vcc, -1
	s_orn2_b64 s[14:15], s[2:3], exec
.LBB357_3:
	v_lshlrev_b32_e32 v0, 3, v16
	v_ashrrev_i32_e32 v1, 31, v0
	v_lshlrev_b64 v[0:1], 1, v[0:1]
	v_mov_b32_e32 v2, s1
	v_add_co_u32_e32 v0, vcc, s0, v0
	v_addc_co_u32_e32 v1, vcc, v2, v1, vcc
	global_load_dwordx4 v[0:3], v[0:1], off
	v_mov_b32_e32 v8, 0x207
	s_load_dwordx2 s[10:11], s[4:5], 0x40
	s_waitcnt lgkmcnt(0)
	s_cmp_eq_u64 s[10:11], 0
	s_waitcnt vmcnt(0)
	v_lshlrev_b32_e32 v4, 16, v0
	v_and_b32_e32 v0, 0xffff0000, v0
	v_lshlrev_b32_e32 v5, 16, v1
	v_and_b32_e32 v1, 0xffff0000, v1
	v_mul_f32_e32 v4, 0xbfb8aa3b, v4
	v_mul_f32_e32 v9, 0xbfb8aa3b, v0
	v_lshlrev_b32_e32 v6, 16, v2
	v_and_b32_e32 v2, 0xffff0000, v2
	v_mul_f32_e32 v10, 0xbfb8aa3b, v1
	v_exp_f32_e32 v0, v4
	v_exp_f32_e32 v1, v9
	v_mul_f32_e32 v5, 0xbfb8aa3b, v5
	v_mul_f32_e32 v6, 0xbfb8aa3b, v6
	;; [unrolled: 1-line block ×3, first 2 shown]
	v_exp_f32_e32 v2, v5
	v_exp_f32_e32 v4, v6
	;; [unrolled: 1-line block ×3, first 2 shown]
	v_lshlrev_b32_e32 v7, 16, v3
	v_and_b32_e32 v3, 0xffff0000, v3
	v_mul_f32_e32 v12, 0xbfb8aa3b, v3
	v_exp_f32_e32 v3, v10
	v_pk_add_f32 v[0:1], v[0:1], 1.0 op_sel_hi:[1,0]
	v_div_scale_f32 v9, s[0:1], v1, v1, 1.0
	v_pk_add_f32 v[4:5], v[4:5], 1.0 op_sel_hi:[1,0]
	v_rcp_f32_e32 v19, v9
	v_div_scale_f32 v11, s[0:1], v0, v0, 1.0
	v_div_scale_f32 v18, s[16:17], v5, v5, 1.0
	v_pk_add_f32 v[2:3], v[2:3], 1.0 op_sel_hi:[1,0]
	v_rcp_f32_e32 v20, v11
	v_rcp_f32_e32 v23, v18
	v_div_scale_f32 v13, s[2:3], v3, v3, 1.0
	v_rcp_f32_e32 v21, v13
	v_fma_f32 v24, -v9, v19, 1.0
	v_div_scale_f32 v10, vcc, 1.0, v1, 1.0
	v_div_scale_f32 v15, s[6:7], v2, v2, 1.0
	v_fmac_f32_e32 v19, v24, v19
	v_mul_f32_e32 v7, 0xbfb8aa3b, v7
	v_rcp_f32_e32 v22, v15
	v_fma_f32 v25, -v11, v20, 1.0
	v_fma_f32 v28, -v18, v23, 1.0
	v_mul_f32_e32 v24, v10, v19
	v_exp_f32_e32 v6, v7
	v_exp_f32_e32 v7, v12
	v_div_scale_f32 v12, s[0:1], 1.0, v0, 1.0
	v_fmac_f32_e32 v20, v25, v20
	v_fmac_f32_e32 v23, v28, v23
	v_fma_f32 v28, -v9, v24, v10
	v_fma_f32 v26, -v13, v21, 1.0
	v_mul_f32_e32 v25, v12, v20
	v_fmac_f32_e32 v24, v28, v19
	v_div_scale_f32 v14, s[2:3], 1.0, v3, 1.0
	v_fmac_f32_e32 v21, v26, v21
	v_fma_f32 v29, -v11, v25, v12
	v_fma_f32 v9, -v9, v24, v10
	v_fma_f32 v27, -v15, v22, 1.0
	v_mul_f32_e32 v26, v14, v21
	v_fmac_f32_e32 v25, v29, v20
	v_div_fmas_f32 v9, v9, v19, v24
	v_div_scale_f32 v17, s[6:7], 1.0, v2, 1.0
	v_fmac_f32_e32 v22, v27, v22
	v_fma_f32 v30, -v13, v26, v14
	v_fma_f32 v10, -v11, v25, v12
	v_div_fixup_f32 v1, v9, v1, 1.0
	s_mov_b64 vcc, s[0:1]
	v_mul_f32_e32 v27, v17, v22
	v_fmac_f32_e32 v26, v30, v21
	v_div_fmas_f32 v9, v10, v20, v25
	v_cmp_class_f32_e32 vcc, v1, v8
	v_fma_f32 v31, -v15, v27, v17
	v_fma_f32 v11, -v13, v26, v14
	v_div_fixup_f32 v0, v9, v0, 1.0
	v_cndmask_b32_e64 v1, v1, 0, vcc
	s_mov_b64 vcc, s[2:3]
	v_fmac_f32_e32 v27, v31, v22
	v_div_fmas_f32 v9, v11, v21, v26
	v_cmp_class_f32_e32 vcc, v0, v8
	v_fma_f32 v12, -v15, v27, v17
	v_cndmask_b32_e64 v0, v0, 0, vcc
	s_mov_b64 vcc, s[6:7]
	v_div_fixup_f32 v3, v9, v3, 1.0
	v_div_fmas_f32 v9, v12, v22, v27
	v_div_fixup_f32 v2, v9, v2, 1.0
	v_cmp_class_f32_e32 vcc, v3, v8
	v_cndmask_b32_e64 v3, v3, 0, vcc
	v_cmp_class_f32_e32 vcc, v2, v8
	v_cndmask_b32_e64 v2, v2, 0, vcc
	v_div_scale_f32 v9, vcc, 1.0, v5, 1.0
	v_mul_f32_e32 v10, v9, v23
	v_fma_f32 v11, -v18, v10, v9
	v_fmac_f32_e32 v10, v11, v23
	v_div_scale_f32 v11, s[0:1], v4, v4, 1.0
	v_rcp_f32_e32 v12, v11
	v_fma_f32 v9, -v18, v10, v9
	v_div_fmas_f32 v9, v9, v23, v10
	v_div_fixup_f32 v5, v9, v5, 1.0
	v_fma_f32 v9, -v11, v12, 1.0
	v_fmac_f32_e32 v12, v9, v12
	v_div_scale_f32 v9, vcc, 1.0, v4, 1.0
	v_mul_f32_e32 v10, v9, v12
	v_fma_f32 v13, -v11, v10, v9
	v_fmac_f32_e32 v10, v13, v12
	v_fma_f32 v9, -v11, v10, v9
	v_div_fmas_f32 v9, v9, v12, v10
	v_pk_add_f32 v[6:7], v[6:7], 1.0 op_sel_hi:[1,0]
	v_div_fixup_f32 v4, v9, v4, 1.0
	v_div_scale_f32 v9, s[0:1], v7, v7, 1.0
	v_rcp_f32_e32 v10, v9
	v_cmp_class_f32_e32 vcc, v5, v8
	v_cndmask_b32_e64 v5, v5, 0, vcc
	v_cmp_class_f32_e32 vcc, v4, v8
	v_fma_f32 v11, -v9, v10, 1.0
	v_cndmask_b32_e64 v4, v4, 0, vcc
	v_fmac_f32_e32 v10, v11, v10
	v_div_scale_f32 v11, vcc, 1.0, v7, 1.0
	v_mul_f32_e32 v12, v11, v10
	v_fma_f32 v13, -v9, v12, v11
	v_fmac_f32_e32 v12, v13, v10
	v_fma_f32 v9, -v9, v12, v11
	v_div_scale_f32 v11, s[0:1], v6, v6, 1.0
	v_rcp_f32_e32 v13, v11
	v_div_fmas_f32 v9, v9, v10, v12
	v_div_fixup_f32 v7, v9, v7, 1.0
	v_fma_f32 v9, -v11, v13, 1.0
	v_fmac_f32_e32 v13, v9, v13
	v_div_scale_f32 v9, vcc, 1.0, v6, 1.0
	v_mul_f32_e32 v10, v9, v13
	v_fma_f32 v12, -v11, v10, v9
	v_fmac_f32_e32 v10, v12, v13
	v_fma_f32 v9, -v11, v10, v9
	v_div_fmas_f32 v9, v9, v13, v10
	v_div_fixup_f32 v6, v9, v6, 1.0
	v_cmp_class_f32_e32 vcc, v7, v8
	v_cndmask_b32_e64 v7, v7, 0, vcc
	v_cmp_class_f32_e32 vcc, v6, v8
	v_cndmask_b32_e64 v6, v6, 0, vcc
	s_cbranch_scc1 .LBB357_10
; %bb.4:
	s_load_dwordx8 s[20:27], s[10:11], 0x0
	s_waitcnt lgkmcnt(0)
	v_pk_add_f32 v[8:9], s[20:21], v[0:1]
	v_pk_add_f32 v[10:11], s[22:23], v[2:3]
	;; [unrolled: 1-line block ×4, first 2 shown]
	s_cbranch_execnz .LBB357_6
.LBB357_5:
	v_pk_mov_b32 v[14:15], v[6:7], v[6:7] op_sel:[0,1]
	v_pk_mov_b32 v[12:13], v[4:5], v[4:5] op_sel:[0,1]
	;; [unrolled: 1-line block ×4, first 2 shown]
.LBB357_6:
	s_load_dwordx4 s[8:11], s[4:5], 0x30
	s_waitcnt lgkmcnt(0)
	s_bitcmp1_b32 s11, 0
	s_cselect_b64 vcc, -1, 0
	s_cmp_gt_i32 s8, 0
	s_cselect_b64 s[16:17], -1, 0
	s_cmp_lt_i32 s8, 1
	s_mov_b32 s11, 0
	s_cbranch_scc1 .LBB357_11
; %bb.7:
	s_load_dwordx4 s[4:7], s[4:5], 0x20
	v_mul_lo_u32 v18, v16, s8
	v_mov_b32_e32 v17, 0
	v_mov_b32_e32 v19, s13
	;; [unrolled: 1-line block ×3, first 2 shown]
	s_waitcnt lgkmcnt(0)
	v_mov_b32_e32 v20, s5
	v_mov_b32_e32 v21, s7
	;; [unrolled: 1-line block ×3, first 2 shown]
.LBB357_8:                              ; =>This Inner Loop Header: Depth=1
	v_cmp_gt_f32_e64 s[0:1], v9, v8
	v_cndmask_b32_e64 v26, v8, v9, s[0:1]
	v_cndmask_b32_e64 v24, 0, 1, s[0:1]
	v_cndmask_b32_e64 v25, v0, v1, s[0:1]
	v_cmp_gt_f32_e64 s[0:1], v10, v26
	v_cndmask_b32_e64 v26, v26, v10, s[0:1]
	v_cndmask_b32_e64 v24, v24, 2, s[0:1]
	v_cndmask_b32_e64 v25, v25, v2, s[0:1]
	;; [unrolled: 4-line block ×6, first 2 shown]
	v_cmp_gt_f32_e64 s[0:1], v15, v26
	v_cndmask_b32_e64 v30, v24, 7, s[0:1]
	v_add_u32_e32 v24, s11, v18
	v_cndmask_b32_e64 v31, v25, v7, s[0:1]
	v_ashrrev_i32_e32 v25, 31, v24
	v_cmp_le_i32_e64 s[0:1], s9, v30
	v_cmp_gt_i32_e64 s[2:3], s10, v30
	v_lshlrev_b64 v[26:27], 2, v[24:25]
	s_and_b64 s[2:3], s[0:1], s[2:3]
	v_add_co_u32_e64 v28, s[0:1], s12, v26
	v_addc_co_u32_e64 v29, s[0:1], v19, v27, s[0:1]
	global_store_dword v[28:29], v31, off
	v_subrev_u32_e32 v28, s9, v30
	v_ashrrev_i32_e32 v29, 31, v28
	s_and_b64 s[0:1], s[14:15], s[2:3]
	v_lshlrev_b64 v[24:25], 3, v[24:25]
	v_cndmask_b32_e64 v29, 0, v29, s[0:1]
	v_cndmask_b32_e64 v28, 8, v28, s[0:1]
	v_add_co_u32_e64 v24, s[0:1], s4, v24
	v_addc_co_u32_e64 v25, s[0:1], v20, v25, s[0:1]
	global_store_dwordx2 v[24:25], v[28:29], off
	v_add_co_u32_e64 v24, s[0:1], s6, v26
	v_addc_co_u32_e64 v25, s[0:1], v21, v27, s[0:1]
	global_store_dword v[24:25], v23, off
	v_add_f32_e32 v24, v17, v31
	v_cmp_ne_u32_e64 s[0:1], 0, v30
	v_cndmask_b32_e32 v17, v17, v24, vcc
	v_cndmask_b32_e64 v24, v22, v8, s[0:1]
	v_cmp_ne_u32_e64 s[0:1], 1, v30
	v_cndmask_b32_e64 v25, v22, v9, s[0:1]
	v_cmp_ne_u32_e64 s[0:1], 2, v30
	;; [unrolled: 2-line block ×5, first 2 shown]
	s_add_i32 s11, s11, 1
	v_cndmask_b32_e64 v29, v22, v13, s[0:1]
	v_cmp_ne_u32_e64 s[0:1], 6, v30
	s_cmp_lt_i32 s11, s8
	v_cndmask_b32_e64 v31, v22, v14, s[0:1]
	v_cmp_ne_u32_e64 s[0:1], 7, v30
	v_cndmask_b32_e64 v30, v22, v15, s[0:1]
	s_cselect_b64 s[0:1], -1, 0
	v_cndmask_b32_e64 v15, v15, v30, s[0:1]
	v_cndmask_b32_e64 v14, v14, v31, s[0:1]
	;; [unrolled: 1-line block ×8, first 2 shown]
	s_cmp_eq_u32 s8, s11
	v_add_u32_e32 v23, s18, v23
	s_cbranch_scc0 .LBB357_8
; %bb.9:
	s_and_b64 vcc, exec, vcc
	s_cbranch_vccnz .LBB357_12
	s_branch .LBB357_20
.LBB357_10:
                                        ; implicit-def: $vgpr8_vgpr9_vgpr10_vgpr11_vgpr12_vgpr13_vgpr14_vgpr15
	s_andn2_b64 vcc, exec, s[8:9]
	s_cbranch_vccz .LBB357_5
	s_branch .LBB357_6
.LBB357_11:
	v_mov_b32_e32 v17, 0
	s_and_b64 vcc, exec, vcc
	s_cbranch_vccz .LBB357_20
.LBB357_12:
	s_andn2_b64 vcc, exec, s[16:17]
	s_cbranch_vccnz .LBB357_20
; %bb.13:
	v_cmp_lt_f32_e32 vcc, 0, v17
	s_mov_b32 s2, 0
	v_cndmask_b32_e32 v0, 1.0, v17, vcc
	v_mul_lo_u32 v4, v16, s8
	s_cmp_eq_u32 s8, 1
	s_mov_b64 s[0:1], -1
	s_cbranch_scc1 .LBB357_17
; %bb.14:
	s_and_b32 s2, s8, 0x7ffffffe
	v_mov_b32_e32 v1, v0
	v_mov_b32_e32 v5, s13
	s_mov_b32 s3, s2
	v_mov_b32_e32 v2, v4
.LBB357_15:                             ; =>This Inner Loop Header: Depth=1
	v_ashrrev_i32_e32 v3, 31, v2
	v_lshlrev_b64 v[6:7], 2, v[2:3]
	v_add_co_u32_e32 v6, vcc, s12, v6
	v_addc_co_u32_e32 v7, vcc, v5, v7, vcc
	global_load_dwordx2 v[8:9], v[6:7], off
	s_add_i32 s3, s3, -2
	s_cmp_lg_u32 s3, 0
	v_add_u32_e32 v2, 2, v2
	s_waitcnt vmcnt(0)
	v_div_scale_f32 v3, s[0:1], v1, v1, v9
	v_div_scale_f32 v11, s[0:1], v0, v0, v8
	v_rcp_f32_e32 v12, v3
	v_rcp_f32_e32 v13, v11
	v_div_scale_f32 v10, vcc, v9, v1, v9
	v_fma_f32 v15, -v3, v12, 1.0
	v_fma_f32 v16, -v11, v13, 1.0
	v_fmac_f32_e32 v12, v15, v12
	v_div_scale_f32 v14, s[0:1], v8, v0, v8
	v_fmac_f32_e32 v13, v16, v13
	v_mul_f32_e32 v15, v10, v12
	v_mul_f32_e32 v16, v14, v13
	v_fma_f32 v17, -v3, v15, v10
	v_fma_f32 v18, -v11, v16, v14
	v_fmac_f32_e32 v15, v17, v12
	v_fmac_f32_e32 v16, v18, v13
	v_fma_f32 v3, -v3, v15, v10
	v_fma_f32 v10, -v11, v16, v14
	v_div_fmas_f32 v3, v3, v12, v15
	s_mov_b64 vcc, s[0:1]
	v_div_fixup_f32 v9, v3, v1, v9
	v_div_fmas_f32 v3, v10, v13, v16
	v_div_fixup_f32 v8, v3, v0, v8
	global_store_dwordx2 v[6:7], v[8:9], off
	s_cbranch_scc1 .LBB357_15
; %bb.16:
	s_cmp_lg_u32 s2, s8
	s_cselect_b64 s[0:1], -1, 0
.LBB357_17:
	s_and_b64 vcc, exec, s[0:1]
	s_cbranch_vccz .LBB357_20
; %bb.18:
	v_ashrrev_i32_e32 v1, 31, v4
	v_add_co_u32_e32 v2, vcc, s2, v4
	v_addc_co_u32_e32 v3, vcc, 0, v1, vcc
	v_lshlrev_b64 v[2:3], 2, v[2:3]
	v_mov_b32_e32 v1, s13
	v_add_co_u32_e32 v2, vcc, s12, v2
	s_sub_i32 s0, s8, s2
	v_addc_co_u32_e32 v3, vcc, v1, v3, vcc
.LBB357_19:                             ; =>This Inner Loop Header: Depth=1
	global_load_dword v1, v[2:3], off
	s_add_i32 s0, s0, -1
	s_cmp_lg_u32 s0, 0
	s_waitcnt vmcnt(0)
	v_div_scale_f32 v4, s[2:3], v0, v0, v1
	v_rcp_f32_e32 v5, v4
	v_div_scale_f32 v6, vcc, v1, v0, v1
	v_fma_f32 v7, -v4, v5, 1.0
	v_fmac_f32_e32 v5, v7, v5
	v_mul_f32_e32 v7, v6, v5
	v_fma_f32 v8, -v4, v7, v6
	v_fmac_f32_e32 v7, v8, v5
	v_fma_f32 v4, -v4, v7, v6
	v_div_fmas_f32 v4, v4, v5, v7
	v_div_fixup_f32 v1, v4, v0, v1
	global_store_dword v[2:3], v1, off
	v_add_co_u32_e32 v2, vcc, 4, v2
	v_addc_co_u32_e32 v3, vcc, 0, v3, vcc
	s_cbranch_scc1 .LBB357_19
.LBB357_20:
	s_endpgm
	.section	.rodata,"a",@progbits
	.p2align	6, 0x0
	.amdhsa_kernel _ZN4vllm3moe10topkGatingILi8ELi8ELi4ELi16ELi64El14__hip_bfloat16LNS0_11ScoringFuncE1EEEvPKT5_PKbPfiPT4_PiiiibPKf
		.amdhsa_group_segment_fixed_size 0
		.amdhsa_private_segment_fixed_size 0
		.amdhsa_kernarg_size 72
		.amdhsa_user_sgpr_count 6
		.amdhsa_user_sgpr_private_segment_buffer 1
		.amdhsa_user_sgpr_dispatch_ptr 0
		.amdhsa_user_sgpr_queue_ptr 0
		.amdhsa_user_sgpr_kernarg_segment_ptr 1
		.amdhsa_user_sgpr_dispatch_id 0
		.amdhsa_user_sgpr_flat_scratch_init 0
		.amdhsa_user_sgpr_kernarg_preload_length 0
		.amdhsa_user_sgpr_kernarg_preload_offset 0
		.amdhsa_user_sgpr_private_segment_size 0
		.amdhsa_uses_dynamic_stack 0
		.amdhsa_system_sgpr_private_segment_wavefront_offset 0
		.amdhsa_system_sgpr_workgroup_id_x 1
		.amdhsa_system_sgpr_workgroup_id_y 0
		.amdhsa_system_sgpr_workgroup_id_z 0
		.amdhsa_system_sgpr_workgroup_info 0
		.amdhsa_system_vgpr_workitem_id 1
		.amdhsa_next_free_vgpr 32
		.amdhsa_next_free_sgpr 28
		.amdhsa_accum_offset 32
		.amdhsa_reserve_vcc 1
		.amdhsa_reserve_flat_scratch 0
		.amdhsa_float_round_mode_32 0
		.amdhsa_float_round_mode_16_64 0
		.amdhsa_float_denorm_mode_32 3
		.amdhsa_float_denorm_mode_16_64 3
		.amdhsa_dx10_clamp 1
		.amdhsa_ieee_mode 1
		.amdhsa_fp16_overflow 0
		.amdhsa_tg_split 0
		.amdhsa_exception_fp_ieee_invalid_op 0
		.amdhsa_exception_fp_denorm_src 0
		.amdhsa_exception_fp_ieee_div_zero 0
		.amdhsa_exception_fp_ieee_overflow 0
		.amdhsa_exception_fp_ieee_underflow 0
		.amdhsa_exception_fp_ieee_inexact 0
		.amdhsa_exception_int_div_zero 0
	.end_amdhsa_kernel
	.section	.text._ZN4vllm3moe10topkGatingILi8ELi8ELi4ELi16ELi64El14__hip_bfloat16LNS0_11ScoringFuncE1EEEvPKT5_PKbPfiPT4_PiiiibPKf,"axG",@progbits,_ZN4vllm3moe10topkGatingILi8ELi8ELi4ELi16ELi64El14__hip_bfloat16LNS0_11ScoringFuncE1EEEvPKT5_PKbPfiPT4_PiiiibPKf,comdat
.Lfunc_end357:
	.size	_ZN4vllm3moe10topkGatingILi8ELi8ELi4ELi16ELi64El14__hip_bfloat16LNS0_11ScoringFuncE1EEEvPKT5_PKbPfiPT4_PiiiibPKf, .Lfunc_end357-_ZN4vllm3moe10topkGatingILi8ELi8ELi4ELi16ELi64El14__hip_bfloat16LNS0_11ScoringFuncE1EEEvPKT5_PKbPfiPT4_PiiiibPKf
                                        ; -- End function
	.section	.AMDGPU.csdata,"",@progbits
; Kernel info:
; codeLenInByte = 2288
; NumSgprs: 32
; NumVgprs: 32
; NumAgprs: 0
; TotalNumVgprs: 32
; ScratchSize: 0
; MemoryBound: 1
; FloatMode: 240
; IeeeMode: 1
; LDSByteSize: 0 bytes/workgroup (compile time only)
; SGPRBlocks: 3
; VGPRBlocks: 3
; NumSGPRsForWavesPerEU: 32
; NumVGPRsForWavesPerEU: 32
; AccumOffset: 32
; Occupancy: 8
; WaveLimiterHint : 0
; COMPUTE_PGM_RSRC2:SCRATCH_EN: 0
; COMPUTE_PGM_RSRC2:USER_SGPR: 6
; COMPUTE_PGM_RSRC2:TRAP_HANDLER: 0
; COMPUTE_PGM_RSRC2:TGID_X_EN: 1
; COMPUTE_PGM_RSRC2:TGID_Y_EN: 0
; COMPUTE_PGM_RSRC2:TGID_Z_EN: 0
; COMPUTE_PGM_RSRC2:TIDIG_COMP_CNT: 1
; COMPUTE_PGM_RSRC3_GFX90A:ACCUM_OFFSET: 7
; COMPUTE_PGM_RSRC3_GFX90A:TG_SPLIT: 0
	.section	.text._ZN4vllm3moe10topkGatingILi8ELi8ELi4ELi16ELi32El14__hip_bfloat16LNS0_11ScoringFuncE1EEEvPKT5_PKbPfiPT4_PiiiibPKf,"axG",@progbits,_ZN4vllm3moe10topkGatingILi8ELi8ELi4ELi16ELi32El14__hip_bfloat16LNS0_11ScoringFuncE1EEEvPKT5_PKbPfiPT4_PiiiibPKf,comdat
	.protected	_ZN4vllm3moe10topkGatingILi8ELi8ELi4ELi16ELi32El14__hip_bfloat16LNS0_11ScoringFuncE1EEEvPKT5_PKbPfiPT4_PiiiibPKf ; -- Begin function _ZN4vllm3moe10topkGatingILi8ELi8ELi4ELi16ELi32El14__hip_bfloat16LNS0_11ScoringFuncE1EEEvPKT5_PKbPfiPT4_PiiiibPKf
	.globl	_ZN4vllm3moe10topkGatingILi8ELi8ELi4ELi16ELi32El14__hip_bfloat16LNS0_11ScoringFuncE1EEEvPKT5_PKbPfiPT4_PiiiibPKf
	.p2align	8
	.type	_ZN4vllm3moe10topkGatingILi8ELi8ELi4ELi16ELi32El14__hip_bfloat16LNS0_11ScoringFuncE1EEEvPKT5_PKbPfiPT4_PiiiibPKf,@function
_ZN4vllm3moe10topkGatingILi8ELi8ELi4ELi16ELi32El14__hip_bfloat16LNS0_11ScoringFuncE1EEEvPKT5_PKbPfiPT4_PiiiibPKf: ; @_ZN4vllm3moe10topkGatingILi8ELi8ELi4ELi16ELi32El14__hip_bfloat16LNS0_11ScoringFuncE1EEEvPKT5_PKbPfiPT4_PiiiibPKf
; %bb.0:
	s_load_dword s18, s[4:5], 0x18
	v_bfe_u32 v1, v0, 10, 10
	s_lshl_b32 s0, s6, 7
	v_lshlrev_b32_e32 v1, 5, v1
	v_and_b32_e32 v0, 0x3ff, v0
	v_add3_u32 v16, v1, v0, s0
	s_waitcnt lgkmcnt(0)
	v_cmp_gt_i32_e32 vcc, s18, v16
	s_and_saveexec_b64 s[0:1], vcc
	s_cbranch_execz .LBB358_20
; %bb.1:
	s_load_dwordx4 s[0:3], s[4:5], 0x0
	s_load_dwordx2 s[12:13], s[4:5], 0x10
	s_mov_b64 s[8:9], -1
	s_mov_b64 s[14:15], -1
	s_waitcnt lgkmcnt(0)
	s_cmp_eq_u64 s[2:3], 0
	s_cbranch_scc1 .LBB358_3
; %bb.2:
	v_ashrrev_i32_e32 v1, 31, v16
	v_mov_b32_e32 v2, s3
	v_add_co_u32_e32 v0, vcc, s2, v16
	v_addc_co_u32_e32 v1, vcc, v2, v1, vcc
	global_load_ubyte v0, v[0:1], off
	s_waitcnt vmcnt(0)
	v_and_b32_e32 v0, 1, v0
	v_cmp_eq_u32_e32 vcc, 1, v0
	s_xor_b64 s[2:3], vcc, -1
	s_orn2_b64 s[14:15], s[2:3], exec
.LBB358_3:
	v_lshlrev_b32_e32 v0, 3, v16
	v_ashrrev_i32_e32 v1, 31, v0
	v_lshlrev_b64 v[0:1], 1, v[0:1]
	v_mov_b32_e32 v2, s1
	v_add_co_u32_e32 v0, vcc, s0, v0
	v_addc_co_u32_e32 v1, vcc, v2, v1, vcc
	global_load_dwordx4 v[0:3], v[0:1], off
	v_mov_b32_e32 v8, 0x207
	s_load_dwordx2 s[10:11], s[4:5], 0x40
	s_waitcnt lgkmcnt(0)
	s_cmp_eq_u64 s[10:11], 0
	s_waitcnt vmcnt(0)
	v_lshlrev_b32_e32 v4, 16, v0
	v_and_b32_e32 v0, 0xffff0000, v0
	v_lshlrev_b32_e32 v5, 16, v1
	v_and_b32_e32 v1, 0xffff0000, v1
	v_mul_f32_e32 v4, 0xbfb8aa3b, v4
	v_mul_f32_e32 v9, 0xbfb8aa3b, v0
	v_lshlrev_b32_e32 v6, 16, v2
	v_and_b32_e32 v2, 0xffff0000, v2
	v_mul_f32_e32 v10, 0xbfb8aa3b, v1
	v_exp_f32_e32 v0, v4
	v_exp_f32_e32 v1, v9
	v_mul_f32_e32 v5, 0xbfb8aa3b, v5
	v_mul_f32_e32 v6, 0xbfb8aa3b, v6
	;; [unrolled: 1-line block ×3, first 2 shown]
	v_exp_f32_e32 v2, v5
	v_exp_f32_e32 v4, v6
	;; [unrolled: 1-line block ×3, first 2 shown]
	v_lshlrev_b32_e32 v7, 16, v3
	v_and_b32_e32 v3, 0xffff0000, v3
	v_mul_f32_e32 v12, 0xbfb8aa3b, v3
	v_exp_f32_e32 v3, v10
	v_pk_add_f32 v[0:1], v[0:1], 1.0 op_sel_hi:[1,0]
	v_div_scale_f32 v9, s[0:1], v1, v1, 1.0
	v_pk_add_f32 v[4:5], v[4:5], 1.0 op_sel_hi:[1,0]
	v_rcp_f32_e32 v19, v9
	v_div_scale_f32 v11, s[0:1], v0, v0, 1.0
	v_div_scale_f32 v18, s[16:17], v5, v5, 1.0
	v_pk_add_f32 v[2:3], v[2:3], 1.0 op_sel_hi:[1,0]
	v_rcp_f32_e32 v20, v11
	v_rcp_f32_e32 v23, v18
	v_div_scale_f32 v13, s[2:3], v3, v3, 1.0
	v_rcp_f32_e32 v21, v13
	v_fma_f32 v24, -v9, v19, 1.0
	v_div_scale_f32 v10, vcc, 1.0, v1, 1.0
	v_div_scale_f32 v15, s[6:7], v2, v2, 1.0
	v_fmac_f32_e32 v19, v24, v19
	v_mul_f32_e32 v7, 0xbfb8aa3b, v7
	v_rcp_f32_e32 v22, v15
	v_fma_f32 v25, -v11, v20, 1.0
	v_fma_f32 v28, -v18, v23, 1.0
	v_mul_f32_e32 v24, v10, v19
	v_exp_f32_e32 v6, v7
	v_exp_f32_e32 v7, v12
	v_div_scale_f32 v12, s[0:1], 1.0, v0, 1.0
	v_fmac_f32_e32 v20, v25, v20
	v_fmac_f32_e32 v23, v28, v23
	v_fma_f32 v28, -v9, v24, v10
	v_fma_f32 v26, -v13, v21, 1.0
	v_mul_f32_e32 v25, v12, v20
	v_fmac_f32_e32 v24, v28, v19
	v_div_scale_f32 v14, s[2:3], 1.0, v3, 1.0
	v_fmac_f32_e32 v21, v26, v21
	v_fma_f32 v29, -v11, v25, v12
	v_fma_f32 v9, -v9, v24, v10
	v_fma_f32 v27, -v15, v22, 1.0
	v_mul_f32_e32 v26, v14, v21
	v_fmac_f32_e32 v25, v29, v20
	v_div_fmas_f32 v9, v9, v19, v24
	v_div_scale_f32 v17, s[6:7], 1.0, v2, 1.0
	v_fmac_f32_e32 v22, v27, v22
	v_fma_f32 v30, -v13, v26, v14
	v_fma_f32 v10, -v11, v25, v12
	v_div_fixup_f32 v1, v9, v1, 1.0
	s_mov_b64 vcc, s[0:1]
	v_mul_f32_e32 v27, v17, v22
	v_fmac_f32_e32 v26, v30, v21
	v_div_fmas_f32 v9, v10, v20, v25
	v_cmp_class_f32_e32 vcc, v1, v8
	v_fma_f32 v31, -v15, v27, v17
	v_fma_f32 v11, -v13, v26, v14
	v_div_fixup_f32 v0, v9, v0, 1.0
	v_cndmask_b32_e64 v1, v1, 0, vcc
	s_mov_b64 vcc, s[2:3]
	v_fmac_f32_e32 v27, v31, v22
	v_div_fmas_f32 v9, v11, v21, v26
	v_cmp_class_f32_e32 vcc, v0, v8
	v_fma_f32 v12, -v15, v27, v17
	v_cndmask_b32_e64 v0, v0, 0, vcc
	s_mov_b64 vcc, s[6:7]
	v_div_fixup_f32 v3, v9, v3, 1.0
	v_div_fmas_f32 v9, v12, v22, v27
	v_div_fixup_f32 v2, v9, v2, 1.0
	v_cmp_class_f32_e32 vcc, v3, v8
	v_cndmask_b32_e64 v3, v3, 0, vcc
	v_cmp_class_f32_e32 vcc, v2, v8
	v_cndmask_b32_e64 v2, v2, 0, vcc
	v_div_scale_f32 v9, vcc, 1.0, v5, 1.0
	v_mul_f32_e32 v10, v9, v23
	v_fma_f32 v11, -v18, v10, v9
	v_fmac_f32_e32 v10, v11, v23
	v_div_scale_f32 v11, s[0:1], v4, v4, 1.0
	v_rcp_f32_e32 v12, v11
	v_fma_f32 v9, -v18, v10, v9
	v_div_fmas_f32 v9, v9, v23, v10
	v_div_fixup_f32 v5, v9, v5, 1.0
	v_fma_f32 v9, -v11, v12, 1.0
	v_fmac_f32_e32 v12, v9, v12
	v_div_scale_f32 v9, vcc, 1.0, v4, 1.0
	v_mul_f32_e32 v10, v9, v12
	v_fma_f32 v13, -v11, v10, v9
	v_fmac_f32_e32 v10, v13, v12
	v_fma_f32 v9, -v11, v10, v9
	v_div_fmas_f32 v9, v9, v12, v10
	v_pk_add_f32 v[6:7], v[6:7], 1.0 op_sel_hi:[1,0]
	v_div_fixup_f32 v4, v9, v4, 1.0
	v_div_scale_f32 v9, s[0:1], v7, v7, 1.0
	v_rcp_f32_e32 v10, v9
	v_cmp_class_f32_e32 vcc, v5, v8
	v_cndmask_b32_e64 v5, v5, 0, vcc
	v_cmp_class_f32_e32 vcc, v4, v8
	v_fma_f32 v11, -v9, v10, 1.0
	v_cndmask_b32_e64 v4, v4, 0, vcc
	v_fmac_f32_e32 v10, v11, v10
	v_div_scale_f32 v11, vcc, 1.0, v7, 1.0
	v_mul_f32_e32 v12, v11, v10
	v_fma_f32 v13, -v9, v12, v11
	v_fmac_f32_e32 v12, v13, v10
	v_fma_f32 v9, -v9, v12, v11
	v_div_scale_f32 v11, s[0:1], v6, v6, 1.0
	v_rcp_f32_e32 v13, v11
	v_div_fmas_f32 v9, v9, v10, v12
	v_div_fixup_f32 v7, v9, v7, 1.0
	v_fma_f32 v9, -v11, v13, 1.0
	v_fmac_f32_e32 v13, v9, v13
	v_div_scale_f32 v9, vcc, 1.0, v6, 1.0
	v_mul_f32_e32 v10, v9, v13
	v_fma_f32 v12, -v11, v10, v9
	v_fmac_f32_e32 v10, v12, v13
	v_fma_f32 v9, -v11, v10, v9
	v_div_fmas_f32 v9, v9, v13, v10
	v_div_fixup_f32 v6, v9, v6, 1.0
	v_cmp_class_f32_e32 vcc, v7, v8
	v_cndmask_b32_e64 v7, v7, 0, vcc
	v_cmp_class_f32_e32 vcc, v6, v8
	v_cndmask_b32_e64 v6, v6, 0, vcc
	s_cbranch_scc1 .LBB358_10
; %bb.4:
	s_load_dwordx8 s[20:27], s[10:11], 0x0
	s_waitcnt lgkmcnt(0)
	v_pk_add_f32 v[8:9], s[20:21], v[0:1]
	v_pk_add_f32 v[10:11], s[22:23], v[2:3]
	;; [unrolled: 1-line block ×4, first 2 shown]
	s_cbranch_execnz .LBB358_6
.LBB358_5:
	v_pk_mov_b32 v[14:15], v[6:7], v[6:7] op_sel:[0,1]
	v_pk_mov_b32 v[12:13], v[4:5], v[4:5] op_sel:[0,1]
	;; [unrolled: 1-line block ×4, first 2 shown]
.LBB358_6:
	s_load_dwordx4 s[8:11], s[4:5], 0x30
	s_waitcnt lgkmcnt(0)
	s_bitcmp1_b32 s11, 0
	s_cselect_b64 vcc, -1, 0
	s_cmp_gt_i32 s8, 0
	s_cselect_b64 s[16:17], -1, 0
	s_cmp_lt_i32 s8, 1
	s_mov_b32 s11, 0
	s_cbranch_scc1 .LBB358_11
; %bb.7:
	s_load_dwordx4 s[4:7], s[4:5], 0x20
	v_mul_lo_u32 v18, v16, s8
	v_mov_b32_e32 v17, 0
	v_mov_b32_e32 v19, s13
	;; [unrolled: 1-line block ×3, first 2 shown]
	s_waitcnt lgkmcnt(0)
	v_mov_b32_e32 v20, s5
	v_mov_b32_e32 v21, s7
	;; [unrolled: 1-line block ×3, first 2 shown]
.LBB358_8:                              ; =>This Inner Loop Header: Depth=1
	v_cmp_gt_f32_e64 s[0:1], v9, v8
	v_cndmask_b32_e64 v26, v8, v9, s[0:1]
	v_cndmask_b32_e64 v24, 0, 1, s[0:1]
	v_cndmask_b32_e64 v25, v0, v1, s[0:1]
	v_cmp_gt_f32_e64 s[0:1], v10, v26
	v_cndmask_b32_e64 v26, v26, v10, s[0:1]
	v_cndmask_b32_e64 v24, v24, 2, s[0:1]
	v_cndmask_b32_e64 v25, v25, v2, s[0:1]
	;; [unrolled: 4-line block ×6, first 2 shown]
	v_cmp_gt_f32_e64 s[0:1], v15, v26
	v_cndmask_b32_e64 v30, v24, 7, s[0:1]
	v_add_u32_e32 v24, s11, v18
	v_cndmask_b32_e64 v31, v25, v7, s[0:1]
	v_ashrrev_i32_e32 v25, 31, v24
	v_cmp_le_i32_e64 s[0:1], s9, v30
	v_cmp_gt_i32_e64 s[2:3], s10, v30
	v_lshlrev_b64 v[26:27], 2, v[24:25]
	s_and_b64 s[2:3], s[0:1], s[2:3]
	v_add_co_u32_e64 v28, s[0:1], s12, v26
	v_addc_co_u32_e64 v29, s[0:1], v19, v27, s[0:1]
	global_store_dword v[28:29], v31, off
	v_subrev_u32_e32 v28, s9, v30
	v_ashrrev_i32_e32 v29, 31, v28
	s_and_b64 s[0:1], s[14:15], s[2:3]
	v_lshlrev_b64 v[24:25], 3, v[24:25]
	v_cndmask_b32_e64 v29, 0, v29, s[0:1]
	v_cndmask_b32_e64 v28, 8, v28, s[0:1]
	v_add_co_u32_e64 v24, s[0:1], s4, v24
	v_addc_co_u32_e64 v25, s[0:1], v20, v25, s[0:1]
	global_store_dwordx2 v[24:25], v[28:29], off
	v_add_co_u32_e64 v24, s[0:1], s6, v26
	v_addc_co_u32_e64 v25, s[0:1], v21, v27, s[0:1]
	global_store_dword v[24:25], v23, off
	v_add_f32_e32 v24, v17, v31
	v_cmp_ne_u32_e64 s[0:1], 0, v30
	v_cndmask_b32_e32 v17, v17, v24, vcc
	v_cndmask_b32_e64 v24, v22, v8, s[0:1]
	v_cmp_ne_u32_e64 s[0:1], 1, v30
	v_cndmask_b32_e64 v25, v22, v9, s[0:1]
	v_cmp_ne_u32_e64 s[0:1], 2, v30
	;; [unrolled: 2-line block ×5, first 2 shown]
	s_add_i32 s11, s11, 1
	v_cndmask_b32_e64 v29, v22, v13, s[0:1]
	v_cmp_ne_u32_e64 s[0:1], 6, v30
	s_cmp_lt_i32 s11, s8
	v_cndmask_b32_e64 v31, v22, v14, s[0:1]
	v_cmp_ne_u32_e64 s[0:1], 7, v30
	v_cndmask_b32_e64 v30, v22, v15, s[0:1]
	s_cselect_b64 s[0:1], -1, 0
	v_cndmask_b32_e64 v15, v15, v30, s[0:1]
	v_cndmask_b32_e64 v14, v14, v31, s[0:1]
	;; [unrolled: 1-line block ×8, first 2 shown]
	s_cmp_eq_u32 s8, s11
	v_add_u32_e32 v23, s18, v23
	s_cbranch_scc0 .LBB358_8
; %bb.9:
	s_and_b64 vcc, exec, vcc
	s_cbranch_vccnz .LBB358_12
	s_branch .LBB358_20
.LBB358_10:
                                        ; implicit-def: $vgpr8_vgpr9_vgpr10_vgpr11_vgpr12_vgpr13_vgpr14_vgpr15
	s_andn2_b64 vcc, exec, s[8:9]
	s_cbranch_vccz .LBB358_5
	s_branch .LBB358_6
.LBB358_11:
	v_mov_b32_e32 v17, 0
	s_and_b64 vcc, exec, vcc
	s_cbranch_vccz .LBB358_20
.LBB358_12:
	s_andn2_b64 vcc, exec, s[16:17]
	s_cbranch_vccnz .LBB358_20
; %bb.13:
	v_cmp_lt_f32_e32 vcc, 0, v17
	s_mov_b32 s2, 0
	v_cndmask_b32_e32 v0, 1.0, v17, vcc
	v_mul_lo_u32 v4, v16, s8
	s_cmp_eq_u32 s8, 1
	s_mov_b64 s[0:1], -1
	s_cbranch_scc1 .LBB358_17
; %bb.14:
	s_and_b32 s2, s8, 0x7ffffffe
	v_mov_b32_e32 v1, v0
	v_mov_b32_e32 v5, s13
	s_mov_b32 s3, s2
	v_mov_b32_e32 v2, v4
.LBB358_15:                             ; =>This Inner Loop Header: Depth=1
	v_ashrrev_i32_e32 v3, 31, v2
	v_lshlrev_b64 v[6:7], 2, v[2:3]
	v_add_co_u32_e32 v6, vcc, s12, v6
	v_addc_co_u32_e32 v7, vcc, v5, v7, vcc
	global_load_dwordx2 v[8:9], v[6:7], off
	s_add_i32 s3, s3, -2
	s_cmp_lg_u32 s3, 0
	v_add_u32_e32 v2, 2, v2
	s_waitcnt vmcnt(0)
	v_div_scale_f32 v3, s[0:1], v1, v1, v9
	v_div_scale_f32 v11, s[0:1], v0, v0, v8
	v_rcp_f32_e32 v12, v3
	v_rcp_f32_e32 v13, v11
	v_div_scale_f32 v10, vcc, v9, v1, v9
	v_fma_f32 v15, -v3, v12, 1.0
	v_fma_f32 v16, -v11, v13, 1.0
	v_fmac_f32_e32 v12, v15, v12
	v_div_scale_f32 v14, s[0:1], v8, v0, v8
	v_fmac_f32_e32 v13, v16, v13
	v_mul_f32_e32 v15, v10, v12
	v_mul_f32_e32 v16, v14, v13
	v_fma_f32 v17, -v3, v15, v10
	v_fma_f32 v18, -v11, v16, v14
	v_fmac_f32_e32 v15, v17, v12
	v_fmac_f32_e32 v16, v18, v13
	v_fma_f32 v3, -v3, v15, v10
	v_fma_f32 v10, -v11, v16, v14
	v_div_fmas_f32 v3, v3, v12, v15
	s_mov_b64 vcc, s[0:1]
	v_div_fixup_f32 v9, v3, v1, v9
	v_div_fmas_f32 v3, v10, v13, v16
	v_div_fixup_f32 v8, v3, v0, v8
	global_store_dwordx2 v[6:7], v[8:9], off
	s_cbranch_scc1 .LBB358_15
; %bb.16:
	s_cmp_lg_u32 s2, s8
	s_cselect_b64 s[0:1], -1, 0
.LBB358_17:
	s_and_b64 vcc, exec, s[0:1]
	s_cbranch_vccz .LBB358_20
; %bb.18:
	v_ashrrev_i32_e32 v1, 31, v4
	v_add_co_u32_e32 v2, vcc, s2, v4
	v_addc_co_u32_e32 v3, vcc, 0, v1, vcc
	v_lshlrev_b64 v[2:3], 2, v[2:3]
	v_mov_b32_e32 v1, s13
	v_add_co_u32_e32 v2, vcc, s12, v2
	s_sub_i32 s0, s8, s2
	v_addc_co_u32_e32 v3, vcc, v1, v3, vcc
.LBB358_19:                             ; =>This Inner Loop Header: Depth=1
	global_load_dword v1, v[2:3], off
	s_add_i32 s0, s0, -1
	s_cmp_lg_u32 s0, 0
	s_waitcnt vmcnt(0)
	v_div_scale_f32 v4, s[2:3], v0, v0, v1
	v_rcp_f32_e32 v5, v4
	v_div_scale_f32 v6, vcc, v1, v0, v1
	v_fma_f32 v7, -v4, v5, 1.0
	v_fmac_f32_e32 v5, v7, v5
	v_mul_f32_e32 v7, v6, v5
	v_fma_f32 v8, -v4, v7, v6
	v_fmac_f32_e32 v7, v8, v5
	v_fma_f32 v4, -v4, v7, v6
	v_div_fmas_f32 v4, v4, v5, v7
	v_div_fixup_f32 v1, v4, v0, v1
	global_store_dword v[2:3], v1, off
	v_add_co_u32_e32 v2, vcc, 4, v2
	v_addc_co_u32_e32 v3, vcc, 0, v3, vcc
	s_cbranch_scc1 .LBB358_19
.LBB358_20:
	s_endpgm
	.section	.rodata,"a",@progbits
	.p2align	6, 0x0
	.amdhsa_kernel _ZN4vllm3moe10topkGatingILi8ELi8ELi4ELi16ELi32El14__hip_bfloat16LNS0_11ScoringFuncE1EEEvPKT5_PKbPfiPT4_PiiiibPKf
		.amdhsa_group_segment_fixed_size 0
		.amdhsa_private_segment_fixed_size 0
		.amdhsa_kernarg_size 72
		.amdhsa_user_sgpr_count 6
		.amdhsa_user_sgpr_private_segment_buffer 1
		.amdhsa_user_sgpr_dispatch_ptr 0
		.amdhsa_user_sgpr_queue_ptr 0
		.amdhsa_user_sgpr_kernarg_segment_ptr 1
		.amdhsa_user_sgpr_dispatch_id 0
		.amdhsa_user_sgpr_flat_scratch_init 0
		.amdhsa_user_sgpr_kernarg_preload_length 0
		.amdhsa_user_sgpr_kernarg_preload_offset 0
		.amdhsa_user_sgpr_private_segment_size 0
		.amdhsa_uses_dynamic_stack 0
		.amdhsa_system_sgpr_private_segment_wavefront_offset 0
		.amdhsa_system_sgpr_workgroup_id_x 1
		.amdhsa_system_sgpr_workgroup_id_y 0
		.amdhsa_system_sgpr_workgroup_id_z 0
		.amdhsa_system_sgpr_workgroup_info 0
		.amdhsa_system_vgpr_workitem_id 1
		.amdhsa_next_free_vgpr 32
		.amdhsa_next_free_sgpr 28
		.amdhsa_accum_offset 32
		.amdhsa_reserve_vcc 1
		.amdhsa_reserve_flat_scratch 0
		.amdhsa_float_round_mode_32 0
		.amdhsa_float_round_mode_16_64 0
		.amdhsa_float_denorm_mode_32 3
		.amdhsa_float_denorm_mode_16_64 3
		.amdhsa_dx10_clamp 1
		.amdhsa_ieee_mode 1
		.amdhsa_fp16_overflow 0
		.amdhsa_tg_split 0
		.amdhsa_exception_fp_ieee_invalid_op 0
		.amdhsa_exception_fp_denorm_src 0
		.amdhsa_exception_fp_ieee_div_zero 0
		.amdhsa_exception_fp_ieee_overflow 0
		.amdhsa_exception_fp_ieee_underflow 0
		.amdhsa_exception_fp_ieee_inexact 0
		.amdhsa_exception_int_div_zero 0
	.end_amdhsa_kernel
	.section	.text._ZN4vllm3moe10topkGatingILi8ELi8ELi4ELi16ELi32El14__hip_bfloat16LNS0_11ScoringFuncE1EEEvPKT5_PKbPfiPT4_PiiiibPKf,"axG",@progbits,_ZN4vllm3moe10topkGatingILi8ELi8ELi4ELi16ELi32El14__hip_bfloat16LNS0_11ScoringFuncE1EEEvPKT5_PKbPfiPT4_PiiiibPKf,comdat
.Lfunc_end358:
	.size	_ZN4vllm3moe10topkGatingILi8ELi8ELi4ELi16ELi32El14__hip_bfloat16LNS0_11ScoringFuncE1EEEvPKT5_PKbPfiPT4_PiiiibPKf, .Lfunc_end358-_ZN4vllm3moe10topkGatingILi8ELi8ELi4ELi16ELi32El14__hip_bfloat16LNS0_11ScoringFuncE1EEEvPKT5_PKbPfiPT4_PiiiibPKf
                                        ; -- End function
	.section	.AMDGPU.csdata,"",@progbits
; Kernel info:
; codeLenInByte = 2288
; NumSgprs: 32
; NumVgprs: 32
; NumAgprs: 0
; TotalNumVgprs: 32
; ScratchSize: 0
; MemoryBound: 1
; FloatMode: 240
; IeeeMode: 1
; LDSByteSize: 0 bytes/workgroup (compile time only)
; SGPRBlocks: 3
; VGPRBlocks: 3
; NumSGPRsForWavesPerEU: 32
; NumVGPRsForWavesPerEU: 32
; AccumOffset: 32
; Occupancy: 8
; WaveLimiterHint : 0
; COMPUTE_PGM_RSRC2:SCRATCH_EN: 0
; COMPUTE_PGM_RSRC2:USER_SGPR: 6
; COMPUTE_PGM_RSRC2:TRAP_HANDLER: 0
; COMPUTE_PGM_RSRC2:TGID_X_EN: 1
; COMPUTE_PGM_RSRC2:TGID_Y_EN: 0
; COMPUTE_PGM_RSRC2:TGID_Z_EN: 0
; COMPUTE_PGM_RSRC2:TIDIG_COMP_CNT: 1
; COMPUTE_PGM_RSRC3_GFX90A:ACCUM_OFFSET: 7
; COMPUTE_PGM_RSRC3_GFX90A:TG_SPLIT: 0
	.section	.text._ZN4vllm3moe10topkGatingILi8ELi16ELi4ELi16ELi64El14__hip_bfloat16LNS0_11ScoringFuncE1EEEvPKT5_PKbPfiPT4_PiiiibPKf,"axG",@progbits,_ZN4vllm3moe10topkGatingILi8ELi16ELi4ELi16ELi64El14__hip_bfloat16LNS0_11ScoringFuncE1EEEvPKT5_PKbPfiPT4_PiiiibPKf,comdat
	.protected	_ZN4vllm3moe10topkGatingILi8ELi16ELi4ELi16ELi64El14__hip_bfloat16LNS0_11ScoringFuncE1EEEvPKT5_PKbPfiPT4_PiiiibPKf ; -- Begin function _ZN4vllm3moe10topkGatingILi8ELi16ELi4ELi16ELi64El14__hip_bfloat16LNS0_11ScoringFuncE1EEEvPKT5_PKbPfiPT4_PiiiibPKf
	.globl	_ZN4vllm3moe10topkGatingILi8ELi16ELi4ELi16ELi64El14__hip_bfloat16LNS0_11ScoringFuncE1EEEvPKT5_PKbPfiPT4_PiiiibPKf
	.p2align	8
	.type	_ZN4vllm3moe10topkGatingILi8ELi16ELi4ELi16ELi64El14__hip_bfloat16LNS0_11ScoringFuncE1EEEvPKT5_PKbPfiPT4_PiiiibPKf,@function
_ZN4vllm3moe10topkGatingILi8ELi16ELi4ELi16ELi64El14__hip_bfloat16LNS0_11ScoringFuncE1EEEvPKT5_PKbPfiPT4_PiiiibPKf: ; @_ZN4vllm3moe10topkGatingILi8ELi16ELi4ELi16ELi64El14__hip_bfloat16LNS0_11ScoringFuncE1EEEvPKT5_PKbPfiPT4_PiiiibPKf
; %bb.0:
	s_load_dword s24, s[4:5], 0x18
	v_bfe_u32 v1, v0, 10, 10
	v_and_b32_e32 v0, 0x3ff, v0
	s_lshl_b32 s0, s6, 7
	v_lshlrev_b32_e32 v1, 5, v1
	v_lshrrev_b32_e32 v2, 1, v0
	v_add3_u32 v16, s0, v1, v2
	s_waitcnt lgkmcnt(0)
	v_cmp_gt_i32_e32 vcc, s24, v16
	s_and_saveexec_b64 s[0:1], vcc
	s_cbranch_execz .LBB359_30
; %bb.1:
	s_load_dwordx4 s[0:3], s[4:5], 0x0
	s_load_dwordx2 s[16:17], s[4:5], 0x10
	s_mov_b64 s[8:9], -1
	s_mov_b64 s[18:19], -1
	s_waitcnt lgkmcnt(0)
	s_cmp_eq_u64 s[2:3], 0
	s_cbranch_scc1 .LBB359_3
; %bb.2:
	v_ashrrev_i32_e32 v1, 31, v16
	v_mov_b32_e32 v3, s3
	v_add_co_u32_e32 v2, vcc, s2, v16
	v_addc_co_u32_e32 v3, vcc, v3, v1, vcc
	global_load_ubyte v1, v[2:3], off
	s_waitcnt vmcnt(0)
	v_and_b32_e32 v1, 1, v1
	v_cmp_eq_u32_e32 vcc, 1, v1
	s_xor_b64 s[2:3], vcc, -1
	s_orn2_b64 s[18:19], s[2:3], exec
.LBB359_3:
	v_lshlrev_b32_e32 v2, 4, v16
	v_ashrrev_i32_e32 v3, 31, v2
	v_lshlrev_b64 v[2:3], 1, v[2:3]
	v_mov_b32_e32 v1, s1
	v_add_co_u32_e32 v2, vcc, s0, v2
	v_and_b32_e32 v17, 1, v0
	v_addc_co_u32_e32 v1, vcc, v1, v3, vcc
	v_lshlrev_b32_e32 v0, 4, v17
	v_add_co_u32_e32 v0, vcc, v2, v0
	v_addc_co_u32_e32 v1, vcc, 0, v1, vcc
	global_load_dwordx4 v[0:3], v[0:1], off
	v_mov_b32_e32 v8, 0x207
	s_load_dwordx2 s[10:11], s[4:5], 0x40
	v_lshlrev_b32_e32 v18, 3, v17
	s_waitcnt lgkmcnt(0)
	s_cmp_eq_u64 s[10:11], 0
	s_waitcnt vmcnt(0)
	v_lshlrev_b32_e32 v4, 16, v0
	v_and_b32_e32 v0, 0xffff0000, v0
	v_lshlrev_b32_e32 v5, 16, v1
	v_and_b32_e32 v1, 0xffff0000, v1
	v_mul_f32_e32 v4, 0xbfb8aa3b, v4
	v_mul_f32_e32 v9, 0xbfb8aa3b, v0
	;; [unrolled: 1-line block ×3, first 2 shown]
	v_exp_f32_e32 v0, v4
	v_exp_f32_e32 v1, v9
	v_lshlrev_b32_e32 v6, 16, v2
	v_and_b32_e32 v2, 0xffff0000, v2
	v_lshlrev_b32_e32 v7, 16, v3
	v_and_b32_e32 v3, 0xffff0000, v3
	v_mul_f32_e32 v5, 0xbfb8aa3b, v5
	v_mul_f32_e32 v11, 0xbfb8aa3b, v2
	v_mul_f32_e32 v12, 0xbfb8aa3b, v3
	v_exp_f32_e32 v2, v5
	v_exp_f32_e32 v3, v10
	v_pk_add_f32 v[0:1], v[0:1], 1.0 op_sel_hi:[1,0]
	v_div_scale_f32 v9, s[0:1], v1, v1, 1.0
	v_rcp_f32_e32 v21, v9
	v_exp_f32_e32 v5, v11
	v_div_scale_f32 v11, s[0:1], v0, v0, 1.0
	v_pk_add_f32 v[2:3], v[2:3], 1.0 op_sel_hi:[1,0]
	v_rcp_f32_e32 v22, v11
	v_div_scale_f32 v13, s[2:3], v3, v3, 1.0
	v_rcp_f32_e32 v23, v13
	v_fma_f32 v26, -v9, v21, 1.0
	v_div_scale_f32 v10, vcc, 1.0, v1, 1.0
	v_div_scale_f32 v15, s[6:7], v2, v2, 1.0
	v_fmac_f32_e32 v21, v26, v21
	v_mul_f32_e32 v6, 0xbfb8aa3b, v6
	v_mul_f32_e32 v7, 0xbfb8aa3b, v7
	v_rcp_f32_e32 v24, v15
	v_fma_f32 v27, -v11, v22, 1.0
	v_mul_f32_e32 v26, v10, v21
	v_exp_f32_e32 v4, v6
	v_exp_f32_e32 v6, v7
	;; [unrolled: 1-line block ×3, first 2 shown]
	v_div_scale_f32 v12, s[0:1], 1.0, v0, 1.0
	v_fmac_f32_e32 v22, v27, v22
	v_fma_f32 v30, -v9, v26, v10
	v_fma_f32 v28, -v13, v23, 1.0
	v_mul_f32_e32 v27, v12, v22
	v_fmac_f32_e32 v26, v30, v21
	v_div_scale_f32 v14, s[2:3], 1.0, v3, 1.0
	v_fmac_f32_e32 v23, v28, v23
	v_fma_f32 v31, -v11, v27, v12
	v_fma_f32 v9, -v9, v26, v10
	v_fma_f32 v29, -v15, v24, 1.0
	v_mul_f32_e32 v28, v14, v23
	v_fmac_f32_e32 v27, v31, v22
	v_div_fmas_f32 v9, v9, v21, v26
	v_div_scale_f32 v19, s[6:7], 1.0, v2, 1.0
	v_fmac_f32_e32 v24, v29, v24
	v_fma_f32 v32, -v13, v28, v14
	v_fma_f32 v10, -v11, v27, v12
	v_div_fixup_f32 v1, v9, v1, 1.0
	s_mov_b64 vcc, s[0:1]
	v_pk_add_f32 v[4:5], v[4:5], 1.0 op_sel_hi:[1,0]
	v_mul_f32_e32 v29, v19, v24
	v_fmac_f32_e32 v28, v32, v23
	v_div_fmas_f32 v9, v10, v22, v27
	v_cmp_class_f32_e32 vcc, v1, v8
	v_div_scale_f32 v20, s[12:13], v5, v5, 1.0
	v_fma_f32 v33, -v15, v29, v19
	v_fma_f32 v11, -v13, v28, v14
	v_div_fixup_f32 v0, v9, v0, 1.0
	v_cndmask_b32_e64 v1, v1, 0, vcc
	s_mov_b64 vcc, s[2:3]
	v_rcp_f32_e32 v25, v20
	v_fmac_f32_e32 v29, v33, v24
	v_div_fmas_f32 v9, v11, v23, v28
	v_cmp_class_f32_e32 vcc, v0, v8
	v_fma_f32 v12, -v15, v29, v19
	v_cndmask_b32_e64 v0, v0, 0, vcc
	s_mov_b64 vcc, s[6:7]
	v_div_fixup_f32 v3, v9, v3, 1.0
	v_div_fmas_f32 v9, v12, v24, v29
	v_div_fixup_f32 v2, v9, v2, 1.0
	v_cmp_class_f32_e32 vcc, v3, v8
	v_cndmask_b32_e64 v3, v3, 0, vcc
	v_cmp_class_f32_e32 vcc, v2, v8
	v_fma_f32 v9, -v20, v25, 1.0
	v_cndmask_b32_e64 v2, v2, 0, vcc
	v_fmac_f32_e32 v25, v9, v25
	v_div_scale_f32 v9, vcc, 1.0, v5, 1.0
	v_mul_f32_e32 v10, v9, v25
	v_fma_f32 v11, -v20, v10, v9
	v_fmac_f32_e32 v10, v11, v25
	v_div_scale_f32 v11, s[0:1], v4, v4, 1.0
	v_rcp_f32_e32 v12, v11
	v_fma_f32 v9, -v20, v10, v9
	v_div_fmas_f32 v9, v9, v25, v10
	v_div_fixup_f32 v5, v9, v5, 1.0
	v_fma_f32 v9, -v11, v12, 1.0
	v_fmac_f32_e32 v12, v9, v12
	v_div_scale_f32 v9, vcc, 1.0, v4, 1.0
	v_mul_f32_e32 v10, v9, v12
	v_fma_f32 v13, -v11, v10, v9
	v_fmac_f32_e32 v10, v13, v12
	v_fma_f32 v9, -v11, v10, v9
	v_div_fmas_f32 v9, v9, v12, v10
	v_pk_add_f32 v[6:7], v[6:7], 1.0 op_sel_hi:[1,0]
	v_div_fixup_f32 v4, v9, v4, 1.0
	v_div_scale_f32 v9, s[0:1], v7, v7, 1.0
	v_rcp_f32_e32 v10, v9
	v_cmp_class_f32_e32 vcc, v5, v8
	v_cndmask_b32_e64 v5, v5, 0, vcc
	v_cmp_class_f32_e32 vcc, v4, v8
	v_fma_f32 v11, -v9, v10, 1.0
	v_cndmask_b32_e64 v4, v4, 0, vcc
	v_fmac_f32_e32 v10, v11, v10
	v_div_scale_f32 v11, vcc, 1.0, v7, 1.0
	v_mul_f32_e32 v12, v11, v10
	v_fma_f32 v13, -v9, v12, v11
	v_fmac_f32_e32 v12, v13, v10
	v_fma_f32 v9, -v9, v12, v11
	v_div_scale_f32 v11, s[0:1], v6, v6, 1.0
	v_rcp_f32_e32 v13, v11
	v_div_fmas_f32 v9, v9, v10, v12
	v_div_fixup_f32 v7, v9, v7, 1.0
	v_fma_f32 v9, -v11, v13, 1.0
	v_fmac_f32_e32 v13, v9, v13
	v_div_scale_f32 v9, vcc, 1.0, v6, 1.0
	v_mul_f32_e32 v10, v9, v13
	v_fma_f32 v12, -v11, v10, v9
	v_fmac_f32_e32 v10, v12, v13
	v_fma_f32 v9, -v11, v10, v9
	v_div_fmas_f32 v9, v9, v13, v10
	v_div_fixup_f32 v6, v9, v6, 1.0
	v_cmp_class_f32_e32 vcc, v7, v8
	v_cndmask_b32_e64 v7, v7, 0, vcc
	v_cmp_class_f32_e32 vcc, v6, v8
	v_cndmask_b32_e64 v6, v6, 0, vcc
	s_cbranch_scc1 .LBB359_19
; %bb.4:
	v_lshlrev_b32_e32 v19, 2, v18
	global_load_dwordx4 v[8:11], v19, s[10:11]
	global_load_dwordx4 v[12:15], v19, s[10:11] offset:16
	s_waitcnt vmcnt(1)
	v_pk_add_f32 v[8:9], v[8:9], v[0:1]
	v_pk_add_f32 v[10:11], v[10:11], v[2:3]
	s_waitcnt vmcnt(0)
	v_pk_add_f32 v[12:13], v[12:13], v[4:5]
	v_pk_add_f32 v[14:15], v[14:15], v[6:7]
	s_cbranch_execnz .LBB359_6
.LBB359_5:
	v_pk_mov_b32 v[14:15], v[6:7], v[6:7] op_sel:[0,1]
	v_pk_mov_b32 v[12:13], v[4:5], v[4:5] op_sel:[0,1]
	;; [unrolled: 1-line block ×4, first 2 shown]
.LBB359_6:
	s_load_dwordx4 s[8:11], s[4:5], 0x30
	s_mov_b32 s25, 0
	v_cmp_eq_u32_e64 s[0:1], 0, v17
	s_waitcnt lgkmcnt(0)
	s_bitcmp1_b32 s11, 0
	s_cselect_b64 vcc, -1, 0
	s_cmp_gt_i32 s8, 0
	s_cselect_b64 s[6:7], -1, 0
	s_cmp_lt_i32 s8, 1
	s_cbranch_scc1 .LBB359_20
; %bb.7:
	v_mbcnt_lo_u32_b32 v19, -1, 0
	v_mbcnt_hi_u32_b32 v19, -1, v19
	s_load_dwordx4 s[12:15], s[4:5], 0x20
	v_and_b32_e32 v21, 0x7e, v19
	v_xor_b32_e32 v20, 1, v19
	v_add_u32_e32 v21, 2, v21
	v_cmp_lt_i32_e64 s[2:3], v20, v21
	v_cndmask_b32_e64 v19, v19, v20, s[2:3]
	v_lshlrev_b32_e32 v20, 2, v19
	v_mul_lo_u32 v21, v16, s8
	v_mov_b32_e32 v19, 0
	v_mov_b32_e32 v22, 0xc61c4000
	;; [unrolled: 1-line block ×3, first 2 shown]
	s_branch .LBB359_10
.LBB359_8:                              ;   in Loop: Header=BB359_10 Depth=1
	s_or_b64 exec, exec, s[4:5]
.LBB359_9:                              ;   in Loop: Header=BB359_10 Depth=1
	s_cmp_eq_u32 s8, s25
	v_add_u32_e32 v23, s24, v23
	s_cbranch_scc1 .LBB359_21
.LBB359_10:                             ; =>This Inner Loop Header: Depth=1
	v_cmp_gt_f32_e64 s[2:3], v9, v8
	v_cndmask_b32_e64 v26, v8, v9, s[2:3]
	v_cndmask_b32_e64 v24, 0, 1, s[2:3]
	v_cndmask_b32_e64 v25, v0, v1, s[2:3]
	v_cmp_gt_f32_e64 s[2:3], v10, v26
	v_cndmask_b32_e64 v26, v26, v10, s[2:3]
	v_cndmask_b32_e64 v24, v24, 2, s[2:3]
	v_cndmask_b32_e64 v25, v25, v2, s[2:3]
	;; [unrolled: 4-line block ×6, first 2 shown]
	v_cmp_gt_f32_e64 s[2:3], v15, v26
	v_cndmask_b32_e64 v24, v24, 7, s[2:3]
	v_cndmask_b32_e64 v28, v26, v15, s[2:3]
	v_or_b32_e32 v24, v18, v24
	v_cndmask_b32_e64 v25, v25, v7, s[2:3]
	ds_bpermute_b32 v29, v20, v28
	ds_bpermute_b32 v26, v20, v25
	;; [unrolled: 1-line block ×3, first 2 shown]
	s_waitcnt lgkmcnt(0)
	v_cmp_lt_f32_e64 s[20:21], v28, v29
	v_cmp_nlt_f32_e64 s[2:3], v28, v29
	s_and_saveexec_b64 s[22:23], s[2:3]
	s_cbranch_execnz .LBB359_14
; %bb.11:                               ;   in Loop: Header=BB359_10 Depth=1
	s_or_b64 exec, exec, s[22:23]
	s_and_saveexec_b64 s[2:3], s[20:21]
	s_cbranch_execnz .LBB359_15
.LBB359_12:                             ;   in Loop: Header=BB359_10 Depth=1
	s_or_b64 exec, exec, s[2:3]
	s_and_saveexec_b64 s[20:21], s[0:1]
	s_cbranch_execnz .LBB359_16
.LBB359_13:                             ;   in Loop: Header=BB359_10 Depth=1
	s_or_b64 exec, exec, s[20:21]
	s_add_i32 s25, s25, 1
	s_cmp_ge_i32 s25, s8
	s_cbranch_scc1 .LBB359_9
	s_branch .LBB359_17
.LBB359_14:                             ;   in Loop: Header=BB359_10 Depth=1
	v_cmp_eq_f32_e64 s[2:3], v28, v29
	v_cmp_lt_i32_e64 s[4:5], v27, v24
	s_and_b64 s[2:3], s[2:3], s[4:5]
	s_andn2_b64 s[4:5], s[20:21], exec
	s_and_b64 s[2:3], s[2:3], exec
	s_or_b64 s[20:21], s[4:5], s[2:3]
	s_or_b64 exec, exec, s[22:23]
	s_and_saveexec_b64 s[2:3], s[20:21]
	s_cbranch_execz .LBB359_12
.LBB359_15:                             ;   in Loop: Header=BB359_10 Depth=1
	v_mov_b32_e32 v24, v27
	v_mov_b32_e32 v25, v26
	s_or_b64 exec, exec, s[2:3]
	s_and_saveexec_b64 s[20:21], s[0:1]
	s_cbranch_execz .LBB359_13
.LBB359_16:                             ;   in Loop: Header=BB359_10 Depth=1
	v_add_u32_e32 v26, s25, v21
	v_ashrrev_i32_e32 v27, 31, v26
	v_cmp_le_i32_e64 s[2:3], s9, v24
	v_cmp_gt_i32_e64 s[4:5], s10, v24
	v_lshlrev_b64 v[28:29], 2, v[26:27]
	s_and_b64 s[4:5], s[2:3], s[4:5]
	v_mov_b32_e32 v31, s17
	v_add_co_u32_e64 v30, s[2:3], s16, v28
	v_addc_co_u32_e64 v31, s[2:3], v31, v29, s[2:3]
	global_store_dword v[30:31], v25, off
	v_subrev_u32_e32 v30, s9, v24
	v_ashrrev_i32_e32 v31, 31, v30
	s_and_b64 s[2:3], s[18:19], s[4:5]
	v_lshlrev_b64 v[26:27], 3, v[26:27]
	v_cndmask_b32_e64 v31, 0, v31, s[2:3]
	v_cndmask_b32_e64 v30, 16, v30, s[2:3]
	v_mov_b32_e32 v32, s13
	v_add_co_u32_e64 v26, s[2:3], s12, v26
	v_addc_co_u32_e64 v27, s[2:3], v32, v27, s[2:3]
	global_store_dwordx2 v[26:27], v[30:31], off
	v_mov_b32_e32 v27, s15
	v_add_co_u32_e64 v26, s[2:3], s14, v28
	v_add_f32_e32 v25, v19, v25
	v_addc_co_u32_e64 v27, s[2:3], v27, v29, s[2:3]
	v_cndmask_b32_e32 v19, v19, v25, vcc
	global_store_dword v[26:27], v23, off
	s_or_b64 exec, exec, s[20:21]
	s_add_i32 s25, s25, 1
	s_cmp_ge_i32 s25, s8
	s_cbranch_scc1 .LBB359_9
.LBB359_17:                             ;   in Loop: Header=BB359_10 Depth=1
	v_ashrrev_i32_e32 v26, 31, v24
	v_lshrrev_b32_e32 v25, 29, v26
	v_add_u32_e32 v27, v24, v25
	v_ashrrev_i32_e32 v25, 3, v27
	v_lshrrev_b32_e32 v27, 31, v27
	v_add_u32_e32 v27, v25, v27
	v_and_b32_e32 v27, -2, v27
	v_sub_u32_e32 v27, v25, v27
	v_cmp_eq_u32_e64 s[2:3], v17, v27
	s_and_saveexec_b64 s[4:5], s[2:3]
	s_cbranch_execz .LBB359_8
; %bb.18:                               ;   in Loop: Header=BB359_10 Depth=1
	v_lshrrev_b32_e32 v26, 28, v26
	v_add_u32_e32 v26, v24, v26
	v_lshlrev_b32_e32 v25, 3, v25
	v_ashrrev_i32_e32 v26, 4, v26
	v_sub_u32_e32 v24, v24, v25
	v_lshl_add_u32 v24, v26, 3, v24
	v_cmp_ne_u32_e64 s[2:3], 7, v24
	v_cndmask_b32_e64 v15, v22, v15, s[2:3]
	v_cmp_ne_u32_e64 s[2:3], 6, v24
	v_cndmask_b32_e64 v14, v22, v14, s[2:3]
	;; [unrolled: 2-line block ×8, first 2 shown]
	s_branch .LBB359_8
.LBB359_19:
                                        ; implicit-def: $vgpr8_vgpr9_vgpr10_vgpr11_vgpr12_vgpr13_vgpr14_vgpr15
	s_andn2_b64 vcc, exec, s[8:9]
	s_cbranch_vccz .LBB359_5
	s_branch .LBB359_6
.LBB359_20:
	v_mov_b32_e32 v19, 0
.LBB359_21:
	v_cmp_eq_u32_e64 s[0:1], 0, v17
	s_and_b64 s[0:1], s[0:1], vcc
	s_and_b64 exec, exec, s[0:1]
	s_cbranch_execz .LBB359_30
; %bb.22:
	s_andn2_b64 vcc, exec, s[6:7]
	s_cbranch_vccnz .LBB359_30
; %bb.23:
	v_cmp_lt_f32_e32 vcc, 0, v19
	s_mov_b32 s2, 0
	v_cndmask_b32_e32 v0, 1.0, v19, vcc
	v_mul_lo_u32 v4, v16, s8
	s_cmp_eq_u32 s8, 1
	s_mov_b64 s[0:1], -1
	s_cbranch_scc1 .LBB359_27
; %bb.24:
	s_and_b32 s2, s8, 0x7ffffffe
	v_mov_b32_e32 v1, v0
	v_mov_b32_e32 v5, s17
	s_mov_b32 s3, s2
	v_mov_b32_e32 v2, v4
.LBB359_25:                             ; =>This Inner Loop Header: Depth=1
	v_ashrrev_i32_e32 v3, 31, v2
	v_lshlrev_b64 v[6:7], 2, v[2:3]
	v_add_co_u32_e32 v6, vcc, s16, v6
	v_addc_co_u32_e32 v7, vcc, v5, v7, vcc
	global_load_dwordx2 v[8:9], v[6:7], off
	s_add_i32 s3, s3, -2
	s_cmp_lg_u32 s3, 0
	v_add_u32_e32 v2, 2, v2
	s_waitcnt vmcnt(0)
	v_div_scale_f32 v3, s[0:1], v1, v1, v9
	v_div_scale_f32 v11, s[0:1], v0, v0, v8
	v_rcp_f32_e32 v12, v3
	v_rcp_f32_e32 v13, v11
	v_div_scale_f32 v10, vcc, v9, v1, v9
	v_fma_f32 v15, -v3, v12, 1.0
	v_fma_f32 v16, -v11, v13, 1.0
	v_fmac_f32_e32 v12, v15, v12
	v_div_scale_f32 v14, s[0:1], v8, v0, v8
	v_fmac_f32_e32 v13, v16, v13
	v_mul_f32_e32 v15, v10, v12
	v_mul_f32_e32 v16, v14, v13
	v_fma_f32 v17, -v3, v15, v10
	v_fma_f32 v18, -v11, v16, v14
	v_fmac_f32_e32 v15, v17, v12
	v_fmac_f32_e32 v16, v18, v13
	v_fma_f32 v3, -v3, v15, v10
	v_fma_f32 v10, -v11, v16, v14
	v_div_fmas_f32 v3, v3, v12, v15
	s_mov_b64 vcc, s[0:1]
	v_div_fixup_f32 v9, v3, v1, v9
	v_div_fmas_f32 v3, v10, v13, v16
	v_div_fixup_f32 v8, v3, v0, v8
	global_store_dwordx2 v[6:7], v[8:9], off
	s_cbranch_scc1 .LBB359_25
; %bb.26:
	s_cmp_lg_u32 s2, s8
	s_cselect_b64 s[0:1], -1, 0
.LBB359_27:
	s_and_b64 vcc, exec, s[0:1]
	s_cbranch_vccz .LBB359_30
; %bb.28:
	v_ashrrev_i32_e32 v1, 31, v4
	v_add_co_u32_e32 v2, vcc, s2, v4
	v_addc_co_u32_e32 v3, vcc, 0, v1, vcc
	v_lshlrev_b64 v[2:3], 2, v[2:3]
	v_mov_b32_e32 v1, s17
	v_add_co_u32_e32 v2, vcc, s16, v2
	s_sub_i32 s0, s8, s2
	v_addc_co_u32_e32 v3, vcc, v1, v3, vcc
.LBB359_29:                             ; =>This Inner Loop Header: Depth=1
	global_load_dword v1, v[2:3], off
	s_add_i32 s0, s0, -1
	s_cmp_lg_u32 s0, 0
	s_waitcnt vmcnt(0)
	v_div_scale_f32 v4, s[2:3], v0, v0, v1
	v_rcp_f32_e32 v5, v4
	v_div_scale_f32 v6, vcc, v1, v0, v1
	v_fma_f32 v7, -v4, v5, 1.0
	v_fmac_f32_e32 v5, v7, v5
	v_mul_f32_e32 v7, v6, v5
	v_fma_f32 v8, -v4, v7, v6
	v_fmac_f32_e32 v7, v8, v5
	v_fma_f32 v4, -v4, v7, v6
	v_div_fmas_f32 v4, v4, v5, v7
	v_div_fixup_f32 v1, v4, v0, v1
	global_store_dword v[2:3], v1, off
	v_add_co_u32_e32 v2, vcc, 4, v2
	v_addc_co_u32_e32 v3, vcc, 0, v3, vcc
	s_cbranch_scc1 .LBB359_29
.LBB359_30:
	s_endpgm
	.section	.rodata,"a",@progbits
	.p2align	6, 0x0
	.amdhsa_kernel _ZN4vllm3moe10topkGatingILi8ELi16ELi4ELi16ELi64El14__hip_bfloat16LNS0_11ScoringFuncE1EEEvPKT5_PKbPfiPT4_PiiiibPKf
		.amdhsa_group_segment_fixed_size 0
		.amdhsa_private_segment_fixed_size 0
		.amdhsa_kernarg_size 72
		.amdhsa_user_sgpr_count 6
		.amdhsa_user_sgpr_private_segment_buffer 1
		.amdhsa_user_sgpr_dispatch_ptr 0
		.amdhsa_user_sgpr_queue_ptr 0
		.amdhsa_user_sgpr_kernarg_segment_ptr 1
		.amdhsa_user_sgpr_dispatch_id 0
		.amdhsa_user_sgpr_flat_scratch_init 0
		.amdhsa_user_sgpr_kernarg_preload_length 0
		.amdhsa_user_sgpr_kernarg_preload_offset 0
		.amdhsa_user_sgpr_private_segment_size 0
		.amdhsa_uses_dynamic_stack 0
		.amdhsa_system_sgpr_private_segment_wavefront_offset 0
		.amdhsa_system_sgpr_workgroup_id_x 1
		.amdhsa_system_sgpr_workgroup_id_y 0
		.amdhsa_system_sgpr_workgroup_id_z 0
		.amdhsa_system_sgpr_workgroup_info 0
		.amdhsa_system_vgpr_workitem_id 1
		.amdhsa_next_free_vgpr 34
		.amdhsa_next_free_sgpr 26
		.amdhsa_accum_offset 36
		.amdhsa_reserve_vcc 1
		.amdhsa_reserve_flat_scratch 0
		.amdhsa_float_round_mode_32 0
		.amdhsa_float_round_mode_16_64 0
		.amdhsa_float_denorm_mode_32 3
		.amdhsa_float_denorm_mode_16_64 3
		.amdhsa_dx10_clamp 1
		.amdhsa_ieee_mode 1
		.amdhsa_fp16_overflow 0
		.amdhsa_tg_split 0
		.amdhsa_exception_fp_ieee_invalid_op 0
		.amdhsa_exception_fp_denorm_src 0
		.amdhsa_exception_fp_ieee_div_zero 0
		.amdhsa_exception_fp_ieee_overflow 0
		.amdhsa_exception_fp_ieee_underflow 0
		.amdhsa_exception_fp_ieee_inexact 0
		.amdhsa_exception_int_div_zero 0
	.end_amdhsa_kernel
	.section	.text._ZN4vllm3moe10topkGatingILi8ELi16ELi4ELi16ELi64El14__hip_bfloat16LNS0_11ScoringFuncE1EEEvPKT5_PKbPfiPT4_PiiiibPKf,"axG",@progbits,_ZN4vllm3moe10topkGatingILi8ELi16ELi4ELi16ELi64El14__hip_bfloat16LNS0_11ScoringFuncE1EEEvPKT5_PKbPfiPT4_PiiiibPKf,comdat
.Lfunc_end359:
	.size	_ZN4vllm3moe10topkGatingILi8ELi16ELi4ELi16ELi64El14__hip_bfloat16LNS0_11ScoringFuncE1EEEvPKT5_PKbPfiPT4_PiiiibPKf, .Lfunc_end359-_ZN4vllm3moe10topkGatingILi8ELi16ELi4ELi16ELi64El14__hip_bfloat16LNS0_11ScoringFuncE1EEEvPKT5_PKbPfiPT4_PiiiibPKf
                                        ; -- End function
	.section	.AMDGPU.csdata,"",@progbits
; Kernel info:
; codeLenInByte = 2584
; NumSgprs: 30
; NumVgprs: 34
; NumAgprs: 0
; TotalNumVgprs: 34
; ScratchSize: 0
; MemoryBound: 0
; FloatMode: 240
; IeeeMode: 1
; LDSByteSize: 0 bytes/workgroup (compile time only)
; SGPRBlocks: 3
; VGPRBlocks: 4
; NumSGPRsForWavesPerEU: 30
; NumVGPRsForWavesPerEU: 34
; AccumOffset: 36
; Occupancy: 8
; WaveLimiterHint : 0
; COMPUTE_PGM_RSRC2:SCRATCH_EN: 0
; COMPUTE_PGM_RSRC2:USER_SGPR: 6
; COMPUTE_PGM_RSRC2:TRAP_HANDLER: 0
; COMPUTE_PGM_RSRC2:TGID_X_EN: 1
; COMPUTE_PGM_RSRC2:TGID_Y_EN: 0
; COMPUTE_PGM_RSRC2:TGID_Z_EN: 0
; COMPUTE_PGM_RSRC2:TIDIG_COMP_CNT: 1
; COMPUTE_PGM_RSRC3_GFX90A:ACCUM_OFFSET: 8
; COMPUTE_PGM_RSRC3_GFX90A:TG_SPLIT: 0
	.section	.text._ZN4vllm3moe10topkGatingILi8ELi16ELi4ELi16ELi32El14__hip_bfloat16LNS0_11ScoringFuncE1EEEvPKT5_PKbPfiPT4_PiiiibPKf,"axG",@progbits,_ZN4vllm3moe10topkGatingILi8ELi16ELi4ELi16ELi32El14__hip_bfloat16LNS0_11ScoringFuncE1EEEvPKT5_PKbPfiPT4_PiiiibPKf,comdat
	.protected	_ZN4vllm3moe10topkGatingILi8ELi16ELi4ELi16ELi32El14__hip_bfloat16LNS0_11ScoringFuncE1EEEvPKT5_PKbPfiPT4_PiiiibPKf ; -- Begin function _ZN4vllm3moe10topkGatingILi8ELi16ELi4ELi16ELi32El14__hip_bfloat16LNS0_11ScoringFuncE1EEEvPKT5_PKbPfiPT4_PiiiibPKf
	.globl	_ZN4vllm3moe10topkGatingILi8ELi16ELi4ELi16ELi32El14__hip_bfloat16LNS0_11ScoringFuncE1EEEvPKT5_PKbPfiPT4_PiiiibPKf
	.p2align	8
	.type	_ZN4vllm3moe10topkGatingILi8ELi16ELi4ELi16ELi32El14__hip_bfloat16LNS0_11ScoringFuncE1EEEvPKT5_PKbPfiPT4_PiiiibPKf,@function
_ZN4vllm3moe10topkGatingILi8ELi16ELi4ELi16ELi32El14__hip_bfloat16LNS0_11ScoringFuncE1EEEvPKT5_PKbPfiPT4_PiiiibPKf: ; @_ZN4vllm3moe10topkGatingILi8ELi16ELi4ELi16ELi32El14__hip_bfloat16LNS0_11ScoringFuncE1EEEvPKT5_PKbPfiPT4_PiiiibPKf
; %bb.0:
	s_load_dword s24, s[4:5], 0x18
	v_bfe_u32 v1, v0, 10, 10
	v_and_b32_e32 v0, 0x3ff, v0
	s_lshl_b32 s0, s6, 6
	v_lshlrev_b32_e32 v1, 4, v1
	v_lshrrev_b32_e32 v2, 1, v0
	v_add3_u32 v16, s0, v1, v2
	s_waitcnt lgkmcnt(0)
	v_cmp_gt_i32_e32 vcc, s24, v16
	s_and_saveexec_b64 s[0:1], vcc
	s_cbranch_execz .LBB360_30
; %bb.1:
	s_load_dwordx4 s[0:3], s[4:5], 0x0
	s_load_dwordx2 s[16:17], s[4:5], 0x10
	s_mov_b64 s[8:9], -1
	s_mov_b64 s[18:19], -1
	s_waitcnt lgkmcnt(0)
	s_cmp_eq_u64 s[2:3], 0
	s_cbranch_scc1 .LBB360_3
; %bb.2:
	v_ashrrev_i32_e32 v1, 31, v16
	v_mov_b32_e32 v3, s3
	v_add_co_u32_e32 v2, vcc, s2, v16
	v_addc_co_u32_e32 v3, vcc, v3, v1, vcc
	global_load_ubyte v1, v[2:3], off
	s_waitcnt vmcnt(0)
	v_and_b32_e32 v1, 1, v1
	v_cmp_eq_u32_e32 vcc, 1, v1
	s_xor_b64 s[2:3], vcc, -1
	s_orn2_b64 s[18:19], s[2:3], exec
.LBB360_3:
	v_lshlrev_b32_e32 v2, 4, v16
	v_ashrrev_i32_e32 v3, 31, v2
	v_lshlrev_b64 v[2:3], 1, v[2:3]
	v_mov_b32_e32 v1, s1
	v_add_co_u32_e32 v2, vcc, s0, v2
	v_and_b32_e32 v17, 1, v0
	v_addc_co_u32_e32 v1, vcc, v1, v3, vcc
	v_lshlrev_b32_e32 v0, 4, v17
	v_add_co_u32_e32 v0, vcc, v2, v0
	v_addc_co_u32_e32 v1, vcc, 0, v1, vcc
	global_load_dwordx4 v[0:3], v[0:1], off
	v_mov_b32_e32 v8, 0x207
	s_load_dwordx2 s[10:11], s[4:5], 0x40
	v_lshlrev_b32_e32 v18, 3, v17
	s_waitcnt lgkmcnt(0)
	s_cmp_eq_u64 s[10:11], 0
	s_waitcnt vmcnt(0)
	v_lshlrev_b32_e32 v4, 16, v0
	v_and_b32_e32 v0, 0xffff0000, v0
	v_lshlrev_b32_e32 v5, 16, v1
	v_and_b32_e32 v1, 0xffff0000, v1
	v_mul_f32_e32 v4, 0xbfb8aa3b, v4
	v_mul_f32_e32 v9, 0xbfb8aa3b, v0
	;; [unrolled: 1-line block ×3, first 2 shown]
	v_exp_f32_e32 v0, v4
	v_exp_f32_e32 v1, v9
	v_lshlrev_b32_e32 v6, 16, v2
	v_and_b32_e32 v2, 0xffff0000, v2
	v_lshlrev_b32_e32 v7, 16, v3
	v_and_b32_e32 v3, 0xffff0000, v3
	v_mul_f32_e32 v5, 0xbfb8aa3b, v5
	v_mul_f32_e32 v11, 0xbfb8aa3b, v2
	;; [unrolled: 1-line block ×3, first 2 shown]
	v_exp_f32_e32 v2, v5
	v_exp_f32_e32 v3, v10
	v_pk_add_f32 v[0:1], v[0:1], 1.0 op_sel_hi:[1,0]
	v_div_scale_f32 v9, s[0:1], v1, v1, 1.0
	v_rcp_f32_e32 v21, v9
	v_exp_f32_e32 v5, v11
	v_div_scale_f32 v11, s[0:1], v0, v0, 1.0
	v_pk_add_f32 v[2:3], v[2:3], 1.0 op_sel_hi:[1,0]
	v_rcp_f32_e32 v22, v11
	v_div_scale_f32 v13, s[2:3], v3, v3, 1.0
	v_rcp_f32_e32 v23, v13
	v_fma_f32 v26, -v9, v21, 1.0
	v_div_scale_f32 v10, vcc, 1.0, v1, 1.0
	v_div_scale_f32 v15, s[6:7], v2, v2, 1.0
	v_fmac_f32_e32 v21, v26, v21
	v_mul_f32_e32 v6, 0xbfb8aa3b, v6
	v_mul_f32_e32 v7, 0xbfb8aa3b, v7
	v_rcp_f32_e32 v24, v15
	v_fma_f32 v27, -v11, v22, 1.0
	v_mul_f32_e32 v26, v10, v21
	v_exp_f32_e32 v4, v6
	v_exp_f32_e32 v6, v7
	;; [unrolled: 1-line block ×3, first 2 shown]
	v_div_scale_f32 v12, s[0:1], 1.0, v0, 1.0
	v_fmac_f32_e32 v22, v27, v22
	v_fma_f32 v30, -v9, v26, v10
	v_fma_f32 v28, -v13, v23, 1.0
	v_mul_f32_e32 v27, v12, v22
	v_fmac_f32_e32 v26, v30, v21
	v_div_scale_f32 v14, s[2:3], 1.0, v3, 1.0
	v_fmac_f32_e32 v23, v28, v23
	v_fma_f32 v31, -v11, v27, v12
	v_fma_f32 v9, -v9, v26, v10
	v_fma_f32 v29, -v15, v24, 1.0
	v_mul_f32_e32 v28, v14, v23
	v_fmac_f32_e32 v27, v31, v22
	v_div_fmas_f32 v9, v9, v21, v26
	v_div_scale_f32 v19, s[6:7], 1.0, v2, 1.0
	v_fmac_f32_e32 v24, v29, v24
	v_fma_f32 v32, -v13, v28, v14
	v_fma_f32 v10, -v11, v27, v12
	v_div_fixup_f32 v1, v9, v1, 1.0
	s_mov_b64 vcc, s[0:1]
	v_pk_add_f32 v[4:5], v[4:5], 1.0 op_sel_hi:[1,0]
	v_mul_f32_e32 v29, v19, v24
	v_fmac_f32_e32 v28, v32, v23
	v_div_fmas_f32 v9, v10, v22, v27
	v_cmp_class_f32_e32 vcc, v1, v8
	v_div_scale_f32 v20, s[12:13], v5, v5, 1.0
	v_fma_f32 v33, -v15, v29, v19
	v_fma_f32 v11, -v13, v28, v14
	v_div_fixup_f32 v0, v9, v0, 1.0
	v_cndmask_b32_e64 v1, v1, 0, vcc
	s_mov_b64 vcc, s[2:3]
	v_rcp_f32_e32 v25, v20
	v_fmac_f32_e32 v29, v33, v24
	v_div_fmas_f32 v9, v11, v23, v28
	v_cmp_class_f32_e32 vcc, v0, v8
	v_fma_f32 v12, -v15, v29, v19
	v_cndmask_b32_e64 v0, v0, 0, vcc
	s_mov_b64 vcc, s[6:7]
	v_div_fixup_f32 v3, v9, v3, 1.0
	v_div_fmas_f32 v9, v12, v24, v29
	v_div_fixup_f32 v2, v9, v2, 1.0
	v_cmp_class_f32_e32 vcc, v3, v8
	v_cndmask_b32_e64 v3, v3, 0, vcc
	v_cmp_class_f32_e32 vcc, v2, v8
	v_fma_f32 v9, -v20, v25, 1.0
	v_cndmask_b32_e64 v2, v2, 0, vcc
	v_fmac_f32_e32 v25, v9, v25
	v_div_scale_f32 v9, vcc, 1.0, v5, 1.0
	v_mul_f32_e32 v10, v9, v25
	v_fma_f32 v11, -v20, v10, v9
	v_fmac_f32_e32 v10, v11, v25
	v_div_scale_f32 v11, s[0:1], v4, v4, 1.0
	v_rcp_f32_e32 v12, v11
	v_fma_f32 v9, -v20, v10, v9
	v_div_fmas_f32 v9, v9, v25, v10
	v_div_fixup_f32 v5, v9, v5, 1.0
	v_fma_f32 v9, -v11, v12, 1.0
	v_fmac_f32_e32 v12, v9, v12
	v_div_scale_f32 v9, vcc, 1.0, v4, 1.0
	v_mul_f32_e32 v10, v9, v12
	v_fma_f32 v13, -v11, v10, v9
	v_fmac_f32_e32 v10, v13, v12
	v_fma_f32 v9, -v11, v10, v9
	v_div_fmas_f32 v9, v9, v12, v10
	v_pk_add_f32 v[6:7], v[6:7], 1.0 op_sel_hi:[1,0]
	v_div_fixup_f32 v4, v9, v4, 1.0
	v_div_scale_f32 v9, s[0:1], v7, v7, 1.0
	v_rcp_f32_e32 v10, v9
	v_cmp_class_f32_e32 vcc, v5, v8
	v_cndmask_b32_e64 v5, v5, 0, vcc
	v_cmp_class_f32_e32 vcc, v4, v8
	v_fma_f32 v11, -v9, v10, 1.0
	v_cndmask_b32_e64 v4, v4, 0, vcc
	v_fmac_f32_e32 v10, v11, v10
	v_div_scale_f32 v11, vcc, 1.0, v7, 1.0
	v_mul_f32_e32 v12, v11, v10
	v_fma_f32 v13, -v9, v12, v11
	v_fmac_f32_e32 v12, v13, v10
	v_fma_f32 v9, -v9, v12, v11
	v_div_scale_f32 v11, s[0:1], v6, v6, 1.0
	v_rcp_f32_e32 v13, v11
	v_div_fmas_f32 v9, v9, v10, v12
	v_div_fixup_f32 v7, v9, v7, 1.0
	v_fma_f32 v9, -v11, v13, 1.0
	v_fmac_f32_e32 v13, v9, v13
	v_div_scale_f32 v9, vcc, 1.0, v6, 1.0
	v_mul_f32_e32 v10, v9, v13
	v_fma_f32 v12, -v11, v10, v9
	v_fmac_f32_e32 v10, v12, v13
	v_fma_f32 v9, -v11, v10, v9
	v_div_fmas_f32 v9, v9, v13, v10
	v_div_fixup_f32 v6, v9, v6, 1.0
	v_cmp_class_f32_e32 vcc, v7, v8
	v_cndmask_b32_e64 v7, v7, 0, vcc
	v_cmp_class_f32_e32 vcc, v6, v8
	v_cndmask_b32_e64 v6, v6, 0, vcc
	s_cbranch_scc1 .LBB360_19
; %bb.4:
	v_lshlrev_b32_e32 v19, 2, v18
	global_load_dwordx4 v[8:11], v19, s[10:11]
	global_load_dwordx4 v[12:15], v19, s[10:11] offset:16
	s_waitcnt vmcnt(1)
	v_pk_add_f32 v[8:9], v[8:9], v[0:1]
	v_pk_add_f32 v[10:11], v[10:11], v[2:3]
	s_waitcnt vmcnt(0)
	v_pk_add_f32 v[12:13], v[12:13], v[4:5]
	v_pk_add_f32 v[14:15], v[14:15], v[6:7]
	s_cbranch_execnz .LBB360_6
.LBB360_5:
	v_pk_mov_b32 v[14:15], v[6:7], v[6:7] op_sel:[0,1]
	v_pk_mov_b32 v[12:13], v[4:5], v[4:5] op_sel:[0,1]
	;; [unrolled: 1-line block ×4, first 2 shown]
.LBB360_6:
	s_load_dwordx4 s[8:11], s[4:5], 0x30
	s_mov_b32 s25, 0
	v_cmp_eq_u32_e64 s[0:1], 0, v17
	s_waitcnt lgkmcnt(0)
	s_bitcmp1_b32 s11, 0
	s_cselect_b64 vcc, -1, 0
	s_cmp_gt_i32 s8, 0
	s_cselect_b64 s[6:7], -1, 0
	s_cmp_lt_i32 s8, 1
	s_cbranch_scc1 .LBB360_20
; %bb.7:
	v_mbcnt_lo_u32_b32 v19, -1, 0
	v_mbcnt_hi_u32_b32 v19, -1, v19
	s_load_dwordx4 s[12:15], s[4:5], 0x20
	v_and_b32_e32 v21, 0x7e, v19
	v_xor_b32_e32 v20, 1, v19
	v_add_u32_e32 v21, 2, v21
	v_cmp_lt_i32_e64 s[2:3], v20, v21
	v_cndmask_b32_e64 v19, v19, v20, s[2:3]
	v_lshlrev_b32_e32 v20, 2, v19
	v_mul_lo_u32 v21, v16, s8
	v_mov_b32_e32 v19, 0
	v_mov_b32_e32 v22, 0xc61c4000
	;; [unrolled: 1-line block ×3, first 2 shown]
	s_branch .LBB360_10
.LBB360_8:                              ;   in Loop: Header=BB360_10 Depth=1
	s_or_b64 exec, exec, s[4:5]
.LBB360_9:                              ;   in Loop: Header=BB360_10 Depth=1
	s_cmp_eq_u32 s8, s25
	v_add_u32_e32 v23, s24, v23
	s_cbranch_scc1 .LBB360_21
.LBB360_10:                             ; =>This Inner Loop Header: Depth=1
	v_cmp_gt_f32_e64 s[2:3], v9, v8
	v_cndmask_b32_e64 v26, v8, v9, s[2:3]
	v_cndmask_b32_e64 v24, 0, 1, s[2:3]
	v_cndmask_b32_e64 v25, v0, v1, s[2:3]
	v_cmp_gt_f32_e64 s[2:3], v10, v26
	v_cndmask_b32_e64 v26, v26, v10, s[2:3]
	v_cndmask_b32_e64 v24, v24, 2, s[2:3]
	v_cndmask_b32_e64 v25, v25, v2, s[2:3]
	;; [unrolled: 4-line block ×6, first 2 shown]
	v_cmp_gt_f32_e64 s[2:3], v15, v26
	v_cndmask_b32_e64 v24, v24, 7, s[2:3]
	v_cndmask_b32_e64 v28, v26, v15, s[2:3]
	v_or_b32_e32 v24, v18, v24
	v_cndmask_b32_e64 v25, v25, v7, s[2:3]
	ds_bpermute_b32 v29, v20, v28
	ds_bpermute_b32 v26, v20, v25
	;; [unrolled: 1-line block ×3, first 2 shown]
	s_waitcnt lgkmcnt(0)
	v_cmp_lt_f32_e64 s[20:21], v28, v29
	v_cmp_nlt_f32_e64 s[2:3], v28, v29
	s_and_saveexec_b64 s[22:23], s[2:3]
	s_cbranch_execnz .LBB360_14
; %bb.11:                               ;   in Loop: Header=BB360_10 Depth=1
	s_or_b64 exec, exec, s[22:23]
	s_and_saveexec_b64 s[2:3], s[20:21]
	s_cbranch_execnz .LBB360_15
.LBB360_12:                             ;   in Loop: Header=BB360_10 Depth=1
	s_or_b64 exec, exec, s[2:3]
	s_and_saveexec_b64 s[20:21], s[0:1]
	s_cbranch_execnz .LBB360_16
.LBB360_13:                             ;   in Loop: Header=BB360_10 Depth=1
	s_or_b64 exec, exec, s[20:21]
	s_add_i32 s25, s25, 1
	s_cmp_ge_i32 s25, s8
	s_cbranch_scc1 .LBB360_9
	s_branch .LBB360_17
.LBB360_14:                             ;   in Loop: Header=BB360_10 Depth=1
	v_cmp_eq_f32_e64 s[2:3], v28, v29
	v_cmp_lt_i32_e64 s[4:5], v27, v24
	s_and_b64 s[2:3], s[2:3], s[4:5]
	s_andn2_b64 s[4:5], s[20:21], exec
	s_and_b64 s[2:3], s[2:3], exec
	s_or_b64 s[20:21], s[4:5], s[2:3]
	s_or_b64 exec, exec, s[22:23]
	s_and_saveexec_b64 s[2:3], s[20:21]
	s_cbranch_execz .LBB360_12
.LBB360_15:                             ;   in Loop: Header=BB360_10 Depth=1
	v_mov_b32_e32 v24, v27
	v_mov_b32_e32 v25, v26
	s_or_b64 exec, exec, s[2:3]
	s_and_saveexec_b64 s[20:21], s[0:1]
	s_cbranch_execz .LBB360_13
.LBB360_16:                             ;   in Loop: Header=BB360_10 Depth=1
	v_add_u32_e32 v26, s25, v21
	v_ashrrev_i32_e32 v27, 31, v26
	v_cmp_le_i32_e64 s[2:3], s9, v24
	v_cmp_gt_i32_e64 s[4:5], s10, v24
	v_lshlrev_b64 v[28:29], 2, v[26:27]
	s_and_b64 s[4:5], s[2:3], s[4:5]
	v_mov_b32_e32 v31, s17
	v_add_co_u32_e64 v30, s[2:3], s16, v28
	v_addc_co_u32_e64 v31, s[2:3], v31, v29, s[2:3]
	global_store_dword v[30:31], v25, off
	v_subrev_u32_e32 v30, s9, v24
	v_ashrrev_i32_e32 v31, 31, v30
	s_and_b64 s[2:3], s[18:19], s[4:5]
	v_lshlrev_b64 v[26:27], 3, v[26:27]
	v_cndmask_b32_e64 v31, 0, v31, s[2:3]
	v_cndmask_b32_e64 v30, 16, v30, s[2:3]
	v_mov_b32_e32 v32, s13
	v_add_co_u32_e64 v26, s[2:3], s12, v26
	v_addc_co_u32_e64 v27, s[2:3], v32, v27, s[2:3]
	global_store_dwordx2 v[26:27], v[30:31], off
	v_mov_b32_e32 v27, s15
	v_add_co_u32_e64 v26, s[2:3], s14, v28
	v_add_f32_e32 v25, v19, v25
	v_addc_co_u32_e64 v27, s[2:3], v27, v29, s[2:3]
	v_cndmask_b32_e32 v19, v19, v25, vcc
	global_store_dword v[26:27], v23, off
	s_or_b64 exec, exec, s[20:21]
	s_add_i32 s25, s25, 1
	s_cmp_ge_i32 s25, s8
	s_cbranch_scc1 .LBB360_9
.LBB360_17:                             ;   in Loop: Header=BB360_10 Depth=1
	v_ashrrev_i32_e32 v26, 31, v24
	v_lshrrev_b32_e32 v25, 29, v26
	v_add_u32_e32 v27, v24, v25
	v_ashrrev_i32_e32 v25, 3, v27
	v_lshrrev_b32_e32 v27, 31, v27
	v_add_u32_e32 v27, v25, v27
	v_and_b32_e32 v27, -2, v27
	v_sub_u32_e32 v27, v25, v27
	v_cmp_eq_u32_e64 s[2:3], v17, v27
	s_and_saveexec_b64 s[4:5], s[2:3]
	s_cbranch_execz .LBB360_8
; %bb.18:                               ;   in Loop: Header=BB360_10 Depth=1
	v_lshrrev_b32_e32 v26, 28, v26
	v_add_u32_e32 v26, v24, v26
	v_lshlrev_b32_e32 v25, 3, v25
	v_ashrrev_i32_e32 v26, 4, v26
	v_sub_u32_e32 v24, v24, v25
	v_lshl_add_u32 v24, v26, 3, v24
	v_cmp_ne_u32_e64 s[2:3], 7, v24
	v_cndmask_b32_e64 v15, v22, v15, s[2:3]
	v_cmp_ne_u32_e64 s[2:3], 6, v24
	v_cndmask_b32_e64 v14, v22, v14, s[2:3]
	;; [unrolled: 2-line block ×8, first 2 shown]
	s_branch .LBB360_8
.LBB360_19:
                                        ; implicit-def: $vgpr8_vgpr9_vgpr10_vgpr11_vgpr12_vgpr13_vgpr14_vgpr15
	s_andn2_b64 vcc, exec, s[8:9]
	s_cbranch_vccz .LBB360_5
	s_branch .LBB360_6
.LBB360_20:
	v_mov_b32_e32 v19, 0
.LBB360_21:
	v_cmp_eq_u32_e64 s[0:1], 0, v17
	s_and_b64 s[0:1], s[0:1], vcc
	s_and_b64 exec, exec, s[0:1]
	s_cbranch_execz .LBB360_30
; %bb.22:
	s_andn2_b64 vcc, exec, s[6:7]
	s_cbranch_vccnz .LBB360_30
; %bb.23:
	v_cmp_lt_f32_e32 vcc, 0, v19
	s_mov_b32 s2, 0
	v_cndmask_b32_e32 v0, 1.0, v19, vcc
	v_mul_lo_u32 v4, v16, s8
	s_cmp_eq_u32 s8, 1
	s_mov_b64 s[0:1], -1
	s_cbranch_scc1 .LBB360_27
; %bb.24:
	s_and_b32 s2, s8, 0x7ffffffe
	v_mov_b32_e32 v1, v0
	v_mov_b32_e32 v5, s17
	s_mov_b32 s3, s2
	v_mov_b32_e32 v2, v4
.LBB360_25:                             ; =>This Inner Loop Header: Depth=1
	v_ashrrev_i32_e32 v3, 31, v2
	v_lshlrev_b64 v[6:7], 2, v[2:3]
	v_add_co_u32_e32 v6, vcc, s16, v6
	v_addc_co_u32_e32 v7, vcc, v5, v7, vcc
	global_load_dwordx2 v[8:9], v[6:7], off
	s_add_i32 s3, s3, -2
	s_cmp_lg_u32 s3, 0
	v_add_u32_e32 v2, 2, v2
	s_waitcnt vmcnt(0)
	v_div_scale_f32 v3, s[0:1], v1, v1, v9
	v_div_scale_f32 v11, s[0:1], v0, v0, v8
	v_rcp_f32_e32 v12, v3
	v_rcp_f32_e32 v13, v11
	v_div_scale_f32 v10, vcc, v9, v1, v9
	v_fma_f32 v15, -v3, v12, 1.0
	v_fma_f32 v16, -v11, v13, 1.0
	v_fmac_f32_e32 v12, v15, v12
	v_div_scale_f32 v14, s[0:1], v8, v0, v8
	v_fmac_f32_e32 v13, v16, v13
	v_mul_f32_e32 v15, v10, v12
	v_mul_f32_e32 v16, v14, v13
	v_fma_f32 v17, -v3, v15, v10
	v_fma_f32 v18, -v11, v16, v14
	v_fmac_f32_e32 v15, v17, v12
	v_fmac_f32_e32 v16, v18, v13
	v_fma_f32 v3, -v3, v15, v10
	v_fma_f32 v10, -v11, v16, v14
	v_div_fmas_f32 v3, v3, v12, v15
	s_mov_b64 vcc, s[0:1]
	v_div_fixup_f32 v9, v3, v1, v9
	v_div_fmas_f32 v3, v10, v13, v16
	v_div_fixup_f32 v8, v3, v0, v8
	global_store_dwordx2 v[6:7], v[8:9], off
	s_cbranch_scc1 .LBB360_25
; %bb.26:
	s_cmp_lg_u32 s2, s8
	s_cselect_b64 s[0:1], -1, 0
.LBB360_27:
	s_and_b64 vcc, exec, s[0:1]
	s_cbranch_vccz .LBB360_30
; %bb.28:
	v_ashrrev_i32_e32 v1, 31, v4
	v_add_co_u32_e32 v2, vcc, s2, v4
	v_addc_co_u32_e32 v3, vcc, 0, v1, vcc
	v_lshlrev_b64 v[2:3], 2, v[2:3]
	v_mov_b32_e32 v1, s17
	v_add_co_u32_e32 v2, vcc, s16, v2
	s_sub_i32 s0, s8, s2
	v_addc_co_u32_e32 v3, vcc, v1, v3, vcc
.LBB360_29:                             ; =>This Inner Loop Header: Depth=1
	global_load_dword v1, v[2:3], off
	s_add_i32 s0, s0, -1
	s_cmp_lg_u32 s0, 0
	s_waitcnt vmcnt(0)
	v_div_scale_f32 v4, s[2:3], v0, v0, v1
	v_rcp_f32_e32 v5, v4
	v_div_scale_f32 v6, vcc, v1, v0, v1
	v_fma_f32 v7, -v4, v5, 1.0
	v_fmac_f32_e32 v5, v7, v5
	v_mul_f32_e32 v7, v6, v5
	v_fma_f32 v8, -v4, v7, v6
	v_fmac_f32_e32 v7, v8, v5
	v_fma_f32 v4, -v4, v7, v6
	v_div_fmas_f32 v4, v4, v5, v7
	v_div_fixup_f32 v1, v4, v0, v1
	global_store_dword v[2:3], v1, off
	v_add_co_u32_e32 v2, vcc, 4, v2
	v_addc_co_u32_e32 v3, vcc, 0, v3, vcc
	s_cbranch_scc1 .LBB360_29
.LBB360_30:
	s_endpgm
	.section	.rodata,"a",@progbits
	.p2align	6, 0x0
	.amdhsa_kernel _ZN4vllm3moe10topkGatingILi8ELi16ELi4ELi16ELi32El14__hip_bfloat16LNS0_11ScoringFuncE1EEEvPKT5_PKbPfiPT4_PiiiibPKf
		.amdhsa_group_segment_fixed_size 0
		.amdhsa_private_segment_fixed_size 0
		.amdhsa_kernarg_size 72
		.amdhsa_user_sgpr_count 6
		.amdhsa_user_sgpr_private_segment_buffer 1
		.amdhsa_user_sgpr_dispatch_ptr 0
		.amdhsa_user_sgpr_queue_ptr 0
		.amdhsa_user_sgpr_kernarg_segment_ptr 1
		.amdhsa_user_sgpr_dispatch_id 0
		.amdhsa_user_sgpr_flat_scratch_init 0
		.amdhsa_user_sgpr_kernarg_preload_length 0
		.amdhsa_user_sgpr_kernarg_preload_offset 0
		.amdhsa_user_sgpr_private_segment_size 0
		.amdhsa_uses_dynamic_stack 0
		.amdhsa_system_sgpr_private_segment_wavefront_offset 0
		.amdhsa_system_sgpr_workgroup_id_x 1
		.amdhsa_system_sgpr_workgroup_id_y 0
		.amdhsa_system_sgpr_workgroup_id_z 0
		.amdhsa_system_sgpr_workgroup_info 0
		.amdhsa_system_vgpr_workitem_id 1
		.amdhsa_next_free_vgpr 34
		.amdhsa_next_free_sgpr 26
		.amdhsa_accum_offset 36
		.amdhsa_reserve_vcc 1
		.amdhsa_reserve_flat_scratch 0
		.amdhsa_float_round_mode_32 0
		.amdhsa_float_round_mode_16_64 0
		.amdhsa_float_denorm_mode_32 3
		.amdhsa_float_denorm_mode_16_64 3
		.amdhsa_dx10_clamp 1
		.amdhsa_ieee_mode 1
		.amdhsa_fp16_overflow 0
		.amdhsa_tg_split 0
		.amdhsa_exception_fp_ieee_invalid_op 0
		.amdhsa_exception_fp_denorm_src 0
		.amdhsa_exception_fp_ieee_div_zero 0
		.amdhsa_exception_fp_ieee_overflow 0
		.amdhsa_exception_fp_ieee_underflow 0
		.amdhsa_exception_fp_ieee_inexact 0
		.amdhsa_exception_int_div_zero 0
	.end_amdhsa_kernel
	.section	.text._ZN4vllm3moe10topkGatingILi8ELi16ELi4ELi16ELi32El14__hip_bfloat16LNS0_11ScoringFuncE1EEEvPKT5_PKbPfiPT4_PiiiibPKf,"axG",@progbits,_ZN4vllm3moe10topkGatingILi8ELi16ELi4ELi16ELi32El14__hip_bfloat16LNS0_11ScoringFuncE1EEEvPKT5_PKbPfiPT4_PiiiibPKf,comdat
.Lfunc_end360:
	.size	_ZN4vllm3moe10topkGatingILi8ELi16ELi4ELi16ELi32El14__hip_bfloat16LNS0_11ScoringFuncE1EEEvPKT5_PKbPfiPT4_PiiiibPKf, .Lfunc_end360-_ZN4vllm3moe10topkGatingILi8ELi16ELi4ELi16ELi32El14__hip_bfloat16LNS0_11ScoringFuncE1EEEvPKT5_PKbPfiPT4_PiiiibPKf
                                        ; -- End function
	.section	.AMDGPU.csdata,"",@progbits
; Kernel info:
; codeLenInByte = 2584
; NumSgprs: 30
; NumVgprs: 34
; NumAgprs: 0
; TotalNumVgprs: 34
; ScratchSize: 0
; MemoryBound: 0
; FloatMode: 240
; IeeeMode: 1
; LDSByteSize: 0 bytes/workgroup (compile time only)
; SGPRBlocks: 3
; VGPRBlocks: 4
; NumSGPRsForWavesPerEU: 30
; NumVGPRsForWavesPerEU: 34
; AccumOffset: 36
; Occupancy: 8
; WaveLimiterHint : 0
; COMPUTE_PGM_RSRC2:SCRATCH_EN: 0
; COMPUTE_PGM_RSRC2:USER_SGPR: 6
; COMPUTE_PGM_RSRC2:TRAP_HANDLER: 0
; COMPUTE_PGM_RSRC2:TGID_X_EN: 1
; COMPUTE_PGM_RSRC2:TGID_Y_EN: 0
; COMPUTE_PGM_RSRC2:TGID_Z_EN: 0
; COMPUTE_PGM_RSRC2:TIDIG_COMP_CNT: 1
; COMPUTE_PGM_RSRC3_GFX90A:ACCUM_OFFSET: 8
; COMPUTE_PGM_RSRC3_GFX90A:TG_SPLIT: 0
	.section	.text._ZN4vllm3moe10topkGatingILi8ELi32ELi4ELi16ELi64El14__hip_bfloat16LNS0_11ScoringFuncE1EEEvPKT5_PKbPfiPT4_PiiiibPKf,"axG",@progbits,_ZN4vllm3moe10topkGatingILi8ELi32ELi4ELi16ELi64El14__hip_bfloat16LNS0_11ScoringFuncE1EEEvPKT5_PKbPfiPT4_PiiiibPKf,comdat
	.protected	_ZN4vllm3moe10topkGatingILi8ELi32ELi4ELi16ELi64El14__hip_bfloat16LNS0_11ScoringFuncE1EEEvPKT5_PKbPfiPT4_PiiiibPKf ; -- Begin function _ZN4vllm3moe10topkGatingILi8ELi32ELi4ELi16ELi64El14__hip_bfloat16LNS0_11ScoringFuncE1EEEvPKT5_PKbPfiPT4_PiiiibPKf
	.globl	_ZN4vllm3moe10topkGatingILi8ELi32ELi4ELi16ELi64El14__hip_bfloat16LNS0_11ScoringFuncE1EEEvPKT5_PKbPfiPT4_PiiiibPKf
	.p2align	8
	.type	_ZN4vllm3moe10topkGatingILi8ELi32ELi4ELi16ELi64El14__hip_bfloat16LNS0_11ScoringFuncE1EEEvPKT5_PKbPfiPT4_PiiiibPKf,@function
_ZN4vllm3moe10topkGatingILi8ELi32ELi4ELi16ELi64El14__hip_bfloat16LNS0_11ScoringFuncE1EEEvPKT5_PKbPfiPT4_PiiiibPKf: ; @_ZN4vllm3moe10topkGatingILi8ELi32ELi4ELi16ELi64El14__hip_bfloat16LNS0_11ScoringFuncE1EEEvPKT5_PKbPfiPT4_PiiiibPKf
; %bb.0:
	s_load_dword s24, s[4:5], 0x18
	v_bfe_u32 v1, v0, 10, 10
	v_and_b32_e32 v0, 0x3ff, v0
	s_lshl_b32 s0, s6, 6
	v_lshlrev_b32_e32 v1, 4, v1
	v_lshrrev_b32_e32 v2, 2, v0
	v_add3_u32 v16, s0, v1, v2
	s_waitcnt lgkmcnt(0)
	v_cmp_gt_i32_e32 vcc, s24, v16
	s_and_saveexec_b64 s[0:1], vcc
	s_cbranch_execz .LBB361_34
; %bb.1:
	s_load_dwordx4 s[0:3], s[4:5], 0x0
	s_load_dwordx2 s[16:17], s[4:5], 0x10
	s_mov_b64 s[8:9], -1
	s_mov_b64 s[18:19], -1
	s_waitcnt lgkmcnt(0)
	s_cmp_eq_u64 s[2:3], 0
	s_cbranch_scc1 .LBB361_3
; %bb.2:
	v_ashrrev_i32_e32 v1, 31, v16
	v_mov_b32_e32 v3, s3
	v_add_co_u32_e32 v2, vcc, s2, v16
	v_addc_co_u32_e32 v3, vcc, v3, v1, vcc
	global_load_ubyte v1, v[2:3], off
	s_waitcnt vmcnt(0)
	v_and_b32_e32 v1, 1, v1
	v_cmp_eq_u32_e32 vcc, 1, v1
	s_xor_b64 s[2:3], vcc, -1
	s_orn2_b64 s[18:19], s[2:3], exec
.LBB361_3:
	v_lshlrev_b32_e32 v2, 5, v16
	v_ashrrev_i32_e32 v3, 31, v2
	v_lshlrev_b64 v[2:3], 1, v[2:3]
	v_mov_b32_e32 v1, s1
	v_add_co_u32_e32 v2, vcc, s0, v2
	v_and_b32_e32 v17, 3, v0
	v_addc_co_u32_e32 v1, vcc, v1, v3, vcc
	v_lshlrev_b32_e32 v0, 4, v17
	v_add_co_u32_e32 v0, vcc, v2, v0
	v_addc_co_u32_e32 v1, vcc, 0, v1, vcc
	global_load_dwordx4 v[0:3], v[0:1], off
	v_mov_b32_e32 v8, 0x207
	s_load_dwordx2 s[10:11], s[4:5], 0x40
	v_lshlrev_b32_e32 v18, 3, v17
	s_waitcnt lgkmcnt(0)
	s_cmp_eq_u64 s[10:11], 0
	s_waitcnt vmcnt(0)
	v_lshlrev_b32_e32 v4, 16, v0
	v_and_b32_e32 v0, 0xffff0000, v0
	v_lshlrev_b32_e32 v5, 16, v1
	v_and_b32_e32 v1, 0xffff0000, v1
	v_mul_f32_e32 v4, 0xbfb8aa3b, v4
	v_mul_f32_e32 v9, 0xbfb8aa3b, v0
	;; [unrolled: 1-line block ×3, first 2 shown]
	v_exp_f32_e32 v0, v4
	v_exp_f32_e32 v1, v9
	v_lshlrev_b32_e32 v6, 16, v2
	v_and_b32_e32 v2, 0xffff0000, v2
	v_lshlrev_b32_e32 v7, 16, v3
	v_and_b32_e32 v3, 0xffff0000, v3
	v_mul_f32_e32 v5, 0xbfb8aa3b, v5
	v_mul_f32_e32 v11, 0xbfb8aa3b, v2
	;; [unrolled: 1-line block ×3, first 2 shown]
	v_exp_f32_e32 v2, v5
	v_exp_f32_e32 v3, v10
	v_pk_add_f32 v[0:1], v[0:1], 1.0 op_sel_hi:[1,0]
	v_div_scale_f32 v9, s[0:1], v1, v1, 1.0
	v_rcp_f32_e32 v21, v9
	v_exp_f32_e32 v5, v11
	v_div_scale_f32 v11, s[0:1], v0, v0, 1.0
	v_pk_add_f32 v[2:3], v[2:3], 1.0 op_sel_hi:[1,0]
	v_rcp_f32_e32 v22, v11
	v_div_scale_f32 v13, s[2:3], v3, v3, 1.0
	v_rcp_f32_e32 v23, v13
	v_fma_f32 v26, -v9, v21, 1.0
	v_div_scale_f32 v10, vcc, 1.0, v1, 1.0
	v_div_scale_f32 v15, s[6:7], v2, v2, 1.0
	v_fmac_f32_e32 v21, v26, v21
	v_mul_f32_e32 v6, 0xbfb8aa3b, v6
	v_mul_f32_e32 v7, 0xbfb8aa3b, v7
	v_rcp_f32_e32 v24, v15
	v_fma_f32 v27, -v11, v22, 1.0
	v_mul_f32_e32 v26, v10, v21
	v_exp_f32_e32 v4, v6
	v_exp_f32_e32 v6, v7
	;; [unrolled: 1-line block ×3, first 2 shown]
	v_div_scale_f32 v12, s[0:1], 1.0, v0, 1.0
	v_fmac_f32_e32 v22, v27, v22
	v_fma_f32 v30, -v9, v26, v10
	v_fma_f32 v28, -v13, v23, 1.0
	v_mul_f32_e32 v27, v12, v22
	v_fmac_f32_e32 v26, v30, v21
	v_div_scale_f32 v14, s[2:3], 1.0, v3, 1.0
	v_fmac_f32_e32 v23, v28, v23
	v_fma_f32 v31, -v11, v27, v12
	v_fma_f32 v9, -v9, v26, v10
	v_fma_f32 v29, -v15, v24, 1.0
	v_mul_f32_e32 v28, v14, v23
	v_fmac_f32_e32 v27, v31, v22
	v_div_fmas_f32 v9, v9, v21, v26
	v_div_scale_f32 v19, s[6:7], 1.0, v2, 1.0
	v_fmac_f32_e32 v24, v29, v24
	v_fma_f32 v32, -v13, v28, v14
	v_fma_f32 v10, -v11, v27, v12
	v_div_fixup_f32 v1, v9, v1, 1.0
	s_mov_b64 vcc, s[0:1]
	v_pk_add_f32 v[4:5], v[4:5], 1.0 op_sel_hi:[1,0]
	v_mul_f32_e32 v29, v19, v24
	v_fmac_f32_e32 v28, v32, v23
	v_div_fmas_f32 v9, v10, v22, v27
	v_cmp_class_f32_e32 vcc, v1, v8
	v_div_scale_f32 v20, s[12:13], v5, v5, 1.0
	v_fma_f32 v33, -v15, v29, v19
	v_fma_f32 v11, -v13, v28, v14
	v_div_fixup_f32 v0, v9, v0, 1.0
	v_cndmask_b32_e64 v1, v1, 0, vcc
	s_mov_b64 vcc, s[2:3]
	v_rcp_f32_e32 v25, v20
	v_fmac_f32_e32 v29, v33, v24
	v_div_fmas_f32 v9, v11, v23, v28
	v_cmp_class_f32_e32 vcc, v0, v8
	v_fma_f32 v12, -v15, v29, v19
	v_cndmask_b32_e64 v0, v0, 0, vcc
	s_mov_b64 vcc, s[6:7]
	v_div_fixup_f32 v3, v9, v3, 1.0
	v_div_fmas_f32 v9, v12, v24, v29
	v_div_fixup_f32 v2, v9, v2, 1.0
	v_cmp_class_f32_e32 vcc, v3, v8
	v_cndmask_b32_e64 v3, v3, 0, vcc
	v_cmp_class_f32_e32 vcc, v2, v8
	v_fma_f32 v9, -v20, v25, 1.0
	v_cndmask_b32_e64 v2, v2, 0, vcc
	v_fmac_f32_e32 v25, v9, v25
	v_div_scale_f32 v9, vcc, 1.0, v5, 1.0
	v_mul_f32_e32 v10, v9, v25
	v_fma_f32 v11, -v20, v10, v9
	v_fmac_f32_e32 v10, v11, v25
	v_div_scale_f32 v11, s[0:1], v4, v4, 1.0
	v_rcp_f32_e32 v12, v11
	v_fma_f32 v9, -v20, v10, v9
	v_div_fmas_f32 v9, v9, v25, v10
	v_div_fixup_f32 v5, v9, v5, 1.0
	v_fma_f32 v9, -v11, v12, 1.0
	v_fmac_f32_e32 v12, v9, v12
	v_div_scale_f32 v9, vcc, 1.0, v4, 1.0
	v_mul_f32_e32 v10, v9, v12
	v_fma_f32 v13, -v11, v10, v9
	v_fmac_f32_e32 v10, v13, v12
	v_fma_f32 v9, -v11, v10, v9
	v_div_fmas_f32 v9, v9, v12, v10
	v_pk_add_f32 v[6:7], v[6:7], 1.0 op_sel_hi:[1,0]
	v_div_fixup_f32 v4, v9, v4, 1.0
	v_div_scale_f32 v9, s[0:1], v7, v7, 1.0
	v_rcp_f32_e32 v10, v9
	v_cmp_class_f32_e32 vcc, v5, v8
	v_cndmask_b32_e64 v5, v5, 0, vcc
	v_cmp_class_f32_e32 vcc, v4, v8
	v_fma_f32 v11, -v9, v10, 1.0
	v_cndmask_b32_e64 v4, v4, 0, vcc
	v_fmac_f32_e32 v10, v11, v10
	v_div_scale_f32 v11, vcc, 1.0, v7, 1.0
	v_mul_f32_e32 v12, v11, v10
	v_fma_f32 v13, -v9, v12, v11
	v_fmac_f32_e32 v12, v13, v10
	v_fma_f32 v9, -v9, v12, v11
	v_div_scale_f32 v11, s[0:1], v6, v6, 1.0
	v_rcp_f32_e32 v13, v11
	v_div_fmas_f32 v9, v9, v10, v12
	v_div_fixup_f32 v7, v9, v7, 1.0
	v_fma_f32 v9, -v11, v13, 1.0
	v_fmac_f32_e32 v13, v9, v13
	v_div_scale_f32 v9, vcc, 1.0, v6, 1.0
	v_mul_f32_e32 v10, v9, v13
	v_fma_f32 v12, -v11, v10, v9
	v_fmac_f32_e32 v10, v12, v13
	v_fma_f32 v9, -v11, v10, v9
	v_div_fmas_f32 v9, v9, v13, v10
	v_div_fixup_f32 v6, v9, v6, 1.0
	v_cmp_class_f32_e32 vcc, v7, v8
	v_cndmask_b32_e64 v7, v7, 0, vcc
	v_cmp_class_f32_e32 vcc, v6, v8
	v_cndmask_b32_e64 v6, v6, 0, vcc
	s_cbranch_scc1 .LBB361_23
; %bb.4:
	v_lshlrev_b32_e32 v19, 2, v18
	global_load_dwordx4 v[8:11], v19, s[10:11]
	global_load_dwordx4 v[12:15], v19, s[10:11] offset:16
	s_waitcnt vmcnt(1)
	v_pk_add_f32 v[8:9], v[8:9], v[0:1]
	v_pk_add_f32 v[10:11], v[10:11], v[2:3]
	s_waitcnt vmcnt(0)
	v_pk_add_f32 v[12:13], v[12:13], v[4:5]
	v_pk_add_f32 v[14:15], v[14:15], v[6:7]
	s_cbranch_execnz .LBB361_6
.LBB361_5:
	v_pk_mov_b32 v[14:15], v[6:7], v[6:7] op_sel:[0,1]
	v_pk_mov_b32 v[12:13], v[4:5], v[4:5] op_sel:[0,1]
	;; [unrolled: 1-line block ×4, first 2 shown]
.LBB361_6:
	s_load_dwordx4 s[8:11], s[4:5], 0x30
	s_mov_b32 s25, 0
	v_cmp_eq_u32_e64 s[0:1], 0, v17
	s_waitcnt lgkmcnt(0)
	s_bitcmp1_b32 s11, 0
	s_cselect_b64 vcc, -1, 0
	s_cmp_gt_i32 s8, 0
	s_cselect_b64 s[6:7], -1, 0
	s_cmp_lt_i32 s8, 1
	s_cbranch_scc1 .LBB361_24
; %bb.7:
	v_mbcnt_lo_u32_b32 v19, -1, 0
	v_mbcnt_hi_u32_b32 v19, -1, v19
	v_and_b32_e32 v20, 0x7c, v19
	s_load_dwordx4 s[12:15], s[4:5], 0x20
	v_add_u32_e32 v22, 4, v20
	v_xor_b32_e32 v21, 2, v19
	v_cmp_lt_i32_e64 s[2:3], v21, v22
	v_xor_b32_e32 v23, 1, v19
	v_cndmask_b32_e64 v21, v19, v21, s[2:3]
	v_cmp_lt_i32_e64 s[2:3], v23, v22
	v_cndmask_b32_e64 v19, v19, v23, s[2:3]
	v_mul_lo_u32 v20, v16, s8
	v_lshlrev_b32_e32 v21, 2, v21
	v_lshlrev_b32_e32 v22, 2, v19
	v_mov_b32_e32 v19, 0
	v_mov_b32_e32 v23, 0xc61c4000
	;; [unrolled: 1-line block ×3, first 2 shown]
	s_branch .LBB361_10
.LBB361_8:                              ;   in Loop: Header=BB361_10 Depth=1
	s_or_b64 exec, exec, s[4:5]
.LBB361_9:                              ;   in Loop: Header=BB361_10 Depth=1
	s_cmp_eq_u32 s8, s25
	v_add_u32_e32 v24, s24, v24
	s_cbranch_scc1 .LBB361_25
.LBB361_10:                             ; =>This Inner Loop Header: Depth=1
	v_cmp_gt_f32_e64 s[2:3], v9, v8
	v_cndmask_b32_e64 v27, v8, v9, s[2:3]
	v_cndmask_b32_e64 v25, 0, 1, s[2:3]
	v_cndmask_b32_e64 v26, v0, v1, s[2:3]
	v_cmp_gt_f32_e64 s[2:3], v10, v27
	v_cndmask_b32_e64 v27, v27, v10, s[2:3]
	v_cndmask_b32_e64 v25, v25, 2, s[2:3]
	v_cndmask_b32_e64 v26, v26, v2, s[2:3]
	;; [unrolled: 4-line block ×6, first 2 shown]
	v_cmp_gt_f32_e64 s[2:3], v15, v27
	v_cndmask_b32_e64 v25, v25, 7, s[2:3]
	v_cndmask_b32_e64 v27, v27, v15, s[2:3]
	v_or_b32_e32 v25, v18, v25
	v_cndmask_b32_e64 v26, v26, v7, s[2:3]
	s_waitcnt lgkmcnt(0)
	ds_bpermute_b32 v28, v21, v27
	ds_bpermute_b32 v30, v21, v26
	;; [unrolled: 1-line block ×3, first 2 shown]
	s_waitcnt lgkmcnt(0)
	v_cmp_lt_f32_e64 s[20:21], v27, v28
	v_cmp_nlt_f32_e64 s[2:3], v27, v28
	s_and_saveexec_b64 s[22:23], s[2:3]
; %bb.11:                               ;   in Loop: Header=BB361_10 Depth=1
	v_cmp_eq_f32_e64 s[2:3], v27, v28
	v_cmp_lt_i32_e64 s[4:5], v29, v25
	s_and_b64 s[2:3], s[2:3], s[4:5]
	s_andn2_b64 s[4:5], s[20:21], exec
	s_and_b64 s[2:3], s[2:3], exec
	s_or_b64 s[20:21], s[4:5], s[2:3]
; %bb.12:                               ;   in Loop: Header=BB361_10 Depth=1
	s_or_b64 exec, exec, s[22:23]
	s_and_saveexec_b64 s[2:3], s[20:21]
; %bb.13:                               ;   in Loop: Header=BB361_10 Depth=1
	v_mov_b32_e32 v26, v30
	v_mov_b32_e32 v27, v28
	;; [unrolled: 1-line block ×3, first 2 shown]
; %bb.14:                               ;   in Loop: Header=BB361_10 Depth=1
	s_or_b64 exec, exec, s[2:3]
	ds_bpermute_b32 v30, v22, v27
	ds_bpermute_b32 v28, v22, v26
	;; [unrolled: 1-line block ×3, first 2 shown]
	s_waitcnt lgkmcnt(2)
	v_cmp_lt_f32_e64 s[20:21], v27, v30
	v_cmp_nlt_f32_e64 s[2:3], v27, v30
	s_and_saveexec_b64 s[22:23], s[2:3]
	s_cbranch_execnz .LBB361_18
; %bb.15:                               ;   in Loop: Header=BB361_10 Depth=1
	s_or_b64 exec, exec, s[22:23]
	s_and_saveexec_b64 s[2:3], s[20:21]
	s_cbranch_execnz .LBB361_19
.LBB361_16:                             ;   in Loop: Header=BB361_10 Depth=1
	s_or_b64 exec, exec, s[2:3]
	s_and_saveexec_b64 s[20:21], s[0:1]
	s_cbranch_execnz .LBB361_20
.LBB361_17:                             ;   in Loop: Header=BB361_10 Depth=1
	s_or_b64 exec, exec, s[20:21]
	s_add_i32 s25, s25, 1
	s_cmp_ge_i32 s25, s8
	s_cbranch_scc1 .LBB361_9
	s_branch .LBB361_21
.LBB361_18:                             ;   in Loop: Header=BB361_10 Depth=1
	v_cmp_eq_f32_e64 s[2:3], v27, v30
	s_waitcnt lgkmcnt(0)
	v_cmp_lt_i32_e64 s[4:5], v29, v25
	s_and_b64 s[2:3], s[2:3], s[4:5]
	s_andn2_b64 s[4:5], s[20:21], exec
	s_and_b64 s[2:3], s[2:3], exec
	s_or_b64 s[20:21], s[4:5], s[2:3]
	s_or_b64 exec, exec, s[22:23]
	s_and_saveexec_b64 s[2:3], s[20:21]
	s_cbranch_execz .LBB361_16
.LBB361_19:                             ;   in Loop: Header=BB361_10 Depth=1
	s_waitcnt lgkmcnt(0)
	v_mov_b32_e32 v25, v29
	v_mov_b32_e32 v26, v28
	s_or_b64 exec, exec, s[2:3]
	s_and_saveexec_b64 s[20:21], s[0:1]
	s_cbranch_execz .LBB361_17
.LBB361_20:                             ;   in Loop: Header=BB361_10 Depth=1
	s_waitcnt lgkmcnt(1)
	v_add_u32_e32 v28, s25, v20
	s_waitcnt lgkmcnt(0)
	v_ashrrev_i32_e32 v29, 31, v28
	v_cmp_le_i32_e64 s[2:3], s9, v25
	v_cmp_gt_i32_e64 s[4:5], s10, v25
	v_lshlrev_b64 v[30:31], 2, v[28:29]
	s_and_b64 s[4:5], s[2:3], s[4:5]
	v_mov_b32_e32 v27, s17
	v_add_co_u32_e64 v32, s[2:3], s16, v30
	v_addc_co_u32_e64 v33, s[2:3], v27, v31, s[2:3]
	v_subrev_u32_e32 v27, s9, v25
	global_store_dword v[32:33], v26, off
	v_ashrrev_i32_e32 v32, 31, v27
	s_and_b64 s[2:3], s[18:19], s[4:5]
	v_lshlrev_b64 v[28:29], 3, v[28:29]
	v_cndmask_b32_e64 v33, 0, v32, s[2:3]
	v_cndmask_b32_e64 v32, 32, v27, s[2:3]
	v_mov_b32_e32 v27, s13
	v_add_co_u32_e64 v28, s[2:3], s12, v28
	v_addc_co_u32_e64 v29, s[2:3], v27, v29, s[2:3]
	global_store_dwordx2 v[28:29], v[32:33], off
	v_mov_b32_e32 v27, s15
	v_add_co_u32_e64 v28, s[2:3], s14, v30
	v_add_f32_e32 v26, v19, v26
	v_addc_co_u32_e64 v29, s[2:3], v27, v31, s[2:3]
	v_cndmask_b32_e32 v19, v19, v26, vcc
	global_store_dword v[28:29], v24, off
	s_or_b64 exec, exec, s[20:21]
	s_add_i32 s25, s25, 1
	s_cmp_ge_i32 s25, s8
	s_cbranch_scc1 .LBB361_9
.LBB361_21:                             ;   in Loop: Header=BB361_10 Depth=1
	v_ashrrev_i32_e32 v27, 31, v25
	v_lshrrev_b32_e32 v26, 29, v27
	v_add_u32_e32 v26, v25, v26
	v_ashrrev_i32_e32 v26, 3, v26
	s_waitcnt lgkmcnt(1)
	v_lshrrev_b32_e32 v28, 30, v26
	v_add_u32_e32 v28, v26, v28
	v_and_b32_e32 v28, -4, v28
	v_sub_u32_e32 v28, v26, v28
	v_cmp_eq_u32_e64 s[2:3], v17, v28
	s_and_saveexec_b64 s[4:5], s[2:3]
	s_cbranch_execz .LBB361_8
; %bb.22:                               ;   in Loop: Header=BB361_10 Depth=1
	v_lshrrev_b32_e32 v27, 27, v27
	v_add_u32_e32 v27, v25, v27
	v_lshlrev_b32_e32 v26, 3, v26
	v_ashrrev_i32_e32 v27, 5, v27
	v_sub_u32_e32 v25, v25, v26
	v_lshl_add_u32 v25, v27, 3, v25
	v_cmp_ne_u32_e64 s[2:3], 7, v25
	v_cndmask_b32_e64 v15, v23, v15, s[2:3]
	v_cmp_ne_u32_e64 s[2:3], 6, v25
	v_cndmask_b32_e64 v14, v23, v14, s[2:3]
	;; [unrolled: 2-line block ×8, first 2 shown]
	s_branch .LBB361_8
.LBB361_23:
                                        ; implicit-def: $vgpr8_vgpr9_vgpr10_vgpr11_vgpr12_vgpr13_vgpr14_vgpr15
	s_andn2_b64 vcc, exec, s[8:9]
	s_cbranch_vccz .LBB361_5
	s_branch .LBB361_6
.LBB361_24:
	v_mov_b32_e32 v19, 0
.LBB361_25:
	v_cmp_eq_u32_e64 s[0:1], 0, v17
	s_and_b64 s[0:1], s[0:1], vcc
	s_and_b64 exec, exec, s[0:1]
	s_cbranch_execz .LBB361_34
; %bb.26:
	s_andn2_b64 vcc, exec, s[6:7]
	s_cbranch_vccnz .LBB361_34
; %bb.27:
	v_cmp_lt_f32_e32 vcc, 0, v19
	s_mov_b32 s2, 0
	v_cndmask_b32_e32 v0, 1.0, v19, vcc
	v_mul_lo_u32 v4, v16, s8
	s_cmp_eq_u32 s8, 1
	s_mov_b64 s[0:1], -1
	s_cbranch_scc1 .LBB361_31
; %bb.28:
	s_and_b32 s2, s8, 0x7ffffffe
	v_mov_b32_e32 v1, v0
	v_mov_b32_e32 v5, s17
	s_mov_b32 s3, s2
	v_mov_b32_e32 v2, v4
.LBB361_29:                             ; =>This Inner Loop Header: Depth=1
	v_ashrrev_i32_e32 v3, 31, v2
	v_lshlrev_b64 v[6:7], 2, v[2:3]
	v_add_co_u32_e32 v6, vcc, s16, v6
	v_addc_co_u32_e32 v7, vcc, v5, v7, vcc
	global_load_dwordx2 v[8:9], v[6:7], off
	s_add_i32 s3, s3, -2
	s_cmp_lg_u32 s3, 0
	v_add_u32_e32 v2, 2, v2
	s_waitcnt vmcnt(0)
	v_div_scale_f32 v3, s[0:1], v1, v1, v9
	v_div_scale_f32 v11, s[0:1], v0, v0, v8
	v_rcp_f32_e32 v12, v3
	v_rcp_f32_e32 v13, v11
	v_div_scale_f32 v10, vcc, v9, v1, v9
	v_fma_f32 v15, -v3, v12, 1.0
	v_fma_f32 v16, -v11, v13, 1.0
	v_fmac_f32_e32 v12, v15, v12
	v_div_scale_f32 v14, s[0:1], v8, v0, v8
	v_fmac_f32_e32 v13, v16, v13
	v_mul_f32_e32 v15, v10, v12
	v_mul_f32_e32 v16, v14, v13
	v_fma_f32 v17, -v3, v15, v10
	v_fma_f32 v18, -v11, v16, v14
	v_fmac_f32_e32 v15, v17, v12
	v_fmac_f32_e32 v16, v18, v13
	v_fma_f32 v3, -v3, v15, v10
	v_fma_f32 v10, -v11, v16, v14
	v_div_fmas_f32 v3, v3, v12, v15
	s_mov_b64 vcc, s[0:1]
	v_div_fixup_f32 v9, v3, v1, v9
	v_div_fmas_f32 v3, v10, v13, v16
	v_div_fixup_f32 v8, v3, v0, v8
	global_store_dwordx2 v[6:7], v[8:9], off
	s_cbranch_scc1 .LBB361_29
; %bb.30:
	s_cmp_lg_u32 s2, s8
	s_cselect_b64 s[0:1], -1, 0
.LBB361_31:
	s_and_b64 vcc, exec, s[0:1]
	s_cbranch_vccz .LBB361_34
; %bb.32:
	v_ashrrev_i32_e32 v1, 31, v4
	v_add_co_u32_e32 v2, vcc, s2, v4
	v_addc_co_u32_e32 v3, vcc, 0, v1, vcc
	v_lshlrev_b64 v[2:3], 2, v[2:3]
	v_mov_b32_e32 v1, s17
	v_add_co_u32_e32 v2, vcc, s16, v2
	s_sub_i32 s0, s8, s2
	v_addc_co_u32_e32 v3, vcc, v1, v3, vcc
.LBB361_33:                             ; =>This Inner Loop Header: Depth=1
	global_load_dword v1, v[2:3], off
	s_add_i32 s0, s0, -1
	s_cmp_lg_u32 s0, 0
	s_waitcnt vmcnt(0)
	v_div_scale_f32 v4, s[2:3], v0, v0, v1
	v_rcp_f32_e32 v5, v4
	v_div_scale_f32 v6, vcc, v1, v0, v1
	v_fma_f32 v7, -v4, v5, 1.0
	v_fmac_f32_e32 v5, v7, v5
	v_mul_f32_e32 v7, v6, v5
	v_fma_f32 v8, -v4, v7, v6
	v_fmac_f32_e32 v7, v8, v5
	v_fma_f32 v4, -v4, v7, v6
	v_div_fmas_f32 v4, v4, v5, v7
	v_div_fixup_f32 v1, v4, v0, v1
	global_store_dword v[2:3], v1, off
	v_add_co_u32_e32 v2, vcc, 4, v2
	v_addc_co_u32_e32 v3, vcc, 0, v3, vcc
	s_cbranch_scc1 .LBB361_33
.LBB361_34:
	s_endpgm
	.section	.rodata,"a",@progbits
	.p2align	6, 0x0
	.amdhsa_kernel _ZN4vllm3moe10topkGatingILi8ELi32ELi4ELi16ELi64El14__hip_bfloat16LNS0_11ScoringFuncE1EEEvPKT5_PKbPfiPT4_PiiiibPKf
		.amdhsa_group_segment_fixed_size 0
		.amdhsa_private_segment_fixed_size 0
		.amdhsa_kernarg_size 72
		.amdhsa_user_sgpr_count 6
		.amdhsa_user_sgpr_private_segment_buffer 1
		.amdhsa_user_sgpr_dispatch_ptr 0
		.amdhsa_user_sgpr_queue_ptr 0
		.amdhsa_user_sgpr_kernarg_segment_ptr 1
		.amdhsa_user_sgpr_dispatch_id 0
		.amdhsa_user_sgpr_flat_scratch_init 0
		.amdhsa_user_sgpr_kernarg_preload_length 0
		.amdhsa_user_sgpr_kernarg_preload_offset 0
		.amdhsa_user_sgpr_private_segment_size 0
		.amdhsa_uses_dynamic_stack 0
		.amdhsa_system_sgpr_private_segment_wavefront_offset 0
		.amdhsa_system_sgpr_workgroup_id_x 1
		.amdhsa_system_sgpr_workgroup_id_y 0
		.amdhsa_system_sgpr_workgroup_id_z 0
		.amdhsa_system_sgpr_workgroup_info 0
		.amdhsa_system_vgpr_workitem_id 1
		.amdhsa_next_free_vgpr 34
		.amdhsa_next_free_sgpr 26
		.amdhsa_accum_offset 36
		.amdhsa_reserve_vcc 1
		.amdhsa_reserve_flat_scratch 0
		.amdhsa_float_round_mode_32 0
		.amdhsa_float_round_mode_16_64 0
		.amdhsa_float_denorm_mode_32 3
		.amdhsa_float_denorm_mode_16_64 3
		.amdhsa_dx10_clamp 1
		.amdhsa_ieee_mode 1
		.amdhsa_fp16_overflow 0
		.amdhsa_tg_split 0
		.amdhsa_exception_fp_ieee_invalid_op 0
		.amdhsa_exception_fp_denorm_src 0
		.amdhsa_exception_fp_ieee_div_zero 0
		.amdhsa_exception_fp_ieee_overflow 0
		.amdhsa_exception_fp_ieee_underflow 0
		.amdhsa_exception_fp_ieee_inexact 0
		.amdhsa_exception_int_div_zero 0
	.end_amdhsa_kernel
	.section	.text._ZN4vllm3moe10topkGatingILi8ELi32ELi4ELi16ELi64El14__hip_bfloat16LNS0_11ScoringFuncE1EEEvPKT5_PKbPfiPT4_PiiiibPKf,"axG",@progbits,_ZN4vllm3moe10topkGatingILi8ELi32ELi4ELi16ELi64El14__hip_bfloat16LNS0_11ScoringFuncE1EEEvPKT5_PKbPfiPT4_PiiiibPKf,comdat
.Lfunc_end361:
	.size	_ZN4vllm3moe10topkGatingILi8ELi32ELi4ELi16ELi64El14__hip_bfloat16LNS0_11ScoringFuncE1EEEvPKT5_PKbPfiPT4_PiiiibPKf, .Lfunc_end361-_ZN4vllm3moe10topkGatingILi8ELi32ELi4ELi16ELi64El14__hip_bfloat16LNS0_11ScoringFuncE1EEEvPKT5_PKbPfiPT4_PiiiibPKf
                                        ; -- End function
	.section	.AMDGPU.csdata,"",@progbits
; Kernel info:
; codeLenInByte = 2736
; NumSgprs: 30
; NumVgprs: 34
; NumAgprs: 0
; TotalNumVgprs: 34
; ScratchSize: 0
; MemoryBound: 0
; FloatMode: 240
; IeeeMode: 1
; LDSByteSize: 0 bytes/workgroup (compile time only)
; SGPRBlocks: 3
; VGPRBlocks: 4
; NumSGPRsForWavesPerEU: 30
; NumVGPRsForWavesPerEU: 34
; AccumOffset: 36
; Occupancy: 8
; WaveLimiterHint : 0
; COMPUTE_PGM_RSRC2:SCRATCH_EN: 0
; COMPUTE_PGM_RSRC2:USER_SGPR: 6
; COMPUTE_PGM_RSRC2:TRAP_HANDLER: 0
; COMPUTE_PGM_RSRC2:TGID_X_EN: 1
; COMPUTE_PGM_RSRC2:TGID_Y_EN: 0
; COMPUTE_PGM_RSRC2:TGID_Z_EN: 0
; COMPUTE_PGM_RSRC2:TIDIG_COMP_CNT: 1
; COMPUTE_PGM_RSRC3_GFX90A:ACCUM_OFFSET: 8
; COMPUTE_PGM_RSRC3_GFX90A:TG_SPLIT: 0
	.section	.text._ZN4vllm3moe10topkGatingILi8ELi32ELi4ELi16ELi32El14__hip_bfloat16LNS0_11ScoringFuncE1EEEvPKT5_PKbPfiPT4_PiiiibPKf,"axG",@progbits,_ZN4vllm3moe10topkGatingILi8ELi32ELi4ELi16ELi32El14__hip_bfloat16LNS0_11ScoringFuncE1EEEvPKT5_PKbPfiPT4_PiiiibPKf,comdat
	.protected	_ZN4vllm3moe10topkGatingILi8ELi32ELi4ELi16ELi32El14__hip_bfloat16LNS0_11ScoringFuncE1EEEvPKT5_PKbPfiPT4_PiiiibPKf ; -- Begin function _ZN4vllm3moe10topkGatingILi8ELi32ELi4ELi16ELi32El14__hip_bfloat16LNS0_11ScoringFuncE1EEEvPKT5_PKbPfiPT4_PiiiibPKf
	.globl	_ZN4vllm3moe10topkGatingILi8ELi32ELi4ELi16ELi32El14__hip_bfloat16LNS0_11ScoringFuncE1EEEvPKT5_PKbPfiPT4_PiiiibPKf
	.p2align	8
	.type	_ZN4vllm3moe10topkGatingILi8ELi32ELi4ELi16ELi32El14__hip_bfloat16LNS0_11ScoringFuncE1EEEvPKT5_PKbPfiPT4_PiiiibPKf,@function
_ZN4vllm3moe10topkGatingILi8ELi32ELi4ELi16ELi32El14__hip_bfloat16LNS0_11ScoringFuncE1EEEvPKT5_PKbPfiPT4_PiiiibPKf: ; @_ZN4vllm3moe10topkGatingILi8ELi32ELi4ELi16ELi32El14__hip_bfloat16LNS0_11ScoringFuncE1EEEvPKT5_PKbPfiPT4_PiiiibPKf
; %bb.0:
	s_load_dword s24, s[4:5], 0x18
	v_bfe_u32 v1, v0, 10, 10
	v_and_b32_e32 v0, 0x3ff, v0
	s_lshl_b32 s0, s6, 5
	v_lshlrev_b32_e32 v1, 3, v1
	v_lshrrev_b32_e32 v2, 2, v0
	v_add3_u32 v16, s0, v1, v2
	s_waitcnt lgkmcnt(0)
	v_cmp_gt_i32_e32 vcc, s24, v16
	s_and_saveexec_b64 s[0:1], vcc
	s_cbranch_execz .LBB362_34
; %bb.1:
	s_load_dwordx4 s[0:3], s[4:5], 0x0
	s_load_dwordx2 s[16:17], s[4:5], 0x10
	s_mov_b64 s[8:9], -1
	s_mov_b64 s[18:19], -1
	s_waitcnt lgkmcnt(0)
	s_cmp_eq_u64 s[2:3], 0
	s_cbranch_scc1 .LBB362_3
; %bb.2:
	v_ashrrev_i32_e32 v1, 31, v16
	v_mov_b32_e32 v3, s3
	v_add_co_u32_e32 v2, vcc, s2, v16
	v_addc_co_u32_e32 v3, vcc, v3, v1, vcc
	global_load_ubyte v1, v[2:3], off
	s_waitcnt vmcnt(0)
	v_and_b32_e32 v1, 1, v1
	v_cmp_eq_u32_e32 vcc, 1, v1
	s_xor_b64 s[2:3], vcc, -1
	s_orn2_b64 s[18:19], s[2:3], exec
.LBB362_3:
	v_lshlrev_b32_e32 v2, 5, v16
	v_ashrrev_i32_e32 v3, 31, v2
	v_lshlrev_b64 v[2:3], 1, v[2:3]
	v_mov_b32_e32 v1, s1
	v_add_co_u32_e32 v2, vcc, s0, v2
	v_and_b32_e32 v17, 3, v0
	v_addc_co_u32_e32 v1, vcc, v1, v3, vcc
	v_lshlrev_b32_e32 v0, 4, v17
	v_add_co_u32_e32 v0, vcc, v2, v0
	v_addc_co_u32_e32 v1, vcc, 0, v1, vcc
	global_load_dwordx4 v[0:3], v[0:1], off
	v_mov_b32_e32 v8, 0x207
	s_load_dwordx2 s[10:11], s[4:5], 0x40
	v_lshlrev_b32_e32 v18, 3, v17
	s_waitcnt lgkmcnt(0)
	s_cmp_eq_u64 s[10:11], 0
	s_waitcnt vmcnt(0)
	v_lshlrev_b32_e32 v4, 16, v0
	v_and_b32_e32 v0, 0xffff0000, v0
	v_lshlrev_b32_e32 v5, 16, v1
	v_and_b32_e32 v1, 0xffff0000, v1
	v_mul_f32_e32 v4, 0xbfb8aa3b, v4
	v_mul_f32_e32 v9, 0xbfb8aa3b, v0
	;; [unrolled: 1-line block ×3, first 2 shown]
	v_exp_f32_e32 v0, v4
	v_exp_f32_e32 v1, v9
	v_lshlrev_b32_e32 v6, 16, v2
	v_and_b32_e32 v2, 0xffff0000, v2
	v_lshlrev_b32_e32 v7, 16, v3
	v_and_b32_e32 v3, 0xffff0000, v3
	v_mul_f32_e32 v5, 0xbfb8aa3b, v5
	v_mul_f32_e32 v11, 0xbfb8aa3b, v2
	;; [unrolled: 1-line block ×3, first 2 shown]
	v_exp_f32_e32 v2, v5
	v_exp_f32_e32 v3, v10
	v_pk_add_f32 v[0:1], v[0:1], 1.0 op_sel_hi:[1,0]
	v_div_scale_f32 v9, s[0:1], v1, v1, 1.0
	v_rcp_f32_e32 v21, v9
	v_exp_f32_e32 v5, v11
	v_div_scale_f32 v11, s[0:1], v0, v0, 1.0
	v_pk_add_f32 v[2:3], v[2:3], 1.0 op_sel_hi:[1,0]
	v_rcp_f32_e32 v22, v11
	v_div_scale_f32 v13, s[2:3], v3, v3, 1.0
	v_rcp_f32_e32 v23, v13
	v_fma_f32 v26, -v9, v21, 1.0
	v_div_scale_f32 v10, vcc, 1.0, v1, 1.0
	v_div_scale_f32 v15, s[6:7], v2, v2, 1.0
	v_fmac_f32_e32 v21, v26, v21
	v_mul_f32_e32 v6, 0xbfb8aa3b, v6
	v_mul_f32_e32 v7, 0xbfb8aa3b, v7
	v_rcp_f32_e32 v24, v15
	v_fma_f32 v27, -v11, v22, 1.0
	v_mul_f32_e32 v26, v10, v21
	v_exp_f32_e32 v4, v6
	v_exp_f32_e32 v6, v7
	;; [unrolled: 1-line block ×3, first 2 shown]
	v_div_scale_f32 v12, s[0:1], 1.0, v0, 1.0
	v_fmac_f32_e32 v22, v27, v22
	v_fma_f32 v30, -v9, v26, v10
	v_fma_f32 v28, -v13, v23, 1.0
	v_mul_f32_e32 v27, v12, v22
	v_fmac_f32_e32 v26, v30, v21
	v_div_scale_f32 v14, s[2:3], 1.0, v3, 1.0
	v_fmac_f32_e32 v23, v28, v23
	v_fma_f32 v31, -v11, v27, v12
	v_fma_f32 v9, -v9, v26, v10
	v_fma_f32 v29, -v15, v24, 1.0
	v_mul_f32_e32 v28, v14, v23
	v_fmac_f32_e32 v27, v31, v22
	v_div_fmas_f32 v9, v9, v21, v26
	v_div_scale_f32 v19, s[6:7], 1.0, v2, 1.0
	v_fmac_f32_e32 v24, v29, v24
	v_fma_f32 v32, -v13, v28, v14
	v_fma_f32 v10, -v11, v27, v12
	v_div_fixup_f32 v1, v9, v1, 1.0
	s_mov_b64 vcc, s[0:1]
	v_pk_add_f32 v[4:5], v[4:5], 1.0 op_sel_hi:[1,0]
	v_mul_f32_e32 v29, v19, v24
	v_fmac_f32_e32 v28, v32, v23
	v_div_fmas_f32 v9, v10, v22, v27
	v_cmp_class_f32_e32 vcc, v1, v8
	v_div_scale_f32 v20, s[12:13], v5, v5, 1.0
	v_fma_f32 v33, -v15, v29, v19
	v_fma_f32 v11, -v13, v28, v14
	v_div_fixup_f32 v0, v9, v0, 1.0
	v_cndmask_b32_e64 v1, v1, 0, vcc
	s_mov_b64 vcc, s[2:3]
	v_rcp_f32_e32 v25, v20
	v_fmac_f32_e32 v29, v33, v24
	v_div_fmas_f32 v9, v11, v23, v28
	v_cmp_class_f32_e32 vcc, v0, v8
	v_fma_f32 v12, -v15, v29, v19
	v_cndmask_b32_e64 v0, v0, 0, vcc
	s_mov_b64 vcc, s[6:7]
	v_div_fixup_f32 v3, v9, v3, 1.0
	v_div_fmas_f32 v9, v12, v24, v29
	v_div_fixup_f32 v2, v9, v2, 1.0
	v_cmp_class_f32_e32 vcc, v3, v8
	v_cndmask_b32_e64 v3, v3, 0, vcc
	v_cmp_class_f32_e32 vcc, v2, v8
	v_fma_f32 v9, -v20, v25, 1.0
	v_cndmask_b32_e64 v2, v2, 0, vcc
	v_fmac_f32_e32 v25, v9, v25
	v_div_scale_f32 v9, vcc, 1.0, v5, 1.0
	v_mul_f32_e32 v10, v9, v25
	v_fma_f32 v11, -v20, v10, v9
	v_fmac_f32_e32 v10, v11, v25
	v_div_scale_f32 v11, s[0:1], v4, v4, 1.0
	v_rcp_f32_e32 v12, v11
	v_fma_f32 v9, -v20, v10, v9
	v_div_fmas_f32 v9, v9, v25, v10
	v_div_fixup_f32 v5, v9, v5, 1.0
	v_fma_f32 v9, -v11, v12, 1.0
	v_fmac_f32_e32 v12, v9, v12
	v_div_scale_f32 v9, vcc, 1.0, v4, 1.0
	v_mul_f32_e32 v10, v9, v12
	v_fma_f32 v13, -v11, v10, v9
	v_fmac_f32_e32 v10, v13, v12
	v_fma_f32 v9, -v11, v10, v9
	v_div_fmas_f32 v9, v9, v12, v10
	v_pk_add_f32 v[6:7], v[6:7], 1.0 op_sel_hi:[1,0]
	v_div_fixup_f32 v4, v9, v4, 1.0
	v_div_scale_f32 v9, s[0:1], v7, v7, 1.0
	v_rcp_f32_e32 v10, v9
	v_cmp_class_f32_e32 vcc, v5, v8
	v_cndmask_b32_e64 v5, v5, 0, vcc
	v_cmp_class_f32_e32 vcc, v4, v8
	v_fma_f32 v11, -v9, v10, 1.0
	v_cndmask_b32_e64 v4, v4, 0, vcc
	v_fmac_f32_e32 v10, v11, v10
	v_div_scale_f32 v11, vcc, 1.0, v7, 1.0
	v_mul_f32_e32 v12, v11, v10
	v_fma_f32 v13, -v9, v12, v11
	v_fmac_f32_e32 v12, v13, v10
	v_fma_f32 v9, -v9, v12, v11
	v_div_scale_f32 v11, s[0:1], v6, v6, 1.0
	v_rcp_f32_e32 v13, v11
	v_div_fmas_f32 v9, v9, v10, v12
	v_div_fixup_f32 v7, v9, v7, 1.0
	v_fma_f32 v9, -v11, v13, 1.0
	v_fmac_f32_e32 v13, v9, v13
	v_div_scale_f32 v9, vcc, 1.0, v6, 1.0
	v_mul_f32_e32 v10, v9, v13
	v_fma_f32 v12, -v11, v10, v9
	v_fmac_f32_e32 v10, v12, v13
	v_fma_f32 v9, -v11, v10, v9
	v_div_fmas_f32 v9, v9, v13, v10
	v_div_fixup_f32 v6, v9, v6, 1.0
	v_cmp_class_f32_e32 vcc, v7, v8
	v_cndmask_b32_e64 v7, v7, 0, vcc
	v_cmp_class_f32_e32 vcc, v6, v8
	v_cndmask_b32_e64 v6, v6, 0, vcc
	s_cbranch_scc1 .LBB362_23
; %bb.4:
	v_lshlrev_b32_e32 v19, 2, v18
	global_load_dwordx4 v[8:11], v19, s[10:11]
	global_load_dwordx4 v[12:15], v19, s[10:11] offset:16
	s_waitcnt vmcnt(1)
	v_pk_add_f32 v[8:9], v[8:9], v[0:1]
	v_pk_add_f32 v[10:11], v[10:11], v[2:3]
	s_waitcnt vmcnt(0)
	v_pk_add_f32 v[12:13], v[12:13], v[4:5]
	v_pk_add_f32 v[14:15], v[14:15], v[6:7]
	s_cbranch_execnz .LBB362_6
.LBB362_5:
	v_pk_mov_b32 v[14:15], v[6:7], v[6:7] op_sel:[0,1]
	v_pk_mov_b32 v[12:13], v[4:5], v[4:5] op_sel:[0,1]
	;; [unrolled: 1-line block ×4, first 2 shown]
.LBB362_6:
	s_load_dwordx4 s[8:11], s[4:5], 0x30
	s_mov_b32 s25, 0
	v_cmp_eq_u32_e64 s[0:1], 0, v17
	s_waitcnt lgkmcnt(0)
	s_bitcmp1_b32 s11, 0
	s_cselect_b64 vcc, -1, 0
	s_cmp_gt_i32 s8, 0
	s_cselect_b64 s[6:7], -1, 0
	s_cmp_lt_i32 s8, 1
	s_cbranch_scc1 .LBB362_24
; %bb.7:
	v_mbcnt_lo_u32_b32 v19, -1, 0
	v_mbcnt_hi_u32_b32 v19, -1, v19
	v_and_b32_e32 v20, 0x7c, v19
	s_load_dwordx4 s[12:15], s[4:5], 0x20
	v_add_u32_e32 v22, 4, v20
	v_xor_b32_e32 v21, 2, v19
	v_cmp_lt_i32_e64 s[2:3], v21, v22
	v_xor_b32_e32 v23, 1, v19
	v_cndmask_b32_e64 v21, v19, v21, s[2:3]
	v_cmp_lt_i32_e64 s[2:3], v23, v22
	v_cndmask_b32_e64 v19, v19, v23, s[2:3]
	v_mul_lo_u32 v20, v16, s8
	v_lshlrev_b32_e32 v21, 2, v21
	v_lshlrev_b32_e32 v22, 2, v19
	v_mov_b32_e32 v19, 0
	v_mov_b32_e32 v23, 0xc61c4000
	v_mov_b32_e32 v24, v16
	s_branch .LBB362_10
.LBB362_8:                              ;   in Loop: Header=BB362_10 Depth=1
	s_or_b64 exec, exec, s[4:5]
.LBB362_9:                              ;   in Loop: Header=BB362_10 Depth=1
	s_cmp_eq_u32 s8, s25
	v_add_u32_e32 v24, s24, v24
	s_cbranch_scc1 .LBB362_25
.LBB362_10:                             ; =>This Inner Loop Header: Depth=1
	v_cmp_gt_f32_e64 s[2:3], v9, v8
	v_cndmask_b32_e64 v27, v8, v9, s[2:3]
	v_cndmask_b32_e64 v25, 0, 1, s[2:3]
	v_cndmask_b32_e64 v26, v0, v1, s[2:3]
	v_cmp_gt_f32_e64 s[2:3], v10, v27
	v_cndmask_b32_e64 v27, v27, v10, s[2:3]
	v_cndmask_b32_e64 v25, v25, 2, s[2:3]
	v_cndmask_b32_e64 v26, v26, v2, s[2:3]
	;; [unrolled: 4-line block ×6, first 2 shown]
	v_cmp_gt_f32_e64 s[2:3], v15, v27
	v_cndmask_b32_e64 v25, v25, 7, s[2:3]
	v_cndmask_b32_e64 v27, v27, v15, s[2:3]
	v_or_b32_e32 v25, v18, v25
	v_cndmask_b32_e64 v26, v26, v7, s[2:3]
	s_waitcnt lgkmcnt(0)
	ds_bpermute_b32 v28, v21, v27
	ds_bpermute_b32 v30, v21, v26
	;; [unrolled: 1-line block ×3, first 2 shown]
	s_waitcnt lgkmcnt(0)
	v_cmp_lt_f32_e64 s[20:21], v27, v28
	v_cmp_nlt_f32_e64 s[2:3], v27, v28
	s_and_saveexec_b64 s[22:23], s[2:3]
; %bb.11:                               ;   in Loop: Header=BB362_10 Depth=1
	v_cmp_eq_f32_e64 s[2:3], v27, v28
	v_cmp_lt_i32_e64 s[4:5], v29, v25
	s_and_b64 s[2:3], s[2:3], s[4:5]
	s_andn2_b64 s[4:5], s[20:21], exec
	s_and_b64 s[2:3], s[2:3], exec
	s_or_b64 s[20:21], s[4:5], s[2:3]
; %bb.12:                               ;   in Loop: Header=BB362_10 Depth=1
	s_or_b64 exec, exec, s[22:23]
	s_and_saveexec_b64 s[2:3], s[20:21]
; %bb.13:                               ;   in Loop: Header=BB362_10 Depth=1
	v_mov_b32_e32 v26, v30
	v_mov_b32_e32 v27, v28
	;; [unrolled: 1-line block ×3, first 2 shown]
; %bb.14:                               ;   in Loop: Header=BB362_10 Depth=1
	s_or_b64 exec, exec, s[2:3]
	ds_bpermute_b32 v30, v22, v27
	ds_bpermute_b32 v28, v22, v26
	;; [unrolled: 1-line block ×3, first 2 shown]
	s_waitcnt lgkmcnt(2)
	v_cmp_lt_f32_e64 s[20:21], v27, v30
	v_cmp_nlt_f32_e64 s[2:3], v27, v30
	s_and_saveexec_b64 s[22:23], s[2:3]
	s_cbranch_execnz .LBB362_18
; %bb.15:                               ;   in Loop: Header=BB362_10 Depth=1
	s_or_b64 exec, exec, s[22:23]
	s_and_saveexec_b64 s[2:3], s[20:21]
	s_cbranch_execnz .LBB362_19
.LBB362_16:                             ;   in Loop: Header=BB362_10 Depth=1
	s_or_b64 exec, exec, s[2:3]
	s_and_saveexec_b64 s[20:21], s[0:1]
	s_cbranch_execnz .LBB362_20
.LBB362_17:                             ;   in Loop: Header=BB362_10 Depth=1
	s_or_b64 exec, exec, s[20:21]
	s_add_i32 s25, s25, 1
	s_cmp_ge_i32 s25, s8
	s_cbranch_scc1 .LBB362_9
	s_branch .LBB362_21
.LBB362_18:                             ;   in Loop: Header=BB362_10 Depth=1
	v_cmp_eq_f32_e64 s[2:3], v27, v30
	s_waitcnt lgkmcnt(0)
	v_cmp_lt_i32_e64 s[4:5], v29, v25
	s_and_b64 s[2:3], s[2:3], s[4:5]
	s_andn2_b64 s[4:5], s[20:21], exec
	s_and_b64 s[2:3], s[2:3], exec
	s_or_b64 s[20:21], s[4:5], s[2:3]
	s_or_b64 exec, exec, s[22:23]
	s_and_saveexec_b64 s[2:3], s[20:21]
	s_cbranch_execz .LBB362_16
.LBB362_19:                             ;   in Loop: Header=BB362_10 Depth=1
	s_waitcnt lgkmcnt(0)
	v_mov_b32_e32 v25, v29
	v_mov_b32_e32 v26, v28
	s_or_b64 exec, exec, s[2:3]
	s_and_saveexec_b64 s[20:21], s[0:1]
	s_cbranch_execz .LBB362_17
.LBB362_20:                             ;   in Loop: Header=BB362_10 Depth=1
	s_waitcnt lgkmcnt(1)
	v_add_u32_e32 v28, s25, v20
	s_waitcnt lgkmcnt(0)
	v_ashrrev_i32_e32 v29, 31, v28
	v_cmp_le_i32_e64 s[2:3], s9, v25
	v_cmp_gt_i32_e64 s[4:5], s10, v25
	v_lshlrev_b64 v[30:31], 2, v[28:29]
	s_and_b64 s[4:5], s[2:3], s[4:5]
	v_mov_b32_e32 v27, s17
	v_add_co_u32_e64 v32, s[2:3], s16, v30
	v_addc_co_u32_e64 v33, s[2:3], v27, v31, s[2:3]
	v_subrev_u32_e32 v27, s9, v25
	global_store_dword v[32:33], v26, off
	v_ashrrev_i32_e32 v32, 31, v27
	s_and_b64 s[2:3], s[18:19], s[4:5]
	v_lshlrev_b64 v[28:29], 3, v[28:29]
	v_cndmask_b32_e64 v33, 0, v32, s[2:3]
	v_cndmask_b32_e64 v32, 32, v27, s[2:3]
	v_mov_b32_e32 v27, s13
	v_add_co_u32_e64 v28, s[2:3], s12, v28
	v_addc_co_u32_e64 v29, s[2:3], v27, v29, s[2:3]
	global_store_dwordx2 v[28:29], v[32:33], off
	v_mov_b32_e32 v27, s15
	v_add_co_u32_e64 v28, s[2:3], s14, v30
	v_add_f32_e32 v26, v19, v26
	v_addc_co_u32_e64 v29, s[2:3], v27, v31, s[2:3]
	v_cndmask_b32_e32 v19, v19, v26, vcc
	global_store_dword v[28:29], v24, off
	s_or_b64 exec, exec, s[20:21]
	s_add_i32 s25, s25, 1
	s_cmp_ge_i32 s25, s8
	s_cbranch_scc1 .LBB362_9
.LBB362_21:                             ;   in Loop: Header=BB362_10 Depth=1
	v_ashrrev_i32_e32 v27, 31, v25
	v_lshrrev_b32_e32 v26, 29, v27
	v_add_u32_e32 v26, v25, v26
	v_ashrrev_i32_e32 v26, 3, v26
	s_waitcnt lgkmcnt(1)
	v_lshrrev_b32_e32 v28, 30, v26
	v_add_u32_e32 v28, v26, v28
	v_and_b32_e32 v28, -4, v28
	v_sub_u32_e32 v28, v26, v28
	v_cmp_eq_u32_e64 s[2:3], v17, v28
	s_and_saveexec_b64 s[4:5], s[2:3]
	s_cbranch_execz .LBB362_8
; %bb.22:                               ;   in Loop: Header=BB362_10 Depth=1
	v_lshrrev_b32_e32 v27, 27, v27
	v_add_u32_e32 v27, v25, v27
	v_lshlrev_b32_e32 v26, 3, v26
	v_ashrrev_i32_e32 v27, 5, v27
	v_sub_u32_e32 v25, v25, v26
	v_lshl_add_u32 v25, v27, 3, v25
	v_cmp_ne_u32_e64 s[2:3], 7, v25
	v_cndmask_b32_e64 v15, v23, v15, s[2:3]
	v_cmp_ne_u32_e64 s[2:3], 6, v25
	v_cndmask_b32_e64 v14, v23, v14, s[2:3]
	;; [unrolled: 2-line block ×8, first 2 shown]
	s_branch .LBB362_8
.LBB362_23:
                                        ; implicit-def: $vgpr8_vgpr9_vgpr10_vgpr11_vgpr12_vgpr13_vgpr14_vgpr15
	s_andn2_b64 vcc, exec, s[8:9]
	s_cbranch_vccz .LBB362_5
	s_branch .LBB362_6
.LBB362_24:
	v_mov_b32_e32 v19, 0
.LBB362_25:
	v_cmp_eq_u32_e64 s[0:1], 0, v17
	s_and_b64 s[0:1], s[0:1], vcc
	s_and_b64 exec, exec, s[0:1]
	s_cbranch_execz .LBB362_34
; %bb.26:
	s_andn2_b64 vcc, exec, s[6:7]
	s_cbranch_vccnz .LBB362_34
; %bb.27:
	v_cmp_lt_f32_e32 vcc, 0, v19
	s_mov_b32 s2, 0
	v_cndmask_b32_e32 v0, 1.0, v19, vcc
	v_mul_lo_u32 v4, v16, s8
	s_cmp_eq_u32 s8, 1
	s_mov_b64 s[0:1], -1
	s_cbranch_scc1 .LBB362_31
; %bb.28:
	s_and_b32 s2, s8, 0x7ffffffe
	v_mov_b32_e32 v1, v0
	v_mov_b32_e32 v5, s17
	s_mov_b32 s3, s2
	v_mov_b32_e32 v2, v4
.LBB362_29:                             ; =>This Inner Loop Header: Depth=1
	v_ashrrev_i32_e32 v3, 31, v2
	v_lshlrev_b64 v[6:7], 2, v[2:3]
	v_add_co_u32_e32 v6, vcc, s16, v6
	v_addc_co_u32_e32 v7, vcc, v5, v7, vcc
	global_load_dwordx2 v[8:9], v[6:7], off
	s_add_i32 s3, s3, -2
	s_cmp_lg_u32 s3, 0
	v_add_u32_e32 v2, 2, v2
	s_waitcnt vmcnt(0)
	v_div_scale_f32 v3, s[0:1], v1, v1, v9
	v_div_scale_f32 v11, s[0:1], v0, v0, v8
	v_rcp_f32_e32 v12, v3
	v_rcp_f32_e32 v13, v11
	v_div_scale_f32 v10, vcc, v9, v1, v9
	v_fma_f32 v15, -v3, v12, 1.0
	v_fma_f32 v16, -v11, v13, 1.0
	v_fmac_f32_e32 v12, v15, v12
	v_div_scale_f32 v14, s[0:1], v8, v0, v8
	v_fmac_f32_e32 v13, v16, v13
	v_mul_f32_e32 v15, v10, v12
	v_mul_f32_e32 v16, v14, v13
	v_fma_f32 v17, -v3, v15, v10
	v_fma_f32 v18, -v11, v16, v14
	v_fmac_f32_e32 v15, v17, v12
	v_fmac_f32_e32 v16, v18, v13
	v_fma_f32 v3, -v3, v15, v10
	v_fma_f32 v10, -v11, v16, v14
	v_div_fmas_f32 v3, v3, v12, v15
	s_mov_b64 vcc, s[0:1]
	v_div_fixup_f32 v9, v3, v1, v9
	v_div_fmas_f32 v3, v10, v13, v16
	v_div_fixup_f32 v8, v3, v0, v8
	global_store_dwordx2 v[6:7], v[8:9], off
	s_cbranch_scc1 .LBB362_29
; %bb.30:
	s_cmp_lg_u32 s2, s8
	s_cselect_b64 s[0:1], -1, 0
.LBB362_31:
	s_and_b64 vcc, exec, s[0:1]
	s_cbranch_vccz .LBB362_34
; %bb.32:
	v_ashrrev_i32_e32 v1, 31, v4
	v_add_co_u32_e32 v2, vcc, s2, v4
	v_addc_co_u32_e32 v3, vcc, 0, v1, vcc
	v_lshlrev_b64 v[2:3], 2, v[2:3]
	v_mov_b32_e32 v1, s17
	v_add_co_u32_e32 v2, vcc, s16, v2
	s_sub_i32 s0, s8, s2
	v_addc_co_u32_e32 v3, vcc, v1, v3, vcc
.LBB362_33:                             ; =>This Inner Loop Header: Depth=1
	global_load_dword v1, v[2:3], off
	s_add_i32 s0, s0, -1
	s_cmp_lg_u32 s0, 0
	s_waitcnt vmcnt(0)
	v_div_scale_f32 v4, s[2:3], v0, v0, v1
	v_rcp_f32_e32 v5, v4
	v_div_scale_f32 v6, vcc, v1, v0, v1
	v_fma_f32 v7, -v4, v5, 1.0
	v_fmac_f32_e32 v5, v7, v5
	v_mul_f32_e32 v7, v6, v5
	v_fma_f32 v8, -v4, v7, v6
	v_fmac_f32_e32 v7, v8, v5
	v_fma_f32 v4, -v4, v7, v6
	v_div_fmas_f32 v4, v4, v5, v7
	v_div_fixup_f32 v1, v4, v0, v1
	global_store_dword v[2:3], v1, off
	v_add_co_u32_e32 v2, vcc, 4, v2
	v_addc_co_u32_e32 v3, vcc, 0, v3, vcc
	s_cbranch_scc1 .LBB362_33
.LBB362_34:
	s_endpgm
	.section	.rodata,"a",@progbits
	.p2align	6, 0x0
	.amdhsa_kernel _ZN4vllm3moe10topkGatingILi8ELi32ELi4ELi16ELi32El14__hip_bfloat16LNS0_11ScoringFuncE1EEEvPKT5_PKbPfiPT4_PiiiibPKf
		.amdhsa_group_segment_fixed_size 0
		.amdhsa_private_segment_fixed_size 0
		.amdhsa_kernarg_size 72
		.amdhsa_user_sgpr_count 6
		.amdhsa_user_sgpr_private_segment_buffer 1
		.amdhsa_user_sgpr_dispatch_ptr 0
		.amdhsa_user_sgpr_queue_ptr 0
		.amdhsa_user_sgpr_kernarg_segment_ptr 1
		.amdhsa_user_sgpr_dispatch_id 0
		.amdhsa_user_sgpr_flat_scratch_init 0
		.amdhsa_user_sgpr_kernarg_preload_length 0
		.amdhsa_user_sgpr_kernarg_preload_offset 0
		.amdhsa_user_sgpr_private_segment_size 0
		.amdhsa_uses_dynamic_stack 0
		.amdhsa_system_sgpr_private_segment_wavefront_offset 0
		.amdhsa_system_sgpr_workgroup_id_x 1
		.amdhsa_system_sgpr_workgroup_id_y 0
		.amdhsa_system_sgpr_workgroup_id_z 0
		.amdhsa_system_sgpr_workgroup_info 0
		.amdhsa_system_vgpr_workitem_id 1
		.amdhsa_next_free_vgpr 34
		.amdhsa_next_free_sgpr 26
		.amdhsa_accum_offset 36
		.amdhsa_reserve_vcc 1
		.amdhsa_reserve_flat_scratch 0
		.amdhsa_float_round_mode_32 0
		.amdhsa_float_round_mode_16_64 0
		.amdhsa_float_denorm_mode_32 3
		.amdhsa_float_denorm_mode_16_64 3
		.amdhsa_dx10_clamp 1
		.amdhsa_ieee_mode 1
		.amdhsa_fp16_overflow 0
		.amdhsa_tg_split 0
		.amdhsa_exception_fp_ieee_invalid_op 0
		.amdhsa_exception_fp_denorm_src 0
		.amdhsa_exception_fp_ieee_div_zero 0
		.amdhsa_exception_fp_ieee_overflow 0
		.amdhsa_exception_fp_ieee_underflow 0
		.amdhsa_exception_fp_ieee_inexact 0
		.amdhsa_exception_int_div_zero 0
	.end_amdhsa_kernel
	.section	.text._ZN4vllm3moe10topkGatingILi8ELi32ELi4ELi16ELi32El14__hip_bfloat16LNS0_11ScoringFuncE1EEEvPKT5_PKbPfiPT4_PiiiibPKf,"axG",@progbits,_ZN4vllm3moe10topkGatingILi8ELi32ELi4ELi16ELi32El14__hip_bfloat16LNS0_11ScoringFuncE1EEEvPKT5_PKbPfiPT4_PiiiibPKf,comdat
.Lfunc_end362:
	.size	_ZN4vllm3moe10topkGatingILi8ELi32ELi4ELi16ELi32El14__hip_bfloat16LNS0_11ScoringFuncE1EEEvPKT5_PKbPfiPT4_PiiiibPKf, .Lfunc_end362-_ZN4vllm3moe10topkGatingILi8ELi32ELi4ELi16ELi32El14__hip_bfloat16LNS0_11ScoringFuncE1EEEvPKT5_PKbPfiPT4_PiiiibPKf
                                        ; -- End function
	.section	.AMDGPU.csdata,"",@progbits
; Kernel info:
; codeLenInByte = 2736
; NumSgprs: 30
; NumVgprs: 34
; NumAgprs: 0
; TotalNumVgprs: 34
; ScratchSize: 0
; MemoryBound: 0
; FloatMode: 240
; IeeeMode: 1
; LDSByteSize: 0 bytes/workgroup (compile time only)
; SGPRBlocks: 3
; VGPRBlocks: 4
; NumSGPRsForWavesPerEU: 30
; NumVGPRsForWavesPerEU: 34
; AccumOffset: 36
; Occupancy: 8
; WaveLimiterHint : 0
; COMPUTE_PGM_RSRC2:SCRATCH_EN: 0
; COMPUTE_PGM_RSRC2:USER_SGPR: 6
; COMPUTE_PGM_RSRC2:TRAP_HANDLER: 0
; COMPUTE_PGM_RSRC2:TGID_X_EN: 1
; COMPUTE_PGM_RSRC2:TGID_Y_EN: 0
; COMPUTE_PGM_RSRC2:TGID_Z_EN: 0
; COMPUTE_PGM_RSRC2:TIDIG_COMP_CNT: 1
; COMPUTE_PGM_RSRC3_GFX90A:ACCUM_OFFSET: 8
; COMPUTE_PGM_RSRC3_GFX90A:TG_SPLIT: 0
	.section	.text._ZN4vllm3moe10topkGatingILi8ELi64ELi4ELi16ELi64El14__hip_bfloat16LNS0_11ScoringFuncE1EEEvPKT5_PKbPfiPT4_PiiiibPKf,"axG",@progbits,_ZN4vllm3moe10topkGatingILi8ELi64ELi4ELi16ELi64El14__hip_bfloat16LNS0_11ScoringFuncE1EEEvPKT5_PKbPfiPT4_PiiiibPKf,comdat
	.protected	_ZN4vllm3moe10topkGatingILi8ELi64ELi4ELi16ELi64El14__hip_bfloat16LNS0_11ScoringFuncE1EEEvPKT5_PKbPfiPT4_PiiiibPKf ; -- Begin function _ZN4vllm3moe10topkGatingILi8ELi64ELi4ELi16ELi64El14__hip_bfloat16LNS0_11ScoringFuncE1EEEvPKT5_PKbPfiPT4_PiiiibPKf
	.globl	_ZN4vllm3moe10topkGatingILi8ELi64ELi4ELi16ELi64El14__hip_bfloat16LNS0_11ScoringFuncE1EEEvPKT5_PKbPfiPT4_PiiiibPKf
	.p2align	8
	.type	_ZN4vllm3moe10topkGatingILi8ELi64ELi4ELi16ELi64El14__hip_bfloat16LNS0_11ScoringFuncE1EEEvPKT5_PKbPfiPT4_PiiiibPKf,@function
_ZN4vllm3moe10topkGatingILi8ELi64ELi4ELi16ELi64El14__hip_bfloat16LNS0_11ScoringFuncE1EEEvPKT5_PKbPfiPT4_PiiiibPKf: ; @_ZN4vllm3moe10topkGatingILi8ELi64ELi4ELi16ELi64El14__hip_bfloat16LNS0_11ScoringFuncE1EEEvPKT5_PKbPfiPT4_PiiiibPKf
; %bb.0:
	s_load_dword s24, s[4:5], 0x18
	v_bfe_u32 v1, v0, 10, 10
	v_and_b32_e32 v0, 0x3ff, v0
	s_lshl_b32 s0, s6, 5
	v_lshlrev_b32_e32 v1, 3, v1
	v_lshrrev_b32_e32 v2, 3, v0
	v_add3_u32 v16, s0, v1, v2
	s_waitcnt lgkmcnt(0)
	v_cmp_gt_i32_e32 vcc, s24, v16
	s_and_saveexec_b64 s[0:1], vcc
	s_cbranch_execz .LBB363_38
; %bb.1:
	s_load_dwordx4 s[0:3], s[4:5], 0x0
	s_load_dwordx2 s[16:17], s[4:5], 0x10
	s_mov_b64 s[8:9], -1
	s_mov_b64 s[18:19], -1
	s_waitcnt lgkmcnt(0)
	s_cmp_eq_u64 s[2:3], 0
	s_cbranch_scc1 .LBB363_3
; %bb.2:
	v_ashrrev_i32_e32 v1, 31, v16
	v_mov_b32_e32 v3, s3
	v_add_co_u32_e32 v2, vcc, s2, v16
	v_addc_co_u32_e32 v3, vcc, v3, v1, vcc
	global_load_ubyte v1, v[2:3], off
	s_waitcnt vmcnt(0)
	v_and_b32_e32 v1, 1, v1
	v_cmp_eq_u32_e32 vcc, 1, v1
	s_xor_b64 s[2:3], vcc, -1
	s_orn2_b64 s[18:19], s[2:3], exec
.LBB363_3:
	v_lshlrev_b32_e32 v2, 6, v16
	v_ashrrev_i32_e32 v3, 31, v2
	v_lshlrev_b64 v[2:3], 1, v[2:3]
	v_mov_b32_e32 v1, s1
	v_add_co_u32_e32 v2, vcc, s0, v2
	v_and_b32_e32 v17, 7, v0
	v_addc_co_u32_e32 v1, vcc, v1, v3, vcc
	v_lshlrev_b32_e32 v0, 4, v17
	v_add_co_u32_e32 v0, vcc, v2, v0
	v_addc_co_u32_e32 v1, vcc, 0, v1, vcc
	global_load_dwordx4 v[0:3], v[0:1], off
	v_mov_b32_e32 v8, 0x207
	s_load_dwordx2 s[10:11], s[4:5], 0x40
	v_lshlrev_b32_e32 v18, 3, v17
	s_waitcnt lgkmcnt(0)
	s_cmp_eq_u64 s[10:11], 0
	s_waitcnt vmcnt(0)
	v_lshlrev_b32_e32 v4, 16, v0
	v_and_b32_e32 v0, 0xffff0000, v0
	v_lshlrev_b32_e32 v5, 16, v1
	v_and_b32_e32 v1, 0xffff0000, v1
	v_mul_f32_e32 v4, 0xbfb8aa3b, v4
	v_mul_f32_e32 v9, 0xbfb8aa3b, v0
	;; [unrolled: 1-line block ×3, first 2 shown]
	v_exp_f32_e32 v0, v4
	v_exp_f32_e32 v1, v9
	v_lshlrev_b32_e32 v6, 16, v2
	v_and_b32_e32 v2, 0xffff0000, v2
	v_lshlrev_b32_e32 v7, 16, v3
	v_and_b32_e32 v3, 0xffff0000, v3
	v_mul_f32_e32 v5, 0xbfb8aa3b, v5
	v_mul_f32_e32 v11, 0xbfb8aa3b, v2
	;; [unrolled: 1-line block ×3, first 2 shown]
	v_exp_f32_e32 v2, v5
	v_exp_f32_e32 v3, v10
	v_pk_add_f32 v[0:1], v[0:1], 1.0 op_sel_hi:[1,0]
	v_div_scale_f32 v9, s[0:1], v1, v1, 1.0
	v_rcp_f32_e32 v21, v9
	v_exp_f32_e32 v5, v11
	v_div_scale_f32 v11, s[0:1], v0, v0, 1.0
	v_pk_add_f32 v[2:3], v[2:3], 1.0 op_sel_hi:[1,0]
	v_rcp_f32_e32 v22, v11
	v_div_scale_f32 v13, s[2:3], v3, v3, 1.0
	v_rcp_f32_e32 v23, v13
	v_fma_f32 v26, -v9, v21, 1.0
	v_div_scale_f32 v10, vcc, 1.0, v1, 1.0
	v_div_scale_f32 v15, s[6:7], v2, v2, 1.0
	v_fmac_f32_e32 v21, v26, v21
	v_mul_f32_e32 v6, 0xbfb8aa3b, v6
	v_mul_f32_e32 v7, 0xbfb8aa3b, v7
	v_rcp_f32_e32 v24, v15
	v_fma_f32 v27, -v11, v22, 1.0
	v_mul_f32_e32 v26, v10, v21
	v_exp_f32_e32 v4, v6
	v_exp_f32_e32 v6, v7
	;; [unrolled: 1-line block ×3, first 2 shown]
	v_div_scale_f32 v12, s[0:1], 1.0, v0, 1.0
	v_fmac_f32_e32 v22, v27, v22
	v_fma_f32 v30, -v9, v26, v10
	v_fma_f32 v28, -v13, v23, 1.0
	v_mul_f32_e32 v27, v12, v22
	v_fmac_f32_e32 v26, v30, v21
	v_div_scale_f32 v14, s[2:3], 1.0, v3, 1.0
	v_fmac_f32_e32 v23, v28, v23
	v_fma_f32 v31, -v11, v27, v12
	v_fma_f32 v9, -v9, v26, v10
	v_fma_f32 v29, -v15, v24, 1.0
	v_mul_f32_e32 v28, v14, v23
	v_fmac_f32_e32 v27, v31, v22
	v_div_fmas_f32 v9, v9, v21, v26
	v_div_scale_f32 v19, s[6:7], 1.0, v2, 1.0
	v_fmac_f32_e32 v24, v29, v24
	v_fma_f32 v32, -v13, v28, v14
	v_fma_f32 v10, -v11, v27, v12
	v_div_fixup_f32 v1, v9, v1, 1.0
	s_mov_b64 vcc, s[0:1]
	v_pk_add_f32 v[4:5], v[4:5], 1.0 op_sel_hi:[1,0]
	v_mul_f32_e32 v29, v19, v24
	v_fmac_f32_e32 v28, v32, v23
	v_div_fmas_f32 v9, v10, v22, v27
	v_cmp_class_f32_e32 vcc, v1, v8
	v_div_scale_f32 v20, s[12:13], v5, v5, 1.0
	v_fma_f32 v33, -v15, v29, v19
	v_fma_f32 v11, -v13, v28, v14
	v_div_fixup_f32 v0, v9, v0, 1.0
	v_cndmask_b32_e64 v1, v1, 0, vcc
	s_mov_b64 vcc, s[2:3]
	v_rcp_f32_e32 v25, v20
	v_fmac_f32_e32 v29, v33, v24
	v_div_fmas_f32 v9, v11, v23, v28
	v_cmp_class_f32_e32 vcc, v0, v8
	v_fma_f32 v12, -v15, v29, v19
	v_cndmask_b32_e64 v0, v0, 0, vcc
	s_mov_b64 vcc, s[6:7]
	v_div_fixup_f32 v3, v9, v3, 1.0
	v_div_fmas_f32 v9, v12, v24, v29
	v_div_fixup_f32 v2, v9, v2, 1.0
	v_cmp_class_f32_e32 vcc, v3, v8
	v_cndmask_b32_e64 v3, v3, 0, vcc
	v_cmp_class_f32_e32 vcc, v2, v8
	v_fma_f32 v9, -v20, v25, 1.0
	v_cndmask_b32_e64 v2, v2, 0, vcc
	v_fmac_f32_e32 v25, v9, v25
	v_div_scale_f32 v9, vcc, 1.0, v5, 1.0
	v_mul_f32_e32 v10, v9, v25
	v_fma_f32 v11, -v20, v10, v9
	v_fmac_f32_e32 v10, v11, v25
	v_div_scale_f32 v11, s[0:1], v4, v4, 1.0
	v_rcp_f32_e32 v12, v11
	v_fma_f32 v9, -v20, v10, v9
	v_div_fmas_f32 v9, v9, v25, v10
	v_div_fixup_f32 v5, v9, v5, 1.0
	v_fma_f32 v9, -v11, v12, 1.0
	v_fmac_f32_e32 v12, v9, v12
	v_div_scale_f32 v9, vcc, 1.0, v4, 1.0
	v_mul_f32_e32 v10, v9, v12
	v_fma_f32 v13, -v11, v10, v9
	v_fmac_f32_e32 v10, v13, v12
	v_fma_f32 v9, -v11, v10, v9
	v_div_fmas_f32 v9, v9, v12, v10
	v_pk_add_f32 v[6:7], v[6:7], 1.0 op_sel_hi:[1,0]
	v_div_fixup_f32 v4, v9, v4, 1.0
	v_div_scale_f32 v9, s[0:1], v7, v7, 1.0
	v_rcp_f32_e32 v10, v9
	v_cmp_class_f32_e32 vcc, v5, v8
	v_cndmask_b32_e64 v5, v5, 0, vcc
	v_cmp_class_f32_e32 vcc, v4, v8
	v_fma_f32 v11, -v9, v10, 1.0
	v_cndmask_b32_e64 v4, v4, 0, vcc
	v_fmac_f32_e32 v10, v11, v10
	v_div_scale_f32 v11, vcc, 1.0, v7, 1.0
	v_mul_f32_e32 v12, v11, v10
	v_fma_f32 v13, -v9, v12, v11
	v_fmac_f32_e32 v12, v13, v10
	v_fma_f32 v9, -v9, v12, v11
	v_div_scale_f32 v11, s[0:1], v6, v6, 1.0
	v_rcp_f32_e32 v13, v11
	v_div_fmas_f32 v9, v9, v10, v12
	v_div_fixup_f32 v7, v9, v7, 1.0
	v_fma_f32 v9, -v11, v13, 1.0
	v_fmac_f32_e32 v13, v9, v13
	v_div_scale_f32 v9, vcc, 1.0, v6, 1.0
	v_mul_f32_e32 v10, v9, v13
	v_fma_f32 v12, -v11, v10, v9
	v_fmac_f32_e32 v10, v12, v13
	v_fma_f32 v9, -v11, v10, v9
	v_div_fmas_f32 v9, v9, v13, v10
	v_div_fixup_f32 v6, v9, v6, 1.0
	v_cmp_class_f32_e32 vcc, v7, v8
	v_cndmask_b32_e64 v7, v7, 0, vcc
	v_cmp_class_f32_e32 vcc, v6, v8
	v_cndmask_b32_e64 v6, v6, 0, vcc
	s_cbranch_scc1 .LBB363_27
; %bb.4:
	v_lshlrev_b32_e32 v19, 2, v18
	global_load_dwordx4 v[8:11], v19, s[10:11]
	global_load_dwordx4 v[12:15], v19, s[10:11] offset:16
	s_waitcnt vmcnt(1)
	v_pk_add_f32 v[8:9], v[8:9], v[0:1]
	v_pk_add_f32 v[10:11], v[10:11], v[2:3]
	s_waitcnt vmcnt(0)
	v_pk_add_f32 v[12:13], v[12:13], v[4:5]
	v_pk_add_f32 v[14:15], v[14:15], v[6:7]
	s_cbranch_execnz .LBB363_6
.LBB363_5:
	v_pk_mov_b32 v[14:15], v[6:7], v[6:7] op_sel:[0,1]
	v_pk_mov_b32 v[12:13], v[4:5], v[4:5] op_sel:[0,1]
	;; [unrolled: 1-line block ×4, first 2 shown]
.LBB363_6:
	s_load_dwordx4 s[8:11], s[4:5], 0x30
	s_mov_b32 s25, 0
	v_cmp_eq_u32_e64 s[0:1], 0, v17
	s_waitcnt lgkmcnt(0)
	s_bitcmp1_b32 s11, 0
	s_cselect_b64 vcc, -1, 0
	s_cmp_gt_i32 s8, 0
	s_cselect_b64 s[6:7], -1, 0
	s_cmp_lt_i32 s8, 1
	s_cbranch_scc1 .LBB363_28
; %bb.7:
	v_mbcnt_lo_u32_b32 v19, -1, 0
	v_mbcnt_hi_u32_b32 v19, -1, v19
	v_and_b32_e32 v20, 0x78, v19
	v_add_u32_e32 v23, 8, v20
	v_xor_b32_e32 v21, 4, v19
	s_load_dwordx4 s[12:15], s[4:5], 0x20
	v_cmp_lt_i32_e64 s[2:3], v21, v23
	v_xor_b32_e32 v22, 2, v19
	v_cndmask_b32_e64 v21, v19, v21, s[2:3]
	v_cmp_lt_i32_e64 s[2:3], v22, v23
	v_xor_b32_e32 v24, 1, v19
	v_cndmask_b32_e64 v22, v19, v22, s[2:3]
	v_cmp_lt_i32_e64 s[2:3], v24, v23
	v_cndmask_b32_e64 v19, v19, v24, s[2:3]
	v_mul_lo_u32 v20, v16, s8
	v_lshlrev_b32_e32 v21, 2, v21
	v_lshlrev_b32_e32 v22, 2, v22
	;; [unrolled: 1-line block ×3, first 2 shown]
	v_mov_b32_e32 v19, 0
	v_mov_b32_e32 v24, 0xc61c4000
	;; [unrolled: 1-line block ×3, first 2 shown]
	s_branch .LBB363_10
.LBB363_8:                              ;   in Loop: Header=BB363_10 Depth=1
	s_or_b64 exec, exec, s[4:5]
.LBB363_9:                              ;   in Loop: Header=BB363_10 Depth=1
	s_cmp_eq_u32 s8, s25
	v_add_u32_e32 v25, s24, v25
	s_cbranch_scc1 .LBB363_29
.LBB363_10:                             ; =>This Inner Loop Header: Depth=1
	v_cmp_gt_f32_e64 s[2:3], v9, v8
	v_cndmask_b32_e64 v28, v8, v9, s[2:3]
	v_cndmask_b32_e64 v26, 0, 1, s[2:3]
	v_cndmask_b32_e64 v27, v0, v1, s[2:3]
	v_cmp_gt_f32_e64 s[2:3], v10, v28
	v_cndmask_b32_e64 v28, v28, v10, s[2:3]
	v_cndmask_b32_e64 v26, v26, 2, s[2:3]
	v_cndmask_b32_e64 v27, v27, v2, s[2:3]
	;; [unrolled: 4-line block ×6, first 2 shown]
	v_cmp_gt_f32_e64 s[2:3], v15, v28
	v_cndmask_b32_e64 v26, v26, 7, s[2:3]
	v_cndmask_b32_e64 v28, v28, v15, s[2:3]
	v_or_b32_e32 v26, v18, v26
	v_cndmask_b32_e64 v27, v27, v7, s[2:3]
	s_waitcnt lgkmcnt(0)
	ds_bpermute_b32 v29, v21, v28
	ds_bpermute_b32 v31, v21, v27
	;; [unrolled: 1-line block ×3, first 2 shown]
	s_waitcnt lgkmcnt(0)
	v_cmp_lt_f32_e64 s[20:21], v28, v29
	v_cmp_nlt_f32_e64 s[2:3], v28, v29
	s_and_saveexec_b64 s[22:23], s[2:3]
; %bb.11:                               ;   in Loop: Header=BB363_10 Depth=1
	v_cmp_eq_f32_e64 s[2:3], v28, v29
	v_cmp_lt_i32_e64 s[4:5], v30, v26
	s_and_b64 s[2:3], s[2:3], s[4:5]
	s_andn2_b64 s[4:5], s[20:21], exec
	s_and_b64 s[2:3], s[2:3], exec
	s_or_b64 s[20:21], s[4:5], s[2:3]
; %bb.12:                               ;   in Loop: Header=BB363_10 Depth=1
	s_or_b64 exec, exec, s[22:23]
	s_and_saveexec_b64 s[2:3], s[20:21]
; %bb.13:                               ;   in Loop: Header=BB363_10 Depth=1
	v_mov_b32_e32 v27, v31
	v_mov_b32_e32 v28, v29
	;; [unrolled: 1-line block ×3, first 2 shown]
; %bb.14:                               ;   in Loop: Header=BB363_10 Depth=1
	s_or_b64 exec, exec, s[2:3]
	ds_bpermute_b32 v29, v22, v28
	ds_bpermute_b32 v31, v22, v27
	;; [unrolled: 1-line block ×3, first 2 shown]
	s_waitcnt lgkmcnt(2)
	v_cmp_lt_f32_e64 s[20:21], v28, v29
	v_cmp_nlt_f32_e64 s[2:3], v28, v29
	s_and_saveexec_b64 s[22:23], s[2:3]
	s_cbranch_execz .LBB363_16
; %bb.15:                               ;   in Loop: Header=BB363_10 Depth=1
	v_cmp_eq_f32_e64 s[2:3], v28, v29
	s_waitcnt lgkmcnt(0)
	v_cmp_lt_i32_e64 s[4:5], v30, v26
	s_and_b64 s[2:3], s[2:3], s[4:5]
	s_andn2_b64 s[4:5], s[20:21], exec
	s_and_b64 s[2:3], s[2:3], exec
	s_or_b64 s[20:21], s[4:5], s[2:3]
.LBB363_16:                             ;   in Loop: Header=BB363_10 Depth=1
	s_or_b64 exec, exec, s[22:23]
	s_and_saveexec_b64 s[2:3], s[20:21]
	s_cbranch_execz .LBB363_18
; %bb.17:                               ;   in Loop: Header=BB363_10 Depth=1
	s_waitcnt lgkmcnt(1)
	v_mov_b32_e32 v27, v31
	v_mov_b32_e32 v28, v29
	s_waitcnt lgkmcnt(0)
	v_mov_b32_e32 v26, v30
.LBB363_18:                             ;   in Loop: Header=BB363_10 Depth=1
	s_or_b64 exec, exec, s[2:3]
	s_waitcnt lgkmcnt(1)
	ds_bpermute_b32 v31, v23, v28
	ds_bpermute_b32 v29, v23, v27
	s_waitcnt lgkmcnt(2)
	ds_bpermute_b32 v30, v23, v26
	s_waitcnt lgkmcnt(2)
	v_cmp_lt_f32_e64 s[20:21], v28, v31
	v_cmp_nlt_f32_e64 s[2:3], v28, v31
	s_and_saveexec_b64 s[22:23], s[2:3]
	s_cbranch_execnz .LBB363_22
; %bb.19:                               ;   in Loop: Header=BB363_10 Depth=1
	s_or_b64 exec, exec, s[22:23]
	s_and_saveexec_b64 s[2:3], s[20:21]
	s_cbranch_execnz .LBB363_23
.LBB363_20:                             ;   in Loop: Header=BB363_10 Depth=1
	s_or_b64 exec, exec, s[2:3]
	s_and_saveexec_b64 s[20:21], s[0:1]
	s_cbranch_execnz .LBB363_24
.LBB363_21:                             ;   in Loop: Header=BB363_10 Depth=1
	s_or_b64 exec, exec, s[20:21]
	s_add_i32 s25, s25, 1
	s_cmp_ge_i32 s25, s8
	s_cbranch_scc1 .LBB363_9
	s_branch .LBB363_25
.LBB363_22:                             ;   in Loop: Header=BB363_10 Depth=1
	v_cmp_eq_f32_e64 s[2:3], v28, v31
	s_waitcnt lgkmcnt(0)
	v_cmp_lt_i32_e64 s[4:5], v30, v26
	s_and_b64 s[2:3], s[2:3], s[4:5]
	s_andn2_b64 s[4:5], s[20:21], exec
	s_and_b64 s[2:3], s[2:3], exec
	s_or_b64 s[20:21], s[4:5], s[2:3]
	s_or_b64 exec, exec, s[22:23]
	s_and_saveexec_b64 s[2:3], s[20:21]
	s_cbranch_execz .LBB363_20
.LBB363_23:                             ;   in Loop: Header=BB363_10 Depth=1
	s_waitcnt lgkmcnt(0)
	v_mov_b32_e32 v26, v30
	v_mov_b32_e32 v27, v29
	s_or_b64 exec, exec, s[2:3]
	s_and_saveexec_b64 s[20:21], s[0:1]
	s_cbranch_execz .LBB363_21
.LBB363_24:                             ;   in Loop: Header=BB363_10 Depth=1
	v_add_u32_e32 v28, s25, v20
	s_waitcnt lgkmcnt(1)
	v_ashrrev_i32_e32 v29, 31, v28
	v_cmp_le_i32_e64 s[2:3], s9, v26
	v_cmp_gt_i32_e64 s[4:5], s10, v26
	s_waitcnt lgkmcnt(0)
	v_lshlrev_b64 v[30:31], 2, v[28:29]
	s_and_b64 s[4:5], s[2:3], s[4:5]
	v_mov_b32_e32 v33, s17
	v_add_co_u32_e64 v32, s[2:3], s16, v30
	v_addc_co_u32_e64 v33, s[2:3], v33, v31, s[2:3]
	global_store_dword v[32:33], v27, off
	v_subrev_u32_e32 v32, s9, v26
	v_ashrrev_i32_e32 v33, 31, v32
	s_and_b64 s[2:3], s[18:19], s[4:5]
	v_lshlrev_b64 v[28:29], 3, v[28:29]
	v_cndmask_b32_e64 v33, 0, v33, s[2:3]
	v_cndmask_b32_e64 v32, 64, v32, s[2:3]
	v_mov_b32_e32 v34, s13
	v_add_co_u32_e64 v28, s[2:3], s12, v28
	v_addc_co_u32_e64 v29, s[2:3], v34, v29, s[2:3]
	global_store_dwordx2 v[28:29], v[32:33], off
	v_mov_b32_e32 v29, s15
	v_add_co_u32_e64 v28, s[2:3], s14, v30
	v_add_f32_e32 v27, v19, v27
	v_addc_co_u32_e64 v29, s[2:3], v29, v31, s[2:3]
	v_cndmask_b32_e32 v19, v19, v27, vcc
	global_store_dword v[28:29], v25, off
	s_or_b64 exec, exec, s[20:21]
	s_add_i32 s25, s25, 1
	s_cmp_ge_i32 s25, s8
	s_cbranch_scc1 .LBB363_9
.LBB363_25:                             ;   in Loop: Header=BB363_10 Depth=1
	v_ashrrev_i32_e32 v28, 31, v26
	v_lshrrev_b32_e32 v27, 29, v28
	v_add_u32_e32 v27, v26, v27
	v_ashrrev_i32_e32 v27, 3, v27
	s_waitcnt lgkmcnt(1)
	v_lshrrev_b32_e32 v29, 29, v27
	v_add_u32_e32 v29, v27, v29
	v_and_b32_e32 v29, -8, v29
	v_sub_u32_e32 v29, v27, v29
	v_cmp_eq_u32_e64 s[2:3], v17, v29
	s_and_saveexec_b64 s[4:5], s[2:3]
	s_cbranch_execz .LBB363_8
; %bb.26:                               ;   in Loop: Header=BB363_10 Depth=1
	v_lshrrev_b32_e32 v28, 26, v28
	v_add_u32_e32 v28, v26, v28
	v_lshlrev_b32_e32 v27, 3, v27
	v_ashrrev_i32_e32 v28, 6, v28
	v_sub_u32_e32 v26, v26, v27
	v_lshl_add_u32 v26, v28, 3, v26
	v_cmp_ne_u32_e64 s[2:3], 7, v26
	v_cndmask_b32_e64 v15, v24, v15, s[2:3]
	v_cmp_ne_u32_e64 s[2:3], 6, v26
	v_cndmask_b32_e64 v14, v24, v14, s[2:3]
	;; [unrolled: 2-line block ×8, first 2 shown]
	s_branch .LBB363_8
.LBB363_27:
                                        ; implicit-def: $vgpr8_vgpr9_vgpr10_vgpr11_vgpr12_vgpr13_vgpr14_vgpr15
	s_andn2_b64 vcc, exec, s[8:9]
	s_cbranch_vccz .LBB363_5
	s_branch .LBB363_6
.LBB363_28:
	v_mov_b32_e32 v19, 0
.LBB363_29:
	v_cmp_eq_u32_e64 s[0:1], 0, v17
	s_and_b64 s[0:1], s[0:1], vcc
	s_and_b64 exec, exec, s[0:1]
	s_cbranch_execz .LBB363_38
; %bb.30:
	s_andn2_b64 vcc, exec, s[6:7]
	s_cbranch_vccnz .LBB363_38
; %bb.31:
	v_cmp_lt_f32_e32 vcc, 0, v19
	s_mov_b32 s2, 0
	v_cndmask_b32_e32 v0, 1.0, v19, vcc
	v_mul_lo_u32 v4, v16, s8
	s_cmp_eq_u32 s8, 1
	s_mov_b64 s[0:1], -1
	s_cbranch_scc1 .LBB363_35
; %bb.32:
	s_and_b32 s2, s8, 0x7ffffffe
	v_mov_b32_e32 v1, v0
	v_mov_b32_e32 v5, s17
	s_mov_b32 s3, s2
	v_mov_b32_e32 v2, v4
.LBB363_33:                             ; =>This Inner Loop Header: Depth=1
	v_ashrrev_i32_e32 v3, 31, v2
	v_lshlrev_b64 v[6:7], 2, v[2:3]
	v_add_co_u32_e32 v6, vcc, s16, v6
	v_addc_co_u32_e32 v7, vcc, v5, v7, vcc
	global_load_dwordx2 v[8:9], v[6:7], off
	s_add_i32 s3, s3, -2
	s_cmp_lg_u32 s3, 0
	v_add_u32_e32 v2, 2, v2
	s_waitcnt vmcnt(0)
	v_div_scale_f32 v3, s[0:1], v1, v1, v9
	v_div_scale_f32 v11, s[0:1], v0, v0, v8
	v_rcp_f32_e32 v12, v3
	v_rcp_f32_e32 v13, v11
	v_div_scale_f32 v10, vcc, v9, v1, v9
	v_fma_f32 v15, -v3, v12, 1.0
	v_fma_f32 v16, -v11, v13, 1.0
	v_fmac_f32_e32 v12, v15, v12
	v_div_scale_f32 v14, s[0:1], v8, v0, v8
	v_fmac_f32_e32 v13, v16, v13
	v_mul_f32_e32 v15, v10, v12
	v_mul_f32_e32 v16, v14, v13
	v_fma_f32 v17, -v3, v15, v10
	v_fma_f32 v18, -v11, v16, v14
	v_fmac_f32_e32 v15, v17, v12
	v_fmac_f32_e32 v16, v18, v13
	v_fma_f32 v3, -v3, v15, v10
	v_fma_f32 v10, -v11, v16, v14
	v_div_fmas_f32 v3, v3, v12, v15
	s_mov_b64 vcc, s[0:1]
	v_div_fixup_f32 v9, v3, v1, v9
	v_div_fmas_f32 v3, v10, v13, v16
	v_div_fixup_f32 v8, v3, v0, v8
	global_store_dwordx2 v[6:7], v[8:9], off
	s_cbranch_scc1 .LBB363_33
; %bb.34:
	s_cmp_lg_u32 s2, s8
	s_cselect_b64 s[0:1], -1, 0
.LBB363_35:
	s_and_b64 vcc, exec, s[0:1]
	s_cbranch_vccz .LBB363_38
; %bb.36:
	v_ashrrev_i32_e32 v1, 31, v4
	v_add_co_u32_e32 v2, vcc, s2, v4
	v_addc_co_u32_e32 v3, vcc, 0, v1, vcc
	v_lshlrev_b64 v[2:3], 2, v[2:3]
	v_mov_b32_e32 v1, s17
	v_add_co_u32_e32 v2, vcc, s16, v2
	s_sub_i32 s0, s8, s2
	v_addc_co_u32_e32 v3, vcc, v1, v3, vcc
.LBB363_37:                             ; =>This Inner Loop Header: Depth=1
	global_load_dword v1, v[2:3], off
	s_add_i32 s0, s0, -1
	s_cmp_lg_u32 s0, 0
	s_waitcnt vmcnt(0)
	v_div_scale_f32 v4, s[2:3], v0, v0, v1
	v_rcp_f32_e32 v5, v4
	v_div_scale_f32 v6, vcc, v1, v0, v1
	v_fma_f32 v7, -v4, v5, 1.0
	v_fmac_f32_e32 v5, v7, v5
	v_mul_f32_e32 v7, v6, v5
	v_fma_f32 v8, -v4, v7, v6
	v_fmac_f32_e32 v7, v8, v5
	v_fma_f32 v4, -v4, v7, v6
	v_div_fmas_f32 v4, v4, v5, v7
	v_div_fixup_f32 v1, v4, v0, v1
	global_store_dword v[2:3], v1, off
	v_add_co_u32_e32 v2, vcc, 4, v2
	v_addc_co_u32_e32 v3, vcc, 0, v3, vcc
	s_cbranch_scc1 .LBB363_37
.LBB363_38:
	s_endpgm
	.section	.rodata,"a",@progbits
	.p2align	6, 0x0
	.amdhsa_kernel _ZN4vllm3moe10topkGatingILi8ELi64ELi4ELi16ELi64El14__hip_bfloat16LNS0_11ScoringFuncE1EEEvPKT5_PKbPfiPT4_PiiiibPKf
		.amdhsa_group_segment_fixed_size 0
		.amdhsa_private_segment_fixed_size 0
		.amdhsa_kernarg_size 72
		.amdhsa_user_sgpr_count 6
		.amdhsa_user_sgpr_private_segment_buffer 1
		.amdhsa_user_sgpr_dispatch_ptr 0
		.amdhsa_user_sgpr_queue_ptr 0
		.amdhsa_user_sgpr_kernarg_segment_ptr 1
		.amdhsa_user_sgpr_dispatch_id 0
		.amdhsa_user_sgpr_flat_scratch_init 0
		.amdhsa_user_sgpr_kernarg_preload_length 0
		.amdhsa_user_sgpr_kernarg_preload_offset 0
		.amdhsa_user_sgpr_private_segment_size 0
		.amdhsa_uses_dynamic_stack 0
		.amdhsa_system_sgpr_private_segment_wavefront_offset 0
		.amdhsa_system_sgpr_workgroup_id_x 1
		.amdhsa_system_sgpr_workgroup_id_y 0
		.amdhsa_system_sgpr_workgroup_id_z 0
		.amdhsa_system_sgpr_workgroup_info 0
		.amdhsa_system_vgpr_workitem_id 1
		.amdhsa_next_free_vgpr 35
		.amdhsa_next_free_sgpr 26
		.amdhsa_accum_offset 36
		.amdhsa_reserve_vcc 1
		.amdhsa_reserve_flat_scratch 0
		.amdhsa_float_round_mode_32 0
		.amdhsa_float_round_mode_16_64 0
		.amdhsa_float_denorm_mode_32 3
		.amdhsa_float_denorm_mode_16_64 3
		.amdhsa_dx10_clamp 1
		.amdhsa_ieee_mode 1
		.amdhsa_fp16_overflow 0
		.amdhsa_tg_split 0
		.amdhsa_exception_fp_ieee_invalid_op 0
		.amdhsa_exception_fp_denorm_src 0
		.amdhsa_exception_fp_ieee_div_zero 0
		.amdhsa_exception_fp_ieee_overflow 0
		.amdhsa_exception_fp_ieee_underflow 0
		.amdhsa_exception_fp_ieee_inexact 0
		.amdhsa_exception_int_div_zero 0
	.end_amdhsa_kernel
	.section	.text._ZN4vllm3moe10topkGatingILi8ELi64ELi4ELi16ELi64El14__hip_bfloat16LNS0_11ScoringFuncE1EEEvPKT5_PKbPfiPT4_PiiiibPKf,"axG",@progbits,_ZN4vllm3moe10topkGatingILi8ELi64ELi4ELi16ELi64El14__hip_bfloat16LNS0_11ScoringFuncE1EEEvPKT5_PKbPfiPT4_PiiiibPKf,comdat
.Lfunc_end363:
	.size	_ZN4vllm3moe10topkGatingILi8ELi64ELi4ELi16ELi64El14__hip_bfloat16LNS0_11ScoringFuncE1EEEvPKT5_PKbPfiPT4_PiiiibPKf, .Lfunc_end363-_ZN4vllm3moe10topkGatingILi8ELi64ELi4ELi16ELi64El14__hip_bfloat16LNS0_11ScoringFuncE1EEEvPKT5_PKbPfiPT4_PiiiibPKf
                                        ; -- End function
	.section	.AMDGPU.csdata,"",@progbits
; Kernel info:
; codeLenInByte = 2892
; NumSgprs: 30
; NumVgprs: 35
; NumAgprs: 0
; TotalNumVgprs: 35
; ScratchSize: 0
; MemoryBound: 0
; FloatMode: 240
; IeeeMode: 1
; LDSByteSize: 0 bytes/workgroup (compile time only)
; SGPRBlocks: 3
; VGPRBlocks: 4
; NumSGPRsForWavesPerEU: 30
; NumVGPRsForWavesPerEU: 35
; AccumOffset: 36
; Occupancy: 8
; WaveLimiterHint : 0
; COMPUTE_PGM_RSRC2:SCRATCH_EN: 0
; COMPUTE_PGM_RSRC2:USER_SGPR: 6
; COMPUTE_PGM_RSRC2:TRAP_HANDLER: 0
; COMPUTE_PGM_RSRC2:TGID_X_EN: 1
; COMPUTE_PGM_RSRC2:TGID_Y_EN: 0
; COMPUTE_PGM_RSRC2:TGID_Z_EN: 0
; COMPUTE_PGM_RSRC2:TIDIG_COMP_CNT: 1
; COMPUTE_PGM_RSRC3_GFX90A:ACCUM_OFFSET: 8
; COMPUTE_PGM_RSRC3_GFX90A:TG_SPLIT: 0
	.section	.text._ZN4vllm3moe10topkGatingILi8ELi64ELi4ELi16ELi32El14__hip_bfloat16LNS0_11ScoringFuncE1EEEvPKT5_PKbPfiPT4_PiiiibPKf,"axG",@progbits,_ZN4vllm3moe10topkGatingILi8ELi64ELi4ELi16ELi32El14__hip_bfloat16LNS0_11ScoringFuncE1EEEvPKT5_PKbPfiPT4_PiiiibPKf,comdat
	.protected	_ZN4vllm3moe10topkGatingILi8ELi64ELi4ELi16ELi32El14__hip_bfloat16LNS0_11ScoringFuncE1EEEvPKT5_PKbPfiPT4_PiiiibPKf ; -- Begin function _ZN4vllm3moe10topkGatingILi8ELi64ELi4ELi16ELi32El14__hip_bfloat16LNS0_11ScoringFuncE1EEEvPKT5_PKbPfiPT4_PiiiibPKf
	.globl	_ZN4vllm3moe10topkGatingILi8ELi64ELi4ELi16ELi32El14__hip_bfloat16LNS0_11ScoringFuncE1EEEvPKT5_PKbPfiPT4_PiiiibPKf
	.p2align	8
	.type	_ZN4vllm3moe10topkGatingILi8ELi64ELi4ELi16ELi32El14__hip_bfloat16LNS0_11ScoringFuncE1EEEvPKT5_PKbPfiPT4_PiiiibPKf,@function
_ZN4vllm3moe10topkGatingILi8ELi64ELi4ELi16ELi32El14__hip_bfloat16LNS0_11ScoringFuncE1EEEvPKT5_PKbPfiPT4_PiiiibPKf: ; @_ZN4vllm3moe10topkGatingILi8ELi64ELi4ELi16ELi32El14__hip_bfloat16LNS0_11ScoringFuncE1EEEvPKT5_PKbPfiPT4_PiiiibPKf
; %bb.0:
	s_load_dword s24, s[4:5], 0x18
	v_bfe_u32 v1, v0, 10, 10
	v_and_b32_e32 v0, 0x3ff, v0
	s_lshl_b32 s0, s6, 4
	v_lshlrev_b32_e32 v1, 2, v1
	v_lshrrev_b32_e32 v2, 3, v0
	v_add3_u32 v16, s0, v1, v2
	s_waitcnt lgkmcnt(0)
	v_cmp_gt_i32_e32 vcc, s24, v16
	s_and_saveexec_b64 s[0:1], vcc
	s_cbranch_execz .LBB364_38
; %bb.1:
	s_load_dwordx4 s[0:3], s[4:5], 0x0
	s_load_dwordx2 s[16:17], s[4:5], 0x10
	s_mov_b64 s[8:9], -1
	s_mov_b64 s[18:19], -1
	s_waitcnt lgkmcnt(0)
	s_cmp_eq_u64 s[2:3], 0
	s_cbranch_scc1 .LBB364_3
; %bb.2:
	v_ashrrev_i32_e32 v1, 31, v16
	v_mov_b32_e32 v3, s3
	v_add_co_u32_e32 v2, vcc, s2, v16
	v_addc_co_u32_e32 v3, vcc, v3, v1, vcc
	global_load_ubyte v1, v[2:3], off
	s_waitcnt vmcnt(0)
	v_and_b32_e32 v1, 1, v1
	v_cmp_eq_u32_e32 vcc, 1, v1
	s_xor_b64 s[2:3], vcc, -1
	s_orn2_b64 s[18:19], s[2:3], exec
.LBB364_3:
	v_lshlrev_b32_e32 v2, 6, v16
	v_ashrrev_i32_e32 v3, 31, v2
	v_lshlrev_b64 v[2:3], 1, v[2:3]
	v_mov_b32_e32 v1, s1
	v_add_co_u32_e32 v2, vcc, s0, v2
	v_and_b32_e32 v17, 7, v0
	v_addc_co_u32_e32 v1, vcc, v1, v3, vcc
	v_lshlrev_b32_e32 v0, 4, v17
	v_add_co_u32_e32 v0, vcc, v2, v0
	v_addc_co_u32_e32 v1, vcc, 0, v1, vcc
	global_load_dwordx4 v[0:3], v[0:1], off
	v_mov_b32_e32 v8, 0x207
	s_load_dwordx2 s[10:11], s[4:5], 0x40
	v_lshlrev_b32_e32 v18, 3, v17
	s_waitcnt lgkmcnt(0)
	s_cmp_eq_u64 s[10:11], 0
	s_waitcnt vmcnt(0)
	v_lshlrev_b32_e32 v4, 16, v0
	v_and_b32_e32 v0, 0xffff0000, v0
	v_lshlrev_b32_e32 v5, 16, v1
	v_and_b32_e32 v1, 0xffff0000, v1
	v_mul_f32_e32 v4, 0xbfb8aa3b, v4
	v_mul_f32_e32 v9, 0xbfb8aa3b, v0
	;; [unrolled: 1-line block ×3, first 2 shown]
	v_exp_f32_e32 v0, v4
	v_exp_f32_e32 v1, v9
	v_lshlrev_b32_e32 v6, 16, v2
	v_and_b32_e32 v2, 0xffff0000, v2
	v_lshlrev_b32_e32 v7, 16, v3
	v_and_b32_e32 v3, 0xffff0000, v3
	v_mul_f32_e32 v5, 0xbfb8aa3b, v5
	v_mul_f32_e32 v11, 0xbfb8aa3b, v2
	v_mul_f32_e32 v12, 0xbfb8aa3b, v3
	v_exp_f32_e32 v2, v5
	v_exp_f32_e32 v3, v10
	v_pk_add_f32 v[0:1], v[0:1], 1.0 op_sel_hi:[1,0]
	v_div_scale_f32 v9, s[0:1], v1, v1, 1.0
	v_rcp_f32_e32 v21, v9
	v_exp_f32_e32 v5, v11
	v_div_scale_f32 v11, s[0:1], v0, v0, 1.0
	v_pk_add_f32 v[2:3], v[2:3], 1.0 op_sel_hi:[1,0]
	v_rcp_f32_e32 v22, v11
	v_div_scale_f32 v13, s[2:3], v3, v3, 1.0
	v_rcp_f32_e32 v23, v13
	v_fma_f32 v26, -v9, v21, 1.0
	v_div_scale_f32 v10, vcc, 1.0, v1, 1.0
	v_div_scale_f32 v15, s[6:7], v2, v2, 1.0
	v_fmac_f32_e32 v21, v26, v21
	v_mul_f32_e32 v6, 0xbfb8aa3b, v6
	v_mul_f32_e32 v7, 0xbfb8aa3b, v7
	v_rcp_f32_e32 v24, v15
	v_fma_f32 v27, -v11, v22, 1.0
	v_mul_f32_e32 v26, v10, v21
	v_exp_f32_e32 v4, v6
	v_exp_f32_e32 v6, v7
	;; [unrolled: 1-line block ×3, first 2 shown]
	v_div_scale_f32 v12, s[0:1], 1.0, v0, 1.0
	v_fmac_f32_e32 v22, v27, v22
	v_fma_f32 v30, -v9, v26, v10
	v_fma_f32 v28, -v13, v23, 1.0
	v_mul_f32_e32 v27, v12, v22
	v_fmac_f32_e32 v26, v30, v21
	v_div_scale_f32 v14, s[2:3], 1.0, v3, 1.0
	v_fmac_f32_e32 v23, v28, v23
	v_fma_f32 v31, -v11, v27, v12
	v_fma_f32 v9, -v9, v26, v10
	v_fma_f32 v29, -v15, v24, 1.0
	v_mul_f32_e32 v28, v14, v23
	v_fmac_f32_e32 v27, v31, v22
	v_div_fmas_f32 v9, v9, v21, v26
	v_div_scale_f32 v19, s[6:7], 1.0, v2, 1.0
	v_fmac_f32_e32 v24, v29, v24
	v_fma_f32 v32, -v13, v28, v14
	v_fma_f32 v10, -v11, v27, v12
	v_div_fixup_f32 v1, v9, v1, 1.0
	s_mov_b64 vcc, s[0:1]
	v_pk_add_f32 v[4:5], v[4:5], 1.0 op_sel_hi:[1,0]
	v_mul_f32_e32 v29, v19, v24
	v_fmac_f32_e32 v28, v32, v23
	v_div_fmas_f32 v9, v10, v22, v27
	v_cmp_class_f32_e32 vcc, v1, v8
	v_div_scale_f32 v20, s[12:13], v5, v5, 1.0
	v_fma_f32 v33, -v15, v29, v19
	v_fma_f32 v11, -v13, v28, v14
	v_div_fixup_f32 v0, v9, v0, 1.0
	v_cndmask_b32_e64 v1, v1, 0, vcc
	s_mov_b64 vcc, s[2:3]
	v_rcp_f32_e32 v25, v20
	v_fmac_f32_e32 v29, v33, v24
	v_div_fmas_f32 v9, v11, v23, v28
	v_cmp_class_f32_e32 vcc, v0, v8
	v_fma_f32 v12, -v15, v29, v19
	v_cndmask_b32_e64 v0, v0, 0, vcc
	s_mov_b64 vcc, s[6:7]
	v_div_fixup_f32 v3, v9, v3, 1.0
	v_div_fmas_f32 v9, v12, v24, v29
	v_div_fixup_f32 v2, v9, v2, 1.0
	v_cmp_class_f32_e32 vcc, v3, v8
	v_cndmask_b32_e64 v3, v3, 0, vcc
	v_cmp_class_f32_e32 vcc, v2, v8
	v_fma_f32 v9, -v20, v25, 1.0
	v_cndmask_b32_e64 v2, v2, 0, vcc
	v_fmac_f32_e32 v25, v9, v25
	v_div_scale_f32 v9, vcc, 1.0, v5, 1.0
	v_mul_f32_e32 v10, v9, v25
	v_fma_f32 v11, -v20, v10, v9
	v_fmac_f32_e32 v10, v11, v25
	v_div_scale_f32 v11, s[0:1], v4, v4, 1.0
	v_rcp_f32_e32 v12, v11
	v_fma_f32 v9, -v20, v10, v9
	v_div_fmas_f32 v9, v9, v25, v10
	v_div_fixup_f32 v5, v9, v5, 1.0
	v_fma_f32 v9, -v11, v12, 1.0
	v_fmac_f32_e32 v12, v9, v12
	v_div_scale_f32 v9, vcc, 1.0, v4, 1.0
	v_mul_f32_e32 v10, v9, v12
	v_fma_f32 v13, -v11, v10, v9
	v_fmac_f32_e32 v10, v13, v12
	v_fma_f32 v9, -v11, v10, v9
	v_div_fmas_f32 v9, v9, v12, v10
	v_pk_add_f32 v[6:7], v[6:7], 1.0 op_sel_hi:[1,0]
	v_div_fixup_f32 v4, v9, v4, 1.0
	v_div_scale_f32 v9, s[0:1], v7, v7, 1.0
	v_rcp_f32_e32 v10, v9
	v_cmp_class_f32_e32 vcc, v5, v8
	v_cndmask_b32_e64 v5, v5, 0, vcc
	v_cmp_class_f32_e32 vcc, v4, v8
	v_fma_f32 v11, -v9, v10, 1.0
	v_cndmask_b32_e64 v4, v4, 0, vcc
	v_fmac_f32_e32 v10, v11, v10
	v_div_scale_f32 v11, vcc, 1.0, v7, 1.0
	v_mul_f32_e32 v12, v11, v10
	v_fma_f32 v13, -v9, v12, v11
	v_fmac_f32_e32 v12, v13, v10
	v_fma_f32 v9, -v9, v12, v11
	v_div_scale_f32 v11, s[0:1], v6, v6, 1.0
	v_rcp_f32_e32 v13, v11
	v_div_fmas_f32 v9, v9, v10, v12
	v_div_fixup_f32 v7, v9, v7, 1.0
	v_fma_f32 v9, -v11, v13, 1.0
	v_fmac_f32_e32 v13, v9, v13
	v_div_scale_f32 v9, vcc, 1.0, v6, 1.0
	v_mul_f32_e32 v10, v9, v13
	v_fma_f32 v12, -v11, v10, v9
	v_fmac_f32_e32 v10, v12, v13
	v_fma_f32 v9, -v11, v10, v9
	v_div_fmas_f32 v9, v9, v13, v10
	v_div_fixup_f32 v6, v9, v6, 1.0
	v_cmp_class_f32_e32 vcc, v7, v8
	v_cndmask_b32_e64 v7, v7, 0, vcc
	v_cmp_class_f32_e32 vcc, v6, v8
	v_cndmask_b32_e64 v6, v6, 0, vcc
	s_cbranch_scc1 .LBB364_27
; %bb.4:
	v_lshlrev_b32_e32 v19, 2, v18
	global_load_dwordx4 v[8:11], v19, s[10:11]
	global_load_dwordx4 v[12:15], v19, s[10:11] offset:16
	s_waitcnt vmcnt(1)
	v_pk_add_f32 v[8:9], v[8:9], v[0:1]
	v_pk_add_f32 v[10:11], v[10:11], v[2:3]
	s_waitcnt vmcnt(0)
	v_pk_add_f32 v[12:13], v[12:13], v[4:5]
	v_pk_add_f32 v[14:15], v[14:15], v[6:7]
	s_cbranch_execnz .LBB364_6
.LBB364_5:
	v_pk_mov_b32 v[14:15], v[6:7], v[6:7] op_sel:[0,1]
	v_pk_mov_b32 v[12:13], v[4:5], v[4:5] op_sel:[0,1]
	;; [unrolled: 1-line block ×4, first 2 shown]
.LBB364_6:
	s_load_dwordx4 s[8:11], s[4:5], 0x30
	s_mov_b32 s25, 0
	v_cmp_eq_u32_e64 s[0:1], 0, v17
	s_waitcnt lgkmcnt(0)
	s_bitcmp1_b32 s11, 0
	s_cselect_b64 vcc, -1, 0
	s_cmp_gt_i32 s8, 0
	s_cselect_b64 s[6:7], -1, 0
	s_cmp_lt_i32 s8, 1
	s_cbranch_scc1 .LBB364_28
; %bb.7:
	v_mbcnt_lo_u32_b32 v19, -1, 0
	v_mbcnt_hi_u32_b32 v19, -1, v19
	v_and_b32_e32 v20, 0x78, v19
	v_add_u32_e32 v23, 8, v20
	v_xor_b32_e32 v21, 4, v19
	s_load_dwordx4 s[12:15], s[4:5], 0x20
	v_cmp_lt_i32_e64 s[2:3], v21, v23
	v_xor_b32_e32 v22, 2, v19
	v_cndmask_b32_e64 v21, v19, v21, s[2:3]
	v_cmp_lt_i32_e64 s[2:3], v22, v23
	v_xor_b32_e32 v24, 1, v19
	v_cndmask_b32_e64 v22, v19, v22, s[2:3]
	v_cmp_lt_i32_e64 s[2:3], v24, v23
	v_cndmask_b32_e64 v19, v19, v24, s[2:3]
	v_mul_lo_u32 v20, v16, s8
	v_lshlrev_b32_e32 v21, 2, v21
	v_lshlrev_b32_e32 v22, 2, v22
	;; [unrolled: 1-line block ×3, first 2 shown]
	v_mov_b32_e32 v19, 0
	v_mov_b32_e32 v24, 0xc61c4000
	;; [unrolled: 1-line block ×3, first 2 shown]
	s_branch .LBB364_10
.LBB364_8:                              ;   in Loop: Header=BB364_10 Depth=1
	s_or_b64 exec, exec, s[4:5]
.LBB364_9:                              ;   in Loop: Header=BB364_10 Depth=1
	s_cmp_eq_u32 s8, s25
	v_add_u32_e32 v25, s24, v25
	s_cbranch_scc1 .LBB364_29
.LBB364_10:                             ; =>This Inner Loop Header: Depth=1
	v_cmp_gt_f32_e64 s[2:3], v9, v8
	v_cndmask_b32_e64 v28, v8, v9, s[2:3]
	v_cndmask_b32_e64 v26, 0, 1, s[2:3]
	v_cndmask_b32_e64 v27, v0, v1, s[2:3]
	v_cmp_gt_f32_e64 s[2:3], v10, v28
	v_cndmask_b32_e64 v28, v28, v10, s[2:3]
	v_cndmask_b32_e64 v26, v26, 2, s[2:3]
	v_cndmask_b32_e64 v27, v27, v2, s[2:3]
	;; [unrolled: 4-line block ×6, first 2 shown]
	v_cmp_gt_f32_e64 s[2:3], v15, v28
	v_cndmask_b32_e64 v26, v26, 7, s[2:3]
	v_cndmask_b32_e64 v28, v28, v15, s[2:3]
	v_or_b32_e32 v26, v18, v26
	v_cndmask_b32_e64 v27, v27, v7, s[2:3]
	s_waitcnt lgkmcnt(0)
	ds_bpermute_b32 v29, v21, v28
	ds_bpermute_b32 v31, v21, v27
	;; [unrolled: 1-line block ×3, first 2 shown]
	s_waitcnt lgkmcnt(0)
	v_cmp_lt_f32_e64 s[20:21], v28, v29
	v_cmp_nlt_f32_e64 s[2:3], v28, v29
	s_and_saveexec_b64 s[22:23], s[2:3]
; %bb.11:                               ;   in Loop: Header=BB364_10 Depth=1
	v_cmp_eq_f32_e64 s[2:3], v28, v29
	v_cmp_lt_i32_e64 s[4:5], v30, v26
	s_and_b64 s[2:3], s[2:3], s[4:5]
	s_andn2_b64 s[4:5], s[20:21], exec
	s_and_b64 s[2:3], s[2:3], exec
	s_or_b64 s[20:21], s[4:5], s[2:3]
; %bb.12:                               ;   in Loop: Header=BB364_10 Depth=1
	s_or_b64 exec, exec, s[22:23]
	s_and_saveexec_b64 s[2:3], s[20:21]
; %bb.13:                               ;   in Loop: Header=BB364_10 Depth=1
	v_mov_b32_e32 v27, v31
	v_mov_b32_e32 v28, v29
	;; [unrolled: 1-line block ×3, first 2 shown]
; %bb.14:                               ;   in Loop: Header=BB364_10 Depth=1
	s_or_b64 exec, exec, s[2:3]
	ds_bpermute_b32 v29, v22, v28
	ds_bpermute_b32 v31, v22, v27
	ds_bpermute_b32 v30, v22, v26
	s_waitcnt lgkmcnt(2)
	v_cmp_lt_f32_e64 s[20:21], v28, v29
	v_cmp_nlt_f32_e64 s[2:3], v28, v29
	s_and_saveexec_b64 s[22:23], s[2:3]
	s_cbranch_execz .LBB364_16
; %bb.15:                               ;   in Loop: Header=BB364_10 Depth=1
	v_cmp_eq_f32_e64 s[2:3], v28, v29
	s_waitcnt lgkmcnt(0)
	v_cmp_lt_i32_e64 s[4:5], v30, v26
	s_and_b64 s[2:3], s[2:3], s[4:5]
	s_andn2_b64 s[4:5], s[20:21], exec
	s_and_b64 s[2:3], s[2:3], exec
	s_or_b64 s[20:21], s[4:5], s[2:3]
.LBB364_16:                             ;   in Loop: Header=BB364_10 Depth=1
	s_or_b64 exec, exec, s[22:23]
	s_and_saveexec_b64 s[2:3], s[20:21]
	s_cbranch_execz .LBB364_18
; %bb.17:                               ;   in Loop: Header=BB364_10 Depth=1
	s_waitcnt lgkmcnt(1)
	v_mov_b32_e32 v27, v31
	v_mov_b32_e32 v28, v29
	s_waitcnt lgkmcnt(0)
	v_mov_b32_e32 v26, v30
.LBB364_18:                             ;   in Loop: Header=BB364_10 Depth=1
	s_or_b64 exec, exec, s[2:3]
	s_waitcnt lgkmcnt(1)
	ds_bpermute_b32 v31, v23, v28
	ds_bpermute_b32 v29, v23, v27
	s_waitcnt lgkmcnt(2)
	ds_bpermute_b32 v30, v23, v26
	s_waitcnt lgkmcnt(2)
	v_cmp_lt_f32_e64 s[20:21], v28, v31
	v_cmp_nlt_f32_e64 s[2:3], v28, v31
	s_and_saveexec_b64 s[22:23], s[2:3]
	s_cbranch_execnz .LBB364_22
; %bb.19:                               ;   in Loop: Header=BB364_10 Depth=1
	s_or_b64 exec, exec, s[22:23]
	s_and_saveexec_b64 s[2:3], s[20:21]
	s_cbranch_execnz .LBB364_23
.LBB364_20:                             ;   in Loop: Header=BB364_10 Depth=1
	s_or_b64 exec, exec, s[2:3]
	s_and_saveexec_b64 s[20:21], s[0:1]
	s_cbranch_execnz .LBB364_24
.LBB364_21:                             ;   in Loop: Header=BB364_10 Depth=1
	s_or_b64 exec, exec, s[20:21]
	s_add_i32 s25, s25, 1
	s_cmp_ge_i32 s25, s8
	s_cbranch_scc1 .LBB364_9
	s_branch .LBB364_25
.LBB364_22:                             ;   in Loop: Header=BB364_10 Depth=1
	v_cmp_eq_f32_e64 s[2:3], v28, v31
	s_waitcnt lgkmcnt(0)
	v_cmp_lt_i32_e64 s[4:5], v30, v26
	s_and_b64 s[2:3], s[2:3], s[4:5]
	s_andn2_b64 s[4:5], s[20:21], exec
	s_and_b64 s[2:3], s[2:3], exec
	s_or_b64 s[20:21], s[4:5], s[2:3]
	s_or_b64 exec, exec, s[22:23]
	s_and_saveexec_b64 s[2:3], s[20:21]
	s_cbranch_execz .LBB364_20
.LBB364_23:                             ;   in Loop: Header=BB364_10 Depth=1
	s_waitcnt lgkmcnt(0)
	v_mov_b32_e32 v26, v30
	v_mov_b32_e32 v27, v29
	s_or_b64 exec, exec, s[2:3]
	s_and_saveexec_b64 s[20:21], s[0:1]
	s_cbranch_execz .LBB364_21
.LBB364_24:                             ;   in Loop: Header=BB364_10 Depth=1
	v_add_u32_e32 v28, s25, v20
	s_waitcnt lgkmcnt(1)
	v_ashrrev_i32_e32 v29, 31, v28
	v_cmp_le_i32_e64 s[2:3], s9, v26
	v_cmp_gt_i32_e64 s[4:5], s10, v26
	s_waitcnt lgkmcnt(0)
	v_lshlrev_b64 v[30:31], 2, v[28:29]
	s_and_b64 s[4:5], s[2:3], s[4:5]
	v_mov_b32_e32 v33, s17
	v_add_co_u32_e64 v32, s[2:3], s16, v30
	v_addc_co_u32_e64 v33, s[2:3], v33, v31, s[2:3]
	global_store_dword v[32:33], v27, off
	v_subrev_u32_e32 v32, s9, v26
	v_ashrrev_i32_e32 v33, 31, v32
	s_and_b64 s[2:3], s[18:19], s[4:5]
	v_lshlrev_b64 v[28:29], 3, v[28:29]
	v_cndmask_b32_e64 v33, 0, v33, s[2:3]
	v_cndmask_b32_e64 v32, 64, v32, s[2:3]
	v_mov_b32_e32 v34, s13
	v_add_co_u32_e64 v28, s[2:3], s12, v28
	v_addc_co_u32_e64 v29, s[2:3], v34, v29, s[2:3]
	global_store_dwordx2 v[28:29], v[32:33], off
	v_mov_b32_e32 v29, s15
	v_add_co_u32_e64 v28, s[2:3], s14, v30
	v_add_f32_e32 v27, v19, v27
	v_addc_co_u32_e64 v29, s[2:3], v29, v31, s[2:3]
	v_cndmask_b32_e32 v19, v19, v27, vcc
	global_store_dword v[28:29], v25, off
	s_or_b64 exec, exec, s[20:21]
	s_add_i32 s25, s25, 1
	s_cmp_ge_i32 s25, s8
	s_cbranch_scc1 .LBB364_9
.LBB364_25:                             ;   in Loop: Header=BB364_10 Depth=1
	v_ashrrev_i32_e32 v28, 31, v26
	v_lshrrev_b32_e32 v27, 29, v28
	v_add_u32_e32 v27, v26, v27
	v_ashrrev_i32_e32 v27, 3, v27
	s_waitcnt lgkmcnt(1)
	v_lshrrev_b32_e32 v29, 29, v27
	v_add_u32_e32 v29, v27, v29
	v_and_b32_e32 v29, -8, v29
	v_sub_u32_e32 v29, v27, v29
	v_cmp_eq_u32_e64 s[2:3], v17, v29
	s_and_saveexec_b64 s[4:5], s[2:3]
	s_cbranch_execz .LBB364_8
; %bb.26:                               ;   in Loop: Header=BB364_10 Depth=1
	v_lshrrev_b32_e32 v28, 26, v28
	v_add_u32_e32 v28, v26, v28
	v_lshlrev_b32_e32 v27, 3, v27
	v_ashrrev_i32_e32 v28, 6, v28
	v_sub_u32_e32 v26, v26, v27
	v_lshl_add_u32 v26, v28, 3, v26
	v_cmp_ne_u32_e64 s[2:3], 7, v26
	v_cndmask_b32_e64 v15, v24, v15, s[2:3]
	v_cmp_ne_u32_e64 s[2:3], 6, v26
	v_cndmask_b32_e64 v14, v24, v14, s[2:3]
	;; [unrolled: 2-line block ×8, first 2 shown]
	s_branch .LBB364_8
.LBB364_27:
                                        ; implicit-def: $vgpr8_vgpr9_vgpr10_vgpr11_vgpr12_vgpr13_vgpr14_vgpr15
	s_andn2_b64 vcc, exec, s[8:9]
	s_cbranch_vccz .LBB364_5
	s_branch .LBB364_6
.LBB364_28:
	v_mov_b32_e32 v19, 0
.LBB364_29:
	v_cmp_eq_u32_e64 s[0:1], 0, v17
	s_and_b64 s[0:1], s[0:1], vcc
	s_and_b64 exec, exec, s[0:1]
	s_cbranch_execz .LBB364_38
; %bb.30:
	s_andn2_b64 vcc, exec, s[6:7]
	s_cbranch_vccnz .LBB364_38
; %bb.31:
	v_cmp_lt_f32_e32 vcc, 0, v19
	s_mov_b32 s2, 0
	v_cndmask_b32_e32 v0, 1.0, v19, vcc
	v_mul_lo_u32 v4, v16, s8
	s_cmp_eq_u32 s8, 1
	s_mov_b64 s[0:1], -1
	s_cbranch_scc1 .LBB364_35
; %bb.32:
	s_and_b32 s2, s8, 0x7ffffffe
	v_mov_b32_e32 v1, v0
	v_mov_b32_e32 v5, s17
	s_mov_b32 s3, s2
	v_mov_b32_e32 v2, v4
.LBB364_33:                             ; =>This Inner Loop Header: Depth=1
	v_ashrrev_i32_e32 v3, 31, v2
	v_lshlrev_b64 v[6:7], 2, v[2:3]
	v_add_co_u32_e32 v6, vcc, s16, v6
	v_addc_co_u32_e32 v7, vcc, v5, v7, vcc
	global_load_dwordx2 v[8:9], v[6:7], off
	s_add_i32 s3, s3, -2
	s_cmp_lg_u32 s3, 0
	v_add_u32_e32 v2, 2, v2
	s_waitcnt vmcnt(0)
	v_div_scale_f32 v3, s[0:1], v1, v1, v9
	v_div_scale_f32 v11, s[0:1], v0, v0, v8
	v_rcp_f32_e32 v12, v3
	v_rcp_f32_e32 v13, v11
	v_div_scale_f32 v10, vcc, v9, v1, v9
	v_fma_f32 v15, -v3, v12, 1.0
	v_fma_f32 v16, -v11, v13, 1.0
	v_fmac_f32_e32 v12, v15, v12
	v_div_scale_f32 v14, s[0:1], v8, v0, v8
	v_fmac_f32_e32 v13, v16, v13
	v_mul_f32_e32 v15, v10, v12
	v_mul_f32_e32 v16, v14, v13
	v_fma_f32 v17, -v3, v15, v10
	v_fma_f32 v18, -v11, v16, v14
	v_fmac_f32_e32 v15, v17, v12
	v_fmac_f32_e32 v16, v18, v13
	v_fma_f32 v3, -v3, v15, v10
	v_fma_f32 v10, -v11, v16, v14
	v_div_fmas_f32 v3, v3, v12, v15
	s_mov_b64 vcc, s[0:1]
	v_div_fixup_f32 v9, v3, v1, v9
	v_div_fmas_f32 v3, v10, v13, v16
	v_div_fixup_f32 v8, v3, v0, v8
	global_store_dwordx2 v[6:7], v[8:9], off
	s_cbranch_scc1 .LBB364_33
; %bb.34:
	s_cmp_lg_u32 s2, s8
	s_cselect_b64 s[0:1], -1, 0
.LBB364_35:
	s_and_b64 vcc, exec, s[0:1]
	s_cbranch_vccz .LBB364_38
; %bb.36:
	v_ashrrev_i32_e32 v1, 31, v4
	v_add_co_u32_e32 v2, vcc, s2, v4
	v_addc_co_u32_e32 v3, vcc, 0, v1, vcc
	v_lshlrev_b64 v[2:3], 2, v[2:3]
	v_mov_b32_e32 v1, s17
	v_add_co_u32_e32 v2, vcc, s16, v2
	s_sub_i32 s0, s8, s2
	v_addc_co_u32_e32 v3, vcc, v1, v3, vcc
.LBB364_37:                             ; =>This Inner Loop Header: Depth=1
	global_load_dword v1, v[2:3], off
	s_add_i32 s0, s0, -1
	s_cmp_lg_u32 s0, 0
	s_waitcnt vmcnt(0)
	v_div_scale_f32 v4, s[2:3], v0, v0, v1
	v_rcp_f32_e32 v5, v4
	v_div_scale_f32 v6, vcc, v1, v0, v1
	v_fma_f32 v7, -v4, v5, 1.0
	v_fmac_f32_e32 v5, v7, v5
	v_mul_f32_e32 v7, v6, v5
	v_fma_f32 v8, -v4, v7, v6
	v_fmac_f32_e32 v7, v8, v5
	v_fma_f32 v4, -v4, v7, v6
	v_div_fmas_f32 v4, v4, v5, v7
	v_div_fixup_f32 v1, v4, v0, v1
	global_store_dword v[2:3], v1, off
	v_add_co_u32_e32 v2, vcc, 4, v2
	v_addc_co_u32_e32 v3, vcc, 0, v3, vcc
	s_cbranch_scc1 .LBB364_37
.LBB364_38:
	s_endpgm
	.section	.rodata,"a",@progbits
	.p2align	6, 0x0
	.amdhsa_kernel _ZN4vllm3moe10topkGatingILi8ELi64ELi4ELi16ELi32El14__hip_bfloat16LNS0_11ScoringFuncE1EEEvPKT5_PKbPfiPT4_PiiiibPKf
		.amdhsa_group_segment_fixed_size 0
		.amdhsa_private_segment_fixed_size 0
		.amdhsa_kernarg_size 72
		.amdhsa_user_sgpr_count 6
		.amdhsa_user_sgpr_private_segment_buffer 1
		.amdhsa_user_sgpr_dispatch_ptr 0
		.amdhsa_user_sgpr_queue_ptr 0
		.amdhsa_user_sgpr_kernarg_segment_ptr 1
		.amdhsa_user_sgpr_dispatch_id 0
		.amdhsa_user_sgpr_flat_scratch_init 0
		.amdhsa_user_sgpr_kernarg_preload_length 0
		.amdhsa_user_sgpr_kernarg_preload_offset 0
		.amdhsa_user_sgpr_private_segment_size 0
		.amdhsa_uses_dynamic_stack 0
		.amdhsa_system_sgpr_private_segment_wavefront_offset 0
		.amdhsa_system_sgpr_workgroup_id_x 1
		.amdhsa_system_sgpr_workgroup_id_y 0
		.amdhsa_system_sgpr_workgroup_id_z 0
		.amdhsa_system_sgpr_workgroup_info 0
		.amdhsa_system_vgpr_workitem_id 1
		.amdhsa_next_free_vgpr 35
		.amdhsa_next_free_sgpr 26
		.amdhsa_accum_offset 36
		.amdhsa_reserve_vcc 1
		.amdhsa_reserve_flat_scratch 0
		.amdhsa_float_round_mode_32 0
		.amdhsa_float_round_mode_16_64 0
		.amdhsa_float_denorm_mode_32 3
		.amdhsa_float_denorm_mode_16_64 3
		.amdhsa_dx10_clamp 1
		.amdhsa_ieee_mode 1
		.amdhsa_fp16_overflow 0
		.amdhsa_tg_split 0
		.amdhsa_exception_fp_ieee_invalid_op 0
		.amdhsa_exception_fp_denorm_src 0
		.amdhsa_exception_fp_ieee_div_zero 0
		.amdhsa_exception_fp_ieee_overflow 0
		.amdhsa_exception_fp_ieee_underflow 0
		.amdhsa_exception_fp_ieee_inexact 0
		.amdhsa_exception_int_div_zero 0
	.end_amdhsa_kernel
	.section	.text._ZN4vllm3moe10topkGatingILi8ELi64ELi4ELi16ELi32El14__hip_bfloat16LNS0_11ScoringFuncE1EEEvPKT5_PKbPfiPT4_PiiiibPKf,"axG",@progbits,_ZN4vllm3moe10topkGatingILi8ELi64ELi4ELi16ELi32El14__hip_bfloat16LNS0_11ScoringFuncE1EEEvPKT5_PKbPfiPT4_PiiiibPKf,comdat
.Lfunc_end364:
	.size	_ZN4vllm3moe10topkGatingILi8ELi64ELi4ELi16ELi32El14__hip_bfloat16LNS0_11ScoringFuncE1EEEvPKT5_PKbPfiPT4_PiiiibPKf, .Lfunc_end364-_ZN4vllm3moe10topkGatingILi8ELi64ELi4ELi16ELi32El14__hip_bfloat16LNS0_11ScoringFuncE1EEEvPKT5_PKbPfiPT4_PiiiibPKf
                                        ; -- End function
	.section	.AMDGPU.csdata,"",@progbits
; Kernel info:
; codeLenInByte = 2892
; NumSgprs: 30
; NumVgprs: 35
; NumAgprs: 0
; TotalNumVgprs: 35
; ScratchSize: 0
; MemoryBound: 0
; FloatMode: 240
; IeeeMode: 1
; LDSByteSize: 0 bytes/workgroup (compile time only)
; SGPRBlocks: 3
; VGPRBlocks: 4
; NumSGPRsForWavesPerEU: 30
; NumVGPRsForWavesPerEU: 35
; AccumOffset: 36
; Occupancy: 8
; WaveLimiterHint : 0
; COMPUTE_PGM_RSRC2:SCRATCH_EN: 0
; COMPUTE_PGM_RSRC2:USER_SGPR: 6
; COMPUTE_PGM_RSRC2:TRAP_HANDLER: 0
; COMPUTE_PGM_RSRC2:TGID_X_EN: 1
; COMPUTE_PGM_RSRC2:TGID_Y_EN: 0
; COMPUTE_PGM_RSRC2:TGID_Z_EN: 0
; COMPUTE_PGM_RSRC2:TIDIG_COMP_CNT: 1
; COMPUTE_PGM_RSRC3_GFX90A:ACCUM_OFFSET: 8
; COMPUTE_PGM_RSRC3_GFX90A:TG_SPLIT: 0
	.section	.text._ZN4vllm3moe10topkGatingILi8ELi128ELi4ELi16ELi64El14__hip_bfloat16LNS0_11ScoringFuncE1EEEvPKT5_PKbPfiPT4_PiiiibPKf,"axG",@progbits,_ZN4vllm3moe10topkGatingILi8ELi128ELi4ELi16ELi64El14__hip_bfloat16LNS0_11ScoringFuncE1EEEvPKT5_PKbPfiPT4_PiiiibPKf,comdat
	.protected	_ZN4vllm3moe10topkGatingILi8ELi128ELi4ELi16ELi64El14__hip_bfloat16LNS0_11ScoringFuncE1EEEvPKT5_PKbPfiPT4_PiiiibPKf ; -- Begin function _ZN4vllm3moe10topkGatingILi8ELi128ELi4ELi16ELi64El14__hip_bfloat16LNS0_11ScoringFuncE1EEEvPKT5_PKbPfiPT4_PiiiibPKf
	.globl	_ZN4vllm3moe10topkGatingILi8ELi128ELi4ELi16ELi64El14__hip_bfloat16LNS0_11ScoringFuncE1EEEvPKT5_PKbPfiPT4_PiiiibPKf
	.p2align	8
	.type	_ZN4vllm3moe10topkGatingILi8ELi128ELi4ELi16ELi64El14__hip_bfloat16LNS0_11ScoringFuncE1EEEvPKT5_PKbPfiPT4_PiiiibPKf,@function
_ZN4vllm3moe10topkGatingILi8ELi128ELi4ELi16ELi64El14__hip_bfloat16LNS0_11ScoringFuncE1EEEvPKT5_PKbPfiPT4_PiiiibPKf: ; @_ZN4vllm3moe10topkGatingILi8ELi128ELi4ELi16ELi64El14__hip_bfloat16LNS0_11ScoringFuncE1EEEvPKT5_PKbPfiPT4_PiiiibPKf
; %bb.0:
	s_load_dword s24, s[4:5], 0x18
	v_bfe_u32 v1, v0, 10, 10
	v_and_b32_e32 v0, 0x3ff, v0
	s_lshl_b32 s0, s6, 4
	v_lshlrev_b32_e32 v1, 2, v1
	v_lshrrev_b32_e32 v2, 4, v0
	v_add3_u32 v17, s0, v1, v2
	s_waitcnt lgkmcnt(0)
	v_cmp_gt_i32_e32 vcc, s24, v17
	s_and_saveexec_b64 s[0:1], vcc
	s_cbranch_execz .LBB365_38
; %bb.1:
	s_load_dwordx4 s[0:3], s[4:5], 0x0
	s_load_dwordx2 s[16:17], s[4:5], 0x10
	s_mov_b64 s[8:9], -1
	s_mov_b64 s[18:19], -1
	s_waitcnt lgkmcnt(0)
	s_cmp_eq_u64 s[2:3], 0
	s_cbranch_scc1 .LBB365_3
; %bb.2:
	v_ashrrev_i32_e32 v1, 31, v17
	v_mov_b32_e32 v3, s3
	v_add_co_u32_e32 v2, vcc, s2, v17
	v_addc_co_u32_e32 v3, vcc, v3, v1, vcc
	global_load_ubyte v1, v[2:3], off
	s_waitcnt vmcnt(0)
	v_and_b32_e32 v1, 1, v1
	v_cmp_eq_u32_e32 vcc, 1, v1
	s_xor_b64 s[2:3], vcc, -1
	s_orn2_b64 s[18:19], s[2:3], exec
.LBB365_3:
	v_lshlrev_b32_e32 v2, 7, v17
	v_ashrrev_i32_e32 v3, 31, v2
	v_lshlrev_b64 v[2:3], 1, v[2:3]
	v_mov_b32_e32 v1, s1
	v_add_co_u32_e32 v2, vcc, s0, v2
	v_and_b32_e32 v21, 15, v0
	v_addc_co_u32_e32 v1, vcc, v1, v3, vcc
	v_lshlrev_b32_e32 v0, 4, v21
	v_add_co_u32_e32 v0, vcc, v2, v0
	v_addc_co_u32_e32 v1, vcc, 0, v1, vcc
	global_load_dwordx4 v[0:3], v[0:1], off
	v_mov_b32_e32 v8, 0x207
	s_load_dwordx2 s[10:11], s[4:5], 0x40
	v_lshlrev_b32_e32 v22, 3, v21
	s_waitcnt lgkmcnt(0)
	s_cmp_eq_u64 s[10:11], 0
	s_waitcnt vmcnt(0)
	v_lshlrev_b32_e32 v4, 16, v0
	v_and_b32_e32 v0, 0xffff0000, v0
	v_lshlrev_b32_e32 v5, 16, v1
	v_and_b32_e32 v1, 0xffff0000, v1
	v_mul_f32_e32 v4, 0xbfb8aa3b, v4
	v_mul_f32_e32 v9, 0xbfb8aa3b, v0
	;; [unrolled: 1-line block ×3, first 2 shown]
	v_exp_f32_e32 v0, v4
	v_exp_f32_e32 v1, v9
	v_lshlrev_b32_e32 v6, 16, v2
	v_and_b32_e32 v2, 0xffff0000, v2
	v_lshlrev_b32_e32 v7, 16, v3
	v_and_b32_e32 v3, 0xffff0000, v3
	v_mul_f32_e32 v5, 0xbfb8aa3b, v5
	v_mul_f32_e32 v11, 0xbfb8aa3b, v2
	v_mul_f32_e32 v12, 0xbfb8aa3b, v3
	v_exp_f32_e32 v2, v5
	v_exp_f32_e32 v3, v10
	v_pk_add_f32 v[0:1], v[0:1], 1.0 op_sel_hi:[1,0]
	v_div_scale_f32 v9, s[0:1], v1, v1, 1.0
	v_rcp_f32_e32 v19, v9
	v_exp_f32_e32 v5, v11
	v_div_scale_f32 v11, s[0:1], v0, v0, 1.0
	v_pk_add_f32 v[2:3], v[2:3], 1.0 op_sel_hi:[1,0]
	v_rcp_f32_e32 v20, v11
	v_div_scale_f32 v13, s[2:3], v3, v3, 1.0
	v_rcp_f32_e32 v23, v13
	v_fma_f32 v26, -v9, v19, 1.0
	v_div_scale_f32 v10, vcc, 1.0, v1, 1.0
	v_div_scale_f32 v15, s[6:7], v2, v2, 1.0
	v_fmac_f32_e32 v19, v26, v19
	v_mul_f32_e32 v6, 0xbfb8aa3b, v6
	v_mul_f32_e32 v7, 0xbfb8aa3b, v7
	v_rcp_f32_e32 v24, v15
	v_fma_f32 v27, -v11, v20, 1.0
	v_mul_f32_e32 v26, v10, v19
	v_exp_f32_e32 v4, v6
	v_exp_f32_e32 v6, v7
	;; [unrolled: 1-line block ×3, first 2 shown]
	v_div_scale_f32 v12, s[0:1], 1.0, v0, 1.0
	v_fmac_f32_e32 v20, v27, v20
	v_fma_f32 v30, -v9, v26, v10
	v_fma_f32 v28, -v13, v23, 1.0
	v_mul_f32_e32 v27, v12, v20
	v_fmac_f32_e32 v26, v30, v19
	v_div_scale_f32 v14, s[2:3], 1.0, v3, 1.0
	v_fmac_f32_e32 v23, v28, v23
	v_fma_f32 v31, -v11, v27, v12
	v_fma_f32 v9, -v9, v26, v10
	v_fma_f32 v29, -v15, v24, 1.0
	v_mul_f32_e32 v28, v14, v23
	v_fmac_f32_e32 v27, v31, v20
	v_div_fmas_f32 v9, v9, v19, v26
	v_div_scale_f32 v16, s[6:7], 1.0, v2, 1.0
	v_fmac_f32_e32 v24, v29, v24
	v_fma_f32 v32, -v13, v28, v14
	v_fma_f32 v10, -v11, v27, v12
	v_div_fixup_f32 v1, v9, v1, 1.0
	s_mov_b64 vcc, s[0:1]
	v_pk_add_f32 v[4:5], v[4:5], 1.0 op_sel_hi:[1,0]
	v_mul_f32_e32 v29, v16, v24
	v_fmac_f32_e32 v28, v32, v23
	v_div_fmas_f32 v9, v10, v20, v27
	v_cmp_class_f32_e32 vcc, v1, v8
	v_div_scale_f32 v18, s[12:13], v5, v5, 1.0
	v_fma_f32 v33, -v15, v29, v16
	v_fma_f32 v11, -v13, v28, v14
	v_div_fixup_f32 v0, v9, v0, 1.0
	v_cndmask_b32_e64 v1, v1, 0, vcc
	s_mov_b64 vcc, s[2:3]
	v_rcp_f32_e32 v25, v18
	v_fmac_f32_e32 v29, v33, v24
	v_div_fmas_f32 v9, v11, v23, v28
	v_cmp_class_f32_e32 vcc, v0, v8
	v_fma_f32 v12, -v15, v29, v16
	v_cndmask_b32_e64 v0, v0, 0, vcc
	s_mov_b64 vcc, s[6:7]
	v_div_fixup_f32 v3, v9, v3, 1.0
	v_div_fmas_f32 v9, v12, v24, v29
	v_div_fixup_f32 v2, v9, v2, 1.0
	v_cmp_class_f32_e32 vcc, v3, v8
	v_cndmask_b32_e64 v3, v3, 0, vcc
	v_cmp_class_f32_e32 vcc, v2, v8
	v_fma_f32 v9, -v18, v25, 1.0
	v_cndmask_b32_e64 v2, v2, 0, vcc
	v_fmac_f32_e32 v25, v9, v25
	v_div_scale_f32 v9, vcc, 1.0, v5, 1.0
	v_mul_f32_e32 v10, v9, v25
	v_fma_f32 v11, -v18, v10, v9
	v_fmac_f32_e32 v10, v11, v25
	v_div_scale_f32 v11, s[0:1], v4, v4, 1.0
	v_rcp_f32_e32 v12, v11
	v_fma_f32 v9, -v18, v10, v9
	v_div_fmas_f32 v9, v9, v25, v10
	v_div_fixup_f32 v5, v9, v5, 1.0
	v_fma_f32 v9, -v11, v12, 1.0
	v_fmac_f32_e32 v12, v9, v12
	v_div_scale_f32 v9, vcc, 1.0, v4, 1.0
	v_mul_f32_e32 v10, v9, v12
	v_fma_f32 v13, -v11, v10, v9
	v_fmac_f32_e32 v10, v13, v12
	v_fma_f32 v9, -v11, v10, v9
	v_div_fmas_f32 v9, v9, v12, v10
	v_pk_add_f32 v[6:7], v[6:7], 1.0 op_sel_hi:[1,0]
	v_div_fixup_f32 v4, v9, v4, 1.0
	v_div_scale_f32 v9, s[0:1], v7, v7, 1.0
	v_rcp_f32_e32 v10, v9
	v_cmp_class_f32_e32 vcc, v5, v8
	v_cndmask_b32_e64 v5, v5, 0, vcc
	v_cmp_class_f32_e32 vcc, v4, v8
	v_fma_f32 v11, -v9, v10, 1.0
	v_cndmask_b32_e64 v4, v4, 0, vcc
	v_fmac_f32_e32 v10, v11, v10
	v_div_scale_f32 v11, vcc, 1.0, v7, 1.0
	v_mul_f32_e32 v12, v11, v10
	v_fma_f32 v13, -v9, v12, v11
	v_fmac_f32_e32 v12, v13, v10
	v_fma_f32 v9, -v9, v12, v11
	v_div_scale_f32 v11, s[0:1], v6, v6, 1.0
	v_rcp_f32_e32 v13, v11
	v_div_fmas_f32 v9, v9, v10, v12
	v_div_fixup_f32 v7, v9, v7, 1.0
	v_fma_f32 v9, -v11, v13, 1.0
	v_fmac_f32_e32 v13, v9, v13
	v_div_scale_f32 v9, vcc, 1.0, v6, 1.0
	v_mul_f32_e32 v10, v9, v13
	v_fma_f32 v12, -v11, v10, v9
	v_fmac_f32_e32 v10, v12, v13
	v_fma_f32 v9, -v11, v10, v9
	v_div_fmas_f32 v9, v9, v13, v10
	v_div_fixup_f32 v6, v9, v6, 1.0
	v_cmp_class_f32_e32 vcc, v7, v8
	v_cndmask_b32_e64 v7, v7, 0, vcc
	v_cmp_class_f32_e32 vcc, v6, v8
	v_cndmask_b32_e64 v6, v6, 0, vcc
	s_cbranch_scc1 .LBB365_27
; %bb.4:
	v_lshlrev_b32_e32 v16, 2, v22
	global_load_dwordx4 v[8:11], v16, s[10:11]
	global_load_dwordx4 v[12:15], v16, s[10:11] offset:16
	s_waitcnt vmcnt(1)
	v_pk_add_f32 v[8:9], v[8:9], v[0:1]
	v_pk_add_f32 v[10:11], v[10:11], v[2:3]
	s_waitcnt vmcnt(0)
	v_pk_add_f32 v[12:13], v[12:13], v[4:5]
	v_pk_add_f32 v[14:15], v[14:15], v[6:7]
	s_cbranch_execnz .LBB365_6
.LBB365_5:
	v_pk_mov_b32 v[14:15], v[6:7], v[6:7] op_sel:[0,1]
	v_pk_mov_b32 v[12:13], v[4:5], v[4:5] op_sel:[0,1]
	;; [unrolled: 1-line block ×4, first 2 shown]
.LBB365_6:
	s_load_dwordx4 s[8:11], s[4:5], 0x30
	s_mov_b32 s25, 0
	v_cmp_eq_u32_e64 s[0:1], 0, v21
	s_waitcnt lgkmcnt(0)
	s_bitcmp1_b32 s11, 0
	s_cselect_b64 vcc, -1, 0
	s_cmp_gt_i32 s8, 0
	s_cselect_b64 s[20:21], -1, 0
	s_cmp_lt_i32 s8, 1
	s_cbranch_scc1 .LBB365_28
; %bb.7:
	v_mbcnt_lo_u32_b32 v16, -1, 0
	v_mbcnt_hi_u32_b32 v16, -1, v16
	v_and_b32_e32 v18, 0x70, v16
	v_add_u32_e32 v18, 16, v18
	v_xor_b32_e32 v19, 8, v16
	v_cmp_lt_i32_e64 s[2:3], v19, v18
	v_cndmask_b32_e64 v19, v16, v19, s[2:3]
	v_lshlrev_b32_e32 v25, 2, v19
	v_xor_b32_e32 v19, 4, v16
	v_cmp_lt_i32_e64 s[2:3], v19, v18
	v_cndmask_b32_e64 v19, v16, v19, s[2:3]
	v_lshlrev_b32_e32 v26, 2, v19
	v_xor_b32_e32 v19, 2, v16
	v_cmp_lt_i32_e64 s[2:3], v19, v18
	s_load_dwordx4 s[12:15], s[4:5], 0x20
	v_cndmask_b32_e64 v19, v16, v19, s[2:3]
	v_lshlrev_b32_e32 v27, 2, v19
	v_xor_b32_e32 v19, 1, v16
	v_cmp_lt_i32_e64 s[2:3], v19, v18
	v_cndmask_b32_e64 v16, v16, v19, s[2:3]
	v_mul_lo_u32 v24, v17, s8
	v_lshlrev_b32_e32 v28, 2, v16
	v_mov_b32_e32 v23, 0
	v_mov_b32_e32 v29, 0x80
	;; [unrolled: 1-line block ×4, first 2 shown]
	s_branch .LBB365_10
.LBB365_8:                              ;   in Loop: Header=BB365_10 Depth=1
	s_or_b64 exec, exec, s[4:5]
.LBB365_9:                              ;   in Loop: Header=BB365_10 Depth=1
	s_cmp_eq_u32 s8, s25
	v_add_u32_e32 v31, s24, v31
	s_cbranch_scc1 .LBB365_29
.LBB365_10:                             ; =>This Inner Loop Header: Depth=1
	v_cmp_gt_f32_e64 s[2:3], v9, v8
	s_waitcnt lgkmcnt(0)
	v_cndmask_b32_e64 v19, v8, v9, s[2:3]
	v_cndmask_b32_e64 v16, 0, 1, s[2:3]
	v_cndmask_b32_e64 v18, v0, v1, s[2:3]
	v_cmp_gt_f32_e64 s[2:3], v10, v19
	v_cndmask_b32_e64 v19, v19, v10, s[2:3]
	v_cndmask_b32_e64 v16, v16, 2, s[2:3]
	v_cndmask_b32_e64 v18, v18, v2, s[2:3]
	v_cmp_gt_f32_e64 s[2:3], v11, v19
	;; [unrolled: 4-line block ×6, first 2 shown]
	v_cndmask_b32_e64 v16, v16, 7, s[2:3]
	v_cndmask_b32_e64 v32, v19, v15, s[2:3]
	v_or_b32_e32 v33, v22, v16
	v_cndmask_b32_e64 v16, v18, v7, s[2:3]
	ds_bpermute_b32 v35, v25, v32
	ds_bpermute_b32 v20, v25, v16
	;; [unrolled: 1-line block ×3, first 2 shown]
                                        ; implicit-def: $vgpr18_vgpr19
	s_waitcnt lgkmcnt(0)
	v_cmp_lt_f32_e64 s[6:7], v32, v35
	v_cmp_nlt_f32_e64 s[2:3], v32, v35
	s_and_saveexec_b64 s[22:23], s[2:3]
; %bb.11:                               ;   in Loop: Header=BB365_10 Depth=1
	v_cmp_eq_f32_e64 s[2:3], v32, v35
	v_cmp_lt_i32_e64 s[4:5], v34, v33
	s_and_b64 s[2:3], s[2:3], s[4:5]
	s_andn2_b64 s[4:5], s[6:7], exec
	s_and_b64 s[2:3], s[2:3], exec
	s_or_b64 s[6:7], s[4:5], s[2:3]
	v_pk_mov_b32 v[18:19], v[16:17], v[16:17] op_sel:[0,1]
; %bb.12:                               ;   in Loop: Header=BB365_10 Depth=1
	s_or_b64 exec, exec, s[22:23]
	s_and_saveexec_b64 s[2:3], s[6:7]
; %bb.13:                               ;   in Loop: Header=BB365_10 Depth=1
	v_mov_b32_e32 v32, v35
	v_mov_b32_e32 v16, v20
	;; [unrolled: 1-line block ×3, first 2 shown]
	v_pk_mov_b32 v[18:19], v[20:21], v[20:21] op_sel:[0,1]
; %bb.14:                               ;   in Loop: Header=BB365_10 Depth=1
	s_or_b64 exec, exec, s[2:3]
	ds_bpermute_b32 v34, v26, v32
	ds_bpermute_b32 v20, v26, v16
	;; [unrolled: 1-line block ×3, first 2 shown]
	s_waitcnt lgkmcnt(2)
	v_cmp_lt_f32_e64 s[6:7], v32, v34
	v_cmp_nlt_f32_e64 s[2:3], v32, v34
	s_and_saveexec_b64 s[22:23], s[2:3]
	s_cbranch_execz .LBB365_16
; %bb.15:                               ;   in Loop: Header=BB365_10 Depth=1
	v_cmp_eq_f32_e64 s[2:3], v32, v34
	s_waitcnt lgkmcnt(0)
	v_cmp_lt_i32_e64 s[4:5], v19, v33
	s_and_b64 s[2:3], s[2:3], s[4:5]
	s_andn2_b64 s[4:5], s[6:7], exec
	s_and_b64 s[2:3], s[2:3], exec
	s_or_b64 s[6:7], s[4:5], s[2:3]
.LBB365_16:                             ;   in Loop: Header=BB365_10 Depth=1
	s_or_b64 exec, exec, s[22:23]
	s_and_saveexec_b64 s[2:3], s[6:7]
	s_cbranch_execz .LBB365_18
; %bb.17:                               ;   in Loop: Header=BB365_10 Depth=1
	v_mov_b32_e32 v32, v34
	s_waitcnt lgkmcnt(1)
	v_mov_b32_e32 v16, v20
	s_waitcnt lgkmcnt(0)
	v_mov_b32_e32 v33, v19
	v_pk_mov_b32 v[18:19], v[20:21], v[20:21] op_sel:[0,1]
.LBB365_18:                             ;   in Loop: Header=BB365_10 Depth=1
	s_or_b64 exec, exec, s[2:3]
	ds_bpermute_b32 v34, v27, v32
	s_waitcnt lgkmcnt(2)
	ds_bpermute_b32 v20, v27, v16
	s_waitcnt lgkmcnt(2)
	ds_bpermute_b32 v19, v27, v33
	s_waitcnt lgkmcnt(2)
	v_cmp_lt_f32_e64 s[6:7], v32, v34
	v_cmp_nlt_f32_e64 s[2:3], v32, v34
	s_and_saveexec_b64 s[22:23], s[2:3]
	s_cbranch_execz .LBB365_20
; %bb.19:                               ;   in Loop: Header=BB365_10 Depth=1
	v_cmp_eq_f32_e64 s[2:3], v32, v34
	s_waitcnt lgkmcnt(0)
	v_cmp_lt_i32_e64 s[4:5], v19, v33
	s_and_b64 s[2:3], s[2:3], s[4:5]
	s_andn2_b64 s[4:5], s[6:7], exec
	s_and_b64 s[2:3], s[2:3], exec
	s_or_b64 s[6:7], s[4:5], s[2:3]
.LBB365_20:                             ;   in Loop: Header=BB365_10 Depth=1
	s_or_b64 exec, exec, s[22:23]
	s_and_saveexec_b64 s[2:3], s[6:7]
	s_cbranch_execz .LBB365_22
; %bb.21:                               ;   in Loop: Header=BB365_10 Depth=1
	v_mov_b32_e32 v32, v34
	s_waitcnt lgkmcnt(1)
	v_mov_b32_e32 v16, v20
	s_waitcnt lgkmcnt(0)
	v_mov_b32_e32 v33, v19
	v_pk_mov_b32 v[18:19], v[20:21], v[20:21] op_sel:[0,1]
.LBB365_22:                             ;   in Loop: Header=BB365_10 Depth=1
	s_or_b64 exec, exec, s[2:3]
	s_waitcnt lgkmcnt(1)
	ds_bpermute_b32 v20, v28, v32
	ds_bpermute_b32 v34, v28, v33
	s_waitcnt lgkmcnt(2)
	ds_bpermute_b32 v19, v28, v16
	s_waitcnt lgkmcnt(2)
	v_cmp_eq_f32_e64 s[4:5], v32, v20
	s_waitcnt lgkmcnt(1)
	v_cmp_lt_i32_e64 s[6:7], v34, v33
	v_cmp_lt_f32_e64 s[2:3], v32, v20
	s_and_b64 s[4:5], s[4:5], s[6:7]
	s_or_b64 s[2:3], s[2:3], s[4:5]
	v_cndmask_b32_e64 v16, v33, v34, s[2:3]
	s_and_saveexec_b64 s[6:7], s[0:1]
	s_cbranch_execnz .LBB365_24
; %bb.23:                               ;   in Loop: Header=BB365_10 Depth=1
	s_or_b64 exec, exec, s[6:7]
	s_add_i32 s25, s25, 1
	s_cmp_ge_i32 s25, s8
	s_cbranch_scc1 .LBB365_9
	s_branch .LBB365_25
.LBB365_24:                             ;   in Loop: Header=BB365_10 Depth=1
	s_waitcnt lgkmcnt(0)
	v_cndmask_b32_e64 v20, v18, v19, s[2:3]
	v_add_u32_e32 v18, s25, v24
	v_ashrrev_i32_e32 v19, 31, v18
	v_cmp_le_i32_e64 s[2:3], s9, v16
	v_cmp_gt_i32_e64 s[4:5], s10, v16
	v_lshlrev_b64 v[32:33], 2, v[18:19]
	s_and_b64 s[4:5], s[2:3], s[4:5]
	v_mov_b32_e32 v35, s17
	v_add_co_u32_e64 v34, s[2:3], s16, v32
	v_addc_co_u32_e64 v35, s[2:3], v35, v33, s[2:3]
	global_store_dword v[34:35], v20, off
	v_subrev_u32_e32 v34, s9, v16
	v_ashrrev_i32_e32 v35, 31, v34
	s_and_b64 s[2:3], s[18:19], s[4:5]
	v_lshlrev_b64 v[18:19], 3, v[18:19]
	v_cndmask_b32_e64 v35, 0, v35, s[2:3]
	v_cndmask_b32_e64 v34, v29, v34, s[2:3]
	v_mov_b32_e32 v36, s13
	v_add_co_u32_e64 v18, s[2:3], s12, v18
	v_addc_co_u32_e64 v19, s[2:3], v36, v19, s[2:3]
	global_store_dwordx2 v[18:19], v[34:35], off
	v_mov_b32_e32 v19, s15
	v_add_co_u32_e64 v18, s[2:3], s14, v32
	v_addc_co_u32_e64 v19, s[2:3], v19, v33, s[2:3]
	global_store_dword v[18:19], v31, off
	v_add_f32_e32 v18, v23, v20
	v_cndmask_b32_e32 v23, v23, v18, vcc
	s_or_b64 exec, exec, s[6:7]
	s_add_i32 s25, s25, 1
	s_cmp_ge_i32 s25, s8
	s_cbranch_scc1 .LBB365_9
.LBB365_25:                             ;   in Loop: Header=BB365_10 Depth=1
	s_waitcnt lgkmcnt(0)
	v_ashrrev_i32_e32 v19, 31, v16
	v_lshrrev_b32_e32 v18, 29, v19
	v_add_u32_e32 v18, v16, v18
	v_ashrrev_i32_e32 v18, 3, v18
	v_lshrrev_b32_e32 v20, 28, v18
	v_add_u32_e32 v20, v18, v20
	v_and_b32_e32 v20, -16, v20
	v_sub_u32_e32 v20, v18, v20
	v_cmp_eq_u32_e64 s[2:3], v21, v20
	s_and_saveexec_b64 s[4:5], s[2:3]
	s_cbranch_execz .LBB365_8
; %bb.26:                               ;   in Loop: Header=BB365_10 Depth=1
	v_lshrrev_b32_e32 v19, 25, v19
	v_add_u32_e32 v19, v16, v19
	v_lshlrev_b32_e32 v18, 3, v18
	v_ashrrev_i32_e32 v19, 7, v19
	v_sub_u32_e32 v16, v16, v18
	v_lshl_add_u32 v16, v19, 3, v16
	v_cmp_ne_u32_e64 s[2:3], 7, v16
	v_cndmask_b32_e64 v15, v30, v15, s[2:3]
	v_cmp_ne_u32_e64 s[2:3], 6, v16
	v_cndmask_b32_e64 v14, v30, v14, s[2:3]
	;; [unrolled: 2-line block ×8, first 2 shown]
	s_branch .LBB365_8
.LBB365_27:
                                        ; implicit-def: $vgpr8_vgpr9_vgpr10_vgpr11_vgpr12_vgpr13_vgpr14_vgpr15
	s_andn2_b64 vcc, exec, s[8:9]
	s_cbranch_vccz .LBB365_5
	s_branch .LBB365_6
.LBB365_28:
	v_mov_b32_e32 v23, 0
.LBB365_29:
	v_cmp_eq_u32_e64 s[0:1], 0, v21
	s_and_b64 s[0:1], s[0:1], vcc
	s_and_b64 exec, exec, s[0:1]
	s_cbranch_execz .LBB365_38
; %bb.30:
	s_andn2_b64 vcc, exec, s[20:21]
	s_cbranch_vccnz .LBB365_38
; %bb.31:
	v_cmp_lt_f32_e32 vcc, 0, v23
	s_mov_b32 s2, 0
	v_cndmask_b32_e32 v0, 1.0, v23, vcc
	v_mul_lo_u32 v4, v17, s8
	s_cmp_eq_u32 s8, 1
	s_mov_b64 s[0:1], -1
	s_cbranch_scc1 .LBB365_35
; %bb.32:
	s_and_b32 s2, s8, 0x7ffffffe
	v_mov_b32_e32 v1, v0
	v_mov_b32_e32 v5, s17
	s_mov_b32 s3, s2
	v_mov_b32_e32 v2, v4
.LBB365_33:                             ; =>This Inner Loop Header: Depth=1
	v_ashrrev_i32_e32 v3, 31, v2
	v_lshlrev_b64 v[6:7], 2, v[2:3]
	v_add_co_u32_e32 v6, vcc, s16, v6
	v_addc_co_u32_e32 v7, vcc, v5, v7, vcc
	global_load_dwordx2 v[8:9], v[6:7], off
	s_add_i32 s3, s3, -2
	s_cmp_lg_u32 s3, 0
	v_add_u32_e32 v2, 2, v2
	s_waitcnt vmcnt(0)
	v_div_scale_f32 v3, s[0:1], v1, v1, v9
	v_div_scale_f32 v11, s[0:1], v0, v0, v8
	v_rcp_f32_e32 v12, v3
	v_rcp_f32_e32 v13, v11
	v_div_scale_f32 v10, vcc, v9, v1, v9
	v_fma_f32 v15, -v3, v12, 1.0
	v_fma_f32 v16, -v11, v13, 1.0
	v_fmac_f32_e32 v12, v15, v12
	v_div_scale_f32 v14, s[0:1], v8, v0, v8
	v_fmac_f32_e32 v13, v16, v13
	v_mul_f32_e32 v15, v10, v12
	v_mul_f32_e32 v16, v14, v13
	v_fma_f32 v17, -v3, v15, v10
	v_fma_f32 v18, -v11, v16, v14
	v_fmac_f32_e32 v15, v17, v12
	v_fmac_f32_e32 v16, v18, v13
	v_fma_f32 v3, -v3, v15, v10
	v_fma_f32 v10, -v11, v16, v14
	v_div_fmas_f32 v3, v3, v12, v15
	s_mov_b64 vcc, s[0:1]
	v_div_fixup_f32 v9, v3, v1, v9
	v_div_fmas_f32 v3, v10, v13, v16
	v_div_fixup_f32 v8, v3, v0, v8
	global_store_dwordx2 v[6:7], v[8:9], off
	s_cbranch_scc1 .LBB365_33
; %bb.34:
	s_cmp_lg_u32 s2, s8
	s_cselect_b64 s[0:1], -1, 0
.LBB365_35:
	s_and_b64 vcc, exec, s[0:1]
	s_cbranch_vccz .LBB365_38
; %bb.36:
	v_ashrrev_i32_e32 v1, 31, v4
	v_add_co_u32_e32 v2, vcc, s2, v4
	v_addc_co_u32_e32 v3, vcc, 0, v1, vcc
	v_lshlrev_b64 v[2:3], 2, v[2:3]
	v_mov_b32_e32 v1, s17
	v_add_co_u32_e32 v2, vcc, s16, v2
	s_sub_i32 s0, s8, s2
	v_addc_co_u32_e32 v3, vcc, v1, v3, vcc
.LBB365_37:                             ; =>This Inner Loop Header: Depth=1
	global_load_dword v1, v[2:3], off
	s_add_i32 s0, s0, -1
	s_cmp_lg_u32 s0, 0
	s_waitcnt vmcnt(0)
	v_div_scale_f32 v4, s[2:3], v0, v0, v1
	v_rcp_f32_e32 v5, v4
	v_div_scale_f32 v6, vcc, v1, v0, v1
	v_fma_f32 v7, -v4, v5, 1.0
	v_fmac_f32_e32 v5, v7, v5
	v_mul_f32_e32 v7, v6, v5
	v_fma_f32 v8, -v4, v7, v6
	v_fmac_f32_e32 v7, v8, v5
	v_fma_f32 v4, -v4, v7, v6
	v_div_fmas_f32 v4, v4, v5, v7
	v_div_fixup_f32 v1, v4, v0, v1
	global_store_dword v[2:3], v1, off
	v_add_co_u32_e32 v2, vcc, 4, v2
	v_addc_co_u32_e32 v3, vcc, 0, v3, vcc
	s_cbranch_scc1 .LBB365_37
.LBB365_38:
	s_endpgm
	.section	.rodata,"a",@progbits
	.p2align	6, 0x0
	.amdhsa_kernel _ZN4vllm3moe10topkGatingILi8ELi128ELi4ELi16ELi64El14__hip_bfloat16LNS0_11ScoringFuncE1EEEvPKT5_PKbPfiPT4_PiiiibPKf
		.amdhsa_group_segment_fixed_size 0
		.amdhsa_private_segment_fixed_size 0
		.amdhsa_kernarg_size 72
		.amdhsa_user_sgpr_count 6
		.amdhsa_user_sgpr_private_segment_buffer 1
		.amdhsa_user_sgpr_dispatch_ptr 0
		.amdhsa_user_sgpr_queue_ptr 0
		.amdhsa_user_sgpr_kernarg_segment_ptr 1
		.amdhsa_user_sgpr_dispatch_id 0
		.amdhsa_user_sgpr_flat_scratch_init 0
		.amdhsa_user_sgpr_kernarg_preload_length 0
		.amdhsa_user_sgpr_kernarg_preload_offset 0
		.amdhsa_user_sgpr_private_segment_size 0
		.amdhsa_uses_dynamic_stack 0
		.amdhsa_system_sgpr_private_segment_wavefront_offset 0
		.amdhsa_system_sgpr_workgroup_id_x 1
		.amdhsa_system_sgpr_workgroup_id_y 0
		.amdhsa_system_sgpr_workgroup_id_z 0
		.amdhsa_system_sgpr_workgroup_info 0
		.amdhsa_system_vgpr_workitem_id 1
		.amdhsa_next_free_vgpr 37
		.amdhsa_next_free_sgpr 26
		.amdhsa_accum_offset 40
		.amdhsa_reserve_vcc 1
		.amdhsa_reserve_flat_scratch 0
		.amdhsa_float_round_mode_32 0
		.amdhsa_float_round_mode_16_64 0
		.amdhsa_float_denorm_mode_32 3
		.amdhsa_float_denorm_mode_16_64 3
		.amdhsa_dx10_clamp 1
		.amdhsa_ieee_mode 1
		.amdhsa_fp16_overflow 0
		.amdhsa_tg_split 0
		.amdhsa_exception_fp_ieee_invalid_op 0
		.amdhsa_exception_fp_denorm_src 0
		.amdhsa_exception_fp_ieee_div_zero 0
		.amdhsa_exception_fp_ieee_overflow 0
		.amdhsa_exception_fp_ieee_underflow 0
		.amdhsa_exception_fp_ieee_inexact 0
		.amdhsa_exception_int_div_zero 0
	.end_amdhsa_kernel
	.section	.text._ZN4vllm3moe10topkGatingILi8ELi128ELi4ELi16ELi64El14__hip_bfloat16LNS0_11ScoringFuncE1EEEvPKT5_PKbPfiPT4_PiiiibPKf,"axG",@progbits,_ZN4vllm3moe10topkGatingILi8ELi128ELi4ELi16ELi64El14__hip_bfloat16LNS0_11ScoringFuncE1EEEvPKT5_PKbPfiPT4_PiiiibPKf,comdat
.Lfunc_end365:
	.size	_ZN4vllm3moe10topkGatingILi8ELi128ELi4ELi16ELi64El14__hip_bfloat16LNS0_11ScoringFuncE1EEEvPKT5_PKbPfiPT4_PiiiibPKf, .Lfunc_end365-_ZN4vllm3moe10topkGatingILi8ELi128ELi4ELi16ELi64El14__hip_bfloat16LNS0_11ScoringFuncE1EEEvPKT5_PKbPfiPT4_PiiiibPKf
                                        ; -- End function
	.section	.AMDGPU.csdata,"",@progbits
; Kernel info:
; codeLenInByte = 3024
; NumSgprs: 30
; NumVgprs: 37
; NumAgprs: 0
; TotalNumVgprs: 37
; ScratchSize: 0
; MemoryBound: 0
; FloatMode: 240
; IeeeMode: 1
; LDSByteSize: 0 bytes/workgroup (compile time only)
; SGPRBlocks: 3
; VGPRBlocks: 4
; NumSGPRsForWavesPerEU: 30
; NumVGPRsForWavesPerEU: 37
; AccumOffset: 40
; Occupancy: 8
; WaveLimiterHint : 0
; COMPUTE_PGM_RSRC2:SCRATCH_EN: 0
; COMPUTE_PGM_RSRC2:USER_SGPR: 6
; COMPUTE_PGM_RSRC2:TRAP_HANDLER: 0
; COMPUTE_PGM_RSRC2:TGID_X_EN: 1
; COMPUTE_PGM_RSRC2:TGID_Y_EN: 0
; COMPUTE_PGM_RSRC2:TGID_Z_EN: 0
; COMPUTE_PGM_RSRC2:TIDIG_COMP_CNT: 1
; COMPUTE_PGM_RSRC3_GFX90A:ACCUM_OFFSET: 9
; COMPUTE_PGM_RSRC3_GFX90A:TG_SPLIT: 0
	.section	.text._ZN4vllm3moe10topkGatingILi8ELi128ELi4ELi16ELi32El14__hip_bfloat16LNS0_11ScoringFuncE1EEEvPKT5_PKbPfiPT4_PiiiibPKf,"axG",@progbits,_ZN4vllm3moe10topkGatingILi8ELi128ELi4ELi16ELi32El14__hip_bfloat16LNS0_11ScoringFuncE1EEEvPKT5_PKbPfiPT4_PiiiibPKf,comdat
	.protected	_ZN4vllm3moe10topkGatingILi8ELi128ELi4ELi16ELi32El14__hip_bfloat16LNS0_11ScoringFuncE1EEEvPKT5_PKbPfiPT4_PiiiibPKf ; -- Begin function _ZN4vllm3moe10topkGatingILi8ELi128ELi4ELi16ELi32El14__hip_bfloat16LNS0_11ScoringFuncE1EEEvPKT5_PKbPfiPT4_PiiiibPKf
	.globl	_ZN4vllm3moe10topkGatingILi8ELi128ELi4ELi16ELi32El14__hip_bfloat16LNS0_11ScoringFuncE1EEEvPKT5_PKbPfiPT4_PiiiibPKf
	.p2align	8
	.type	_ZN4vllm3moe10topkGatingILi8ELi128ELi4ELi16ELi32El14__hip_bfloat16LNS0_11ScoringFuncE1EEEvPKT5_PKbPfiPT4_PiiiibPKf,@function
_ZN4vllm3moe10topkGatingILi8ELi128ELi4ELi16ELi32El14__hip_bfloat16LNS0_11ScoringFuncE1EEEvPKT5_PKbPfiPT4_PiiiibPKf: ; @_ZN4vllm3moe10topkGatingILi8ELi128ELi4ELi16ELi32El14__hip_bfloat16LNS0_11ScoringFuncE1EEEvPKT5_PKbPfiPT4_PiiiibPKf
; %bb.0:
	s_load_dword s24, s[4:5], 0x18
	v_bfe_u32 v1, v0, 10, 10
	v_and_b32_e32 v0, 0x3ff, v0
	s_lshl_b32 s0, s6, 3
	v_lshlrev_b32_e32 v1, 1, v1
	v_lshrrev_b32_e32 v2, 4, v0
	v_add3_u32 v17, s0, v1, v2
	s_waitcnt lgkmcnt(0)
	v_cmp_gt_i32_e32 vcc, s24, v17
	s_and_saveexec_b64 s[0:1], vcc
	s_cbranch_execz .LBB366_38
; %bb.1:
	s_load_dwordx4 s[0:3], s[4:5], 0x0
	s_load_dwordx2 s[16:17], s[4:5], 0x10
	s_mov_b64 s[8:9], -1
	s_mov_b64 s[18:19], -1
	s_waitcnt lgkmcnt(0)
	s_cmp_eq_u64 s[2:3], 0
	s_cbranch_scc1 .LBB366_3
; %bb.2:
	v_ashrrev_i32_e32 v1, 31, v17
	v_mov_b32_e32 v3, s3
	v_add_co_u32_e32 v2, vcc, s2, v17
	v_addc_co_u32_e32 v3, vcc, v3, v1, vcc
	global_load_ubyte v1, v[2:3], off
	s_waitcnt vmcnt(0)
	v_and_b32_e32 v1, 1, v1
	v_cmp_eq_u32_e32 vcc, 1, v1
	s_xor_b64 s[2:3], vcc, -1
	s_orn2_b64 s[18:19], s[2:3], exec
.LBB366_3:
	v_lshlrev_b32_e32 v2, 7, v17
	v_ashrrev_i32_e32 v3, 31, v2
	v_lshlrev_b64 v[2:3], 1, v[2:3]
	v_mov_b32_e32 v1, s1
	v_add_co_u32_e32 v2, vcc, s0, v2
	v_and_b32_e32 v21, 15, v0
	v_addc_co_u32_e32 v1, vcc, v1, v3, vcc
	v_lshlrev_b32_e32 v0, 4, v21
	v_add_co_u32_e32 v0, vcc, v2, v0
	v_addc_co_u32_e32 v1, vcc, 0, v1, vcc
	global_load_dwordx4 v[0:3], v[0:1], off
	v_mov_b32_e32 v8, 0x207
	s_load_dwordx2 s[10:11], s[4:5], 0x40
	v_lshlrev_b32_e32 v22, 3, v21
	s_waitcnt lgkmcnt(0)
	s_cmp_eq_u64 s[10:11], 0
	s_waitcnt vmcnt(0)
	v_lshlrev_b32_e32 v4, 16, v0
	v_and_b32_e32 v0, 0xffff0000, v0
	v_lshlrev_b32_e32 v5, 16, v1
	v_and_b32_e32 v1, 0xffff0000, v1
	v_mul_f32_e32 v4, 0xbfb8aa3b, v4
	v_mul_f32_e32 v9, 0xbfb8aa3b, v0
	;; [unrolled: 1-line block ×3, first 2 shown]
	v_exp_f32_e32 v0, v4
	v_exp_f32_e32 v1, v9
	v_lshlrev_b32_e32 v6, 16, v2
	v_and_b32_e32 v2, 0xffff0000, v2
	v_lshlrev_b32_e32 v7, 16, v3
	v_and_b32_e32 v3, 0xffff0000, v3
	v_mul_f32_e32 v5, 0xbfb8aa3b, v5
	v_mul_f32_e32 v11, 0xbfb8aa3b, v2
	;; [unrolled: 1-line block ×3, first 2 shown]
	v_exp_f32_e32 v2, v5
	v_exp_f32_e32 v3, v10
	v_pk_add_f32 v[0:1], v[0:1], 1.0 op_sel_hi:[1,0]
	v_div_scale_f32 v9, s[0:1], v1, v1, 1.0
	v_rcp_f32_e32 v19, v9
	v_exp_f32_e32 v5, v11
	v_div_scale_f32 v11, s[0:1], v0, v0, 1.0
	v_pk_add_f32 v[2:3], v[2:3], 1.0 op_sel_hi:[1,0]
	v_rcp_f32_e32 v20, v11
	v_div_scale_f32 v13, s[2:3], v3, v3, 1.0
	v_rcp_f32_e32 v23, v13
	v_fma_f32 v26, -v9, v19, 1.0
	v_div_scale_f32 v10, vcc, 1.0, v1, 1.0
	v_div_scale_f32 v15, s[6:7], v2, v2, 1.0
	v_fmac_f32_e32 v19, v26, v19
	v_mul_f32_e32 v6, 0xbfb8aa3b, v6
	v_mul_f32_e32 v7, 0xbfb8aa3b, v7
	v_rcp_f32_e32 v24, v15
	v_fma_f32 v27, -v11, v20, 1.0
	v_mul_f32_e32 v26, v10, v19
	v_exp_f32_e32 v4, v6
	v_exp_f32_e32 v6, v7
	v_exp_f32_e32 v7, v12
	v_div_scale_f32 v12, s[0:1], 1.0, v0, 1.0
	v_fmac_f32_e32 v20, v27, v20
	v_fma_f32 v30, -v9, v26, v10
	v_fma_f32 v28, -v13, v23, 1.0
	v_mul_f32_e32 v27, v12, v20
	v_fmac_f32_e32 v26, v30, v19
	v_div_scale_f32 v14, s[2:3], 1.0, v3, 1.0
	v_fmac_f32_e32 v23, v28, v23
	v_fma_f32 v31, -v11, v27, v12
	v_fma_f32 v9, -v9, v26, v10
	v_fma_f32 v29, -v15, v24, 1.0
	v_mul_f32_e32 v28, v14, v23
	v_fmac_f32_e32 v27, v31, v20
	v_div_fmas_f32 v9, v9, v19, v26
	v_div_scale_f32 v16, s[6:7], 1.0, v2, 1.0
	v_fmac_f32_e32 v24, v29, v24
	v_fma_f32 v32, -v13, v28, v14
	v_fma_f32 v10, -v11, v27, v12
	v_div_fixup_f32 v1, v9, v1, 1.0
	s_mov_b64 vcc, s[0:1]
	v_pk_add_f32 v[4:5], v[4:5], 1.0 op_sel_hi:[1,0]
	v_mul_f32_e32 v29, v16, v24
	v_fmac_f32_e32 v28, v32, v23
	v_div_fmas_f32 v9, v10, v20, v27
	v_cmp_class_f32_e32 vcc, v1, v8
	v_div_scale_f32 v18, s[12:13], v5, v5, 1.0
	v_fma_f32 v33, -v15, v29, v16
	v_fma_f32 v11, -v13, v28, v14
	v_div_fixup_f32 v0, v9, v0, 1.0
	v_cndmask_b32_e64 v1, v1, 0, vcc
	s_mov_b64 vcc, s[2:3]
	v_rcp_f32_e32 v25, v18
	v_fmac_f32_e32 v29, v33, v24
	v_div_fmas_f32 v9, v11, v23, v28
	v_cmp_class_f32_e32 vcc, v0, v8
	v_fma_f32 v12, -v15, v29, v16
	v_cndmask_b32_e64 v0, v0, 0, vcc
	s_mov_b64 vcc, s[6:7]
	v_div_fixup_f32 v3, v9, v3, 1.0
	v_div_fmas_f32 v9, v12, v24, v29
	v_div_fixup_f32 v2, v9, v2, 1.0
	v_cmp_class_f32_e32 vcc, v3, v8
	v_cndmask_b32_e64 v3, v3, 0, vcc
	v_cmp_class_f32_e32 vcc, v2, v8
	v_fma_f32 v9, -v18, v25, 1.0
	v_cndmask_b32_e64 v2, v2, 0, vcc
	v_fmac_f32_e32 v25, v9, v25
	v_div_scale_f32 v9, vcc, 1.0, v5, 1.0
	v_mul_f32_e32 v10, v9, v25
	v_fma_f32 v11, -v18, v10, v9
	v_fmac_f32_e32 v10, v11, v25
	v_div_scale_f32 v11, s[0:1], v4, v4, 1.0
	v_rcp_f32_e32 v12, v11
	v_fma_f32 v9, -v18, v10, v9
	v_div_fmas_f32 v9, v9, v25, v10
	v_div_fixup_f32 v5, v9, v5, 1.0
	v_fma_f32 v9, -v11, v12, 1.0
	v_fmac_f32_e32 v12, v9, v12
	v_div_scale_f32 v9, vcc, 1.0, v4, 1.0
	v_mul_f32_e32 v10, v9, v12
	v_fma_f32 v13, -v11, v10, v9
	v_fmac_f32_e32 v10, v13, v12
	v_fma_f32 v9, -v11, v10, v9
	v_div_fmas_f32 v9, v9, v12, v10
	v_pk_add_f32 v[6:7], v[6:7], 1.0 op_sel_hi:[1,0]
	v_div_fixup_f32 v4, v9, v4, 1.0
	v_div_scale_f32 v9, s[0:1], v7, v7, 1.0
	v_rcp_f32_e32 v10, v9
	v_cmp_class_f32_e32 vcc, v5, v8
	v_cndmask_b32_e64 v5, v5, 0, vcc
	v_cmp_class_f32_e32 vcc, v4, v8
	v_fma_f32 v11, -v9, v10, 1.0
	v_cndmask_b32_e64 v4, v4, 0, vcc
	v_fmac_f32_e32 v10, v11, v10
	v_div_scale_f32 v11, vcc, 1.0, v7, 1.0
	v_mul_f32_e32 v12, v11, v10
	v_fma_f32 v13, -v9, v12, v11
	v_fmac_f32_e32 v12, v13, v10
	v_fma_f32 v9, -v9, v12, v11
	v_div_scale_f32 v11, s[0:1], v6, v6, 1.0
	v_rcp_f32_e32 v13, v11
	v_div_fmas_f32 v9, v9, v10, v12
	v_div_fixup_f32 v7, v9, v7, 1.0
	v_fma_f32 v9, -v11, v13, 1.0
	v_fmac_f32_e32 v13, v9, v13
	v_div_scale_f32 v9, vcc, 1.0, v6, 1.0
	v_mul_f32_e32 v10, v9, v13
	v_fma_f32 v12, -v11, v10, v9
	v_fmac_f32_e32 v10, v12, v13
	v_fma_f32 v9, -v11, v10, v9
	v_div_fmas_f32 v9, v9, v13, v10
	v_div_fixup_f32 v6, v9, v6, 1.0
	v_cmp_class_f32_e32 vcc, v7, v8
	v_cndmask_b32_e64 v7, v7, 0, vcc
	v_cmp_class_f32_e32 vcc, v6, v8
	v_cndmask_b32_e64 v6, v6, 0, vcc
	s_cbranch_scc1 .LBB366_27
; %bb.4:
	v_lshlrev_b32_e32 v16, 2, v22
	global_load_dwordx4 v[8:11], v16, s[10:11]
	global_load_dwordx4 v[12:15], v16, s[10:11] offset:16
	s_waitcnt vmcnt(1)
	v_pk_add_f32 v[8:9], v[8:9], v[0:1]
	v_pk_add_f32 v[10:11], v[10:11], v[2:3]
	s_waitcnt vmcnt(0)
	v_pk_add_f32 v[12:13], v[12:13], v[4:5]
	v_pk_add_f32 v[14:15], v[14:15], v[6:7]
	s_cbranch_execnz .LBB366_6
.LBB366_5:
	v_pk_mov_b32 v[14:15], v[6:7], v[6:7] op_sel:[0,1]
	v_pk_mov_b32 v[12:13], v[4:5], v[4:5] op_sel:[0,1]
	;; [unrolled: 1-line block ×4, first 2 shown]
.LBB366_6:
	s_load_dwordx4 s[8:11], s[4:5], 0x30
	s_mov_b32 s25, 0
	v_cmp_eq_u32_e64 s[0:1], 0, v21
	s_waitcnt lgkmcnt(0)
	s_bitcmp1_b32 s11, 0
	s_cselect_b64 vcc, -1, 0
	s_cmp_gt_i32 s8, 0
	s_cselect_b64 s[20:21], -1, 0
	s_cmp_lt_i32 s8, 1
	s_cbranch_scc1 .LBB366_28
; %bb.7:
	v_mbcnt_lo_u32_b32 v16, -1, 0
	v_mbcnt_hi_u32_b32 v16, -1, v16
	v_and_b32_e32 v18, 0x70, v16
	v_add_u32_e32 v18, 16, v18
	v_xor_b32_e32 v19, 8, v16
	v_cmp_lt_i32_e64 s[2:3], v19, v18
	v_cndmask_b32_e64 v19, v16, v19, s[2:3]
	v_lshlrev_b32_e32 v25, 2, v19
	v_xor_b32_e32 v19, 4, v16
	v_cmp_lt_i32_e64 s[2:3], v19, v18
	v_cndmask_b32_e64 v19, v16, v19, s[2:3]
	v_lshlrev_b32_e32 v26, 2, v19
	v_xor_b32_e32 v19, 2, v16
	v_cmp_lt_i32_e64 s[2:3], v19, v18
	s_load_dwordx4 s[12:15], s[4:5], 0x20
	v_cndmask_b32_e64 v19, v16, v19, s[2:3]
	v_lshlrev_b32_e32 v27, 2, v19
	v_xor_b32_e32 v19, 1, v16
	v_cmp_lt_i32_e64 s[2:3], v19, v18
	v_cndmask_b32_e64 v16, v16, v19, s[2:3]
	v_mul_lo_u32 v24, v17, s8
	v_lshlrev_b32_e32 v28, 2, v16
	v_mov_b32_e32 v23, 0
	v_mov_b32_e32 v29, 0x80
	;; [unrolled: 1-line block ×4, first 2 shown]
	s_branch .LBB366_10
.LBB366_8:                              ;   in Loop: Header=BB366_10 Depth=1
	s_or_b64 exec, exec, s[4:5]
.LBB366_9:                              ;   in Loop: Header=BB366_10 Depth=1
	s_cmp_eq_u32 s8, s25
	v_add_u32_e32 v31, s24, v31
	s_cbranch_scc1 .LBB366_29
.LBB366_10:                             ; =>This Inner Loop Header: Depth=1
	v_cmp_gt_f32_e64 s[2:3], v9, v8
	s_waitcnt lgkmcnt(0)
	v_cndmask_b32_e64 v19, v8, v9, s[2:3]
	v_cndmask_b32_e64 v16, 0, 1, s[2:3]
	v_cndmask_b32_e64 v18, v0, v1, s[2:3]
	v_cmp_gt_f32_e64 s[2:3], v10, v19
	v_cndmask_b32_e64 v19, v19, v10, s[2:3]
	v_cndmask_b32_e64 v16, v16, 2, s[2:3]
	v_cndmask_b32_e64 v18, v18, v2, s[2:3]
	v_cmp_gt_f32_e64 s[2:3], v11, v19
	;; [unrolled: 4-line block ×6, first 2 shown]
	v_cndmask_b32_e64 v16, v16, 7, s[2:3]
	v_cndmask_b32_e64 v32, v19, v15, s[2:3]
	v_or_b32_e32 v33, v22, v16
	v_cndmask_b32_e64 v16, v18, v7, s[2:3]
	ds_bpermute_b32 v35, v25, v32
	ds_bpermute_b32 v20, v25, v16
	;; [unrolled: 1-line block ×3, first 2 shown]
                                        ; implicit-def: $vgpr18_vgpr19
	s_waitcnt lgkmcnt(0)
	v_cmp_lt_f32_e64 s[6:7], v32, v35
	v_cmp_nlt_f32_e64 s[2:3], v32, v35
	s_and_saveexec_b64 s[22:23], s[2:3]
; %bb.11:                               ;   in Loop: Header=BB366_10 Depth=1
	v_cmp_eq_f32_e64 s[2:3], v32, v35
	v_cmp_lt_i32_e64 s[4:5], v34, v33
	s_and_b64 s[2:3], s[2:3], s[4:5]
	s_andn2_b64 s[4:5], s[6:7], exec
	s_and_b64 s[2:3], s[2:3], exec
	s_or_b64 s[6:7], s[4:5], s[2:3]
	v_pk_mov_b32 v[18:19], v[16:17], v[16:17] op_sel:[0,1]
; %bb.12:                               ;   in Loop: Header=BB366_10 Depth=1
	s_or_b64 exec, exec, s[22:23]
	s_and_saveexec_b64 s[2:3], s[6:7]
; %bb.13:                               ;   in Loop: Header=BB366_10 Depth=1
	v_mov_b32_e32 v32, v35
	v_mov_b32_e32 v16, v20
	;; [unrolled: 1-line block ×3, first 2 shown]
	v_pk_mov_b32 v[18:19], v[20:21], v[20:21] op_sel:[0,1]
; %bb.14:                               ;   in Loop: Header=BB366_10 Depth=1
	s_or_b64 exec, exec, s[2:3]
	ds_bpermute_b32 v34, v26, v32
	ds_bpermute_b32 v20, v26, v16
	ds_bpermute_b32 v19, v26, v33
	s_waitcnt lgkmcnt(2)
	v_cmp_lt_f32_e64 s[6:7], v32, v34
	v_cmp_nlt_f32_e64 s[2:3], v32, v34
	s_and_saveexec_b64 s[22:23], s[2:3]
	s_cbranch_execz .LBB366_16
; %bb.15:                               ;   in Loop: Header=BB366_10 Depth=1
	v_cmp_eq_f32_e64 s[2:3], v32, v34
	s_waitcnt lgkmcnt(0)
	v_cmp_lt_i32_e64 s[4:5], v19, v33
	s_and_b64 s[2:3], s[2:3], s[4:5]
	s_andn2_b64 s[4:5], s[6:7], exec
	s_and_b64 s[2:3], s[2:3], exec
	s_or_b64 s[6:7], s[4:5], s[2:3]
.LBB366_16:                             ;   in Loop: Header=BB366_10 Depth=1
	s_or_b64 exec, exec, s[22:23]
	s_and_saveexec_b64 s[2:3], s[6:7]
	s_cbranch_execz .LBB366_18
; %bb.17:                               ;   in Loop: Header=BB366_10 Depth=1
	v_mov_b32_e32 v32, v34
	s_waitcnt lgkmcnt(1)
	v_mov_b32_e32 v16, v20
	s_waitcnt lgkmcnt(0)
	v_mov_b32_e32 v33, v19
	v_pk_mov_b32 v[18:19], v[20:21], v[20:21] op_sel:[0,1]
.LBB366_18:                             ;   in Loop: Header=BB366_10 Depth=1
	s_or_b64 exec, exec, s[2:3]
	ds_bpermute_b32 v34, v27, v32
	s_waitcnt lgkmcnt(2)
	ds_bpermute_b32 v20, v27, v16
	s_waitcnt lgkmcnt(2)
	;; [unrolled: 2-line block ×3, first 2 shown]
	v_cmp_lt_f32_e64 s[6:7], v32, v34
	v_cmp_nlt_f32_e64 s[2:3], v32, v34
	s_and_saveexec_b64 s[22:23], s[2:3]
	s_cbranch_execz .LBB366_20
; %bb.19:                               ;   in Loop: Header=BB366_10 Depth=1
	v_cmp_eq_f32_e64 s[2:3], v32, v34
	s_waitcnt lgkmcnt(0)
	v_cmp_lt_i32_e64 s[4:5], v19, v33
	s_and_b64 s[2:3], s[2:3], s[4:5]
	s_andn2_b64 s[4:5], s[6:7], exec
	s_and_b64 s[2:3], s[2:3], exec
	s_or_b64 s[6:7], s[4:5], s[2:3]
.LBB366_20:                             ;   in Loop: Header=BB366_10 Depth=1
	s_or_b64 exec, exec, s[22:23]
	s_and_saveexec_b64 s[2:3], s[6:7]
	s_cbranch_execz .LBB366_22
; %bb.21:                               ;   in Loop: Header=BB366_10 Depth=1
	v_mov_b32_e32 v32, v34
	s_waitcnt lgkmcnt(1)
	v_mov_b32_e32 v16, v20
	s_waitcnt lgkmcnt(0)
	v_mov_b32_e32 v33, v19
	v_pk_mov_b32 v[18:19], v[20:21], v[20:21] op_sel:[0,1]
.LBB366_22:                             ;   in Loop: Header=BB366_10 Depth=1
	s_or_b64 exec, exec, s[2:3]
	s_waitcnt lgkmcnt(1)
	ds_bpermute_b32 v20, v28, v32
	ds_bpermute_b32 v34, v28, v33
	s_waitcnt lgkmcnt(2)
	ds_bpermute_b32 v19, v28, v16
	s_waitcnt lgkmcnt(2)
	v_cmp_eq_f32_e64 s[4:5], v32, v20
	s_waitcnt lgkmcnt(1)
	v_cmp_lt_i32_e64 s[6:7], v34, v33
	v_cmp_lt_f32_e64 s[2:3], v32, v20
	s_and_b64 s[4:5], s[4:5], s[6:7]
	s_or_b64 s[2:3], s[2:3], s[4:5]
	v_cndmask_b32_e64 v16, v33, v34, s[2:3]
	s_and_saveexec_b64 s[6:7], s[0:1]
	s_cbranch_execnz .LBB366_24
; %bb.23:                               ;   in Loop: Header=BB366_10 Depth=1
	s_or_b64 exec, exec, s[6:7]
	s_add_i32 s25, s25, 1
	s_cmp_ge_i32 s25, s8
	s_cbranch_scc1 .LBB366_9
	s_branch .LBB366_25
.LBB366_24:                             ;   in Loop: Header=BB366_10 Depth=1
	s_waitcnt lgkmcnt(0)
	v_cndmask_b32_e64 v20, v18, v19, s[2:3]
	v_add_u32_e32 v18, s25, v24
	v_ashrrev_i32_e32 v19, 31, v18
	v_cmp_le_i32_e64 s[2:3], s9, v16
	v_cmp_gt_i32_e64 s[4:5], s10, v16
	v_lshlrev_b64 v[32:33], 2, v[18:19]
	s_and_b64 s[4:5], s[2:3], s[4:5]
	v_mov_b32_e32 v35, s17
	v_add_co_u32_e64 v34, s[2:3], s16, v32
	v_addc_co_u32_e64 v35, s[2:3], v35, v33, s[2:3]
	global_store_dword v[34:35], v20, off
	v_subrev_u32_e32 v34, s9, v16
	v_ashrrev_i32_e32 v35, 31, v34
	s_and_b64 s[2:3], s[18:19], s[4:5]
	v_lshlrev_b64 v[18:19], 3, v[18:19]
	v_cndmask_b32_e64 v35, 0, v35, s[2:3]
	v_cndmask_b32_e64 v34, v29, v34, s[2:3]
	v_mov_b32_e32 v36, s13
	v_add_co_u32_e64 v18, s[2:3], s12, v18
	v_addc_co_u32_e64 v19, s[2:3], v36, v19, s[2:3]
	global_store_dwordx2 v[18:19], v[34:35], off
	v_mov_b32_e32 v19, s15
	v_add_co_u32_e64 v18, s[2:3], s14, v32
	v_addc_co_u32_e64 v19, s[2:3], v19, v33, s[2:3]
	global_store_dword v[18:19], v31, off
	v_add_f32_e32 v18, v23, v20
	v_cndmask_b32_e32 v23, v23, v18, vcc
	s_or_b64 exec, exec, s[6:7]
	s_add_i32 s25, s25, 1
	s_cmp_ge_i32 s25, s8
	s_cbranch_scc1 .LBB366_9
.LBB366_25:                             ;   in Loop: Header=BB366_10 Depth=1
	s_waitcnt lgkmcnt(0)
	v_ashrrev_i32_e32 v19, 31, v16
	v_lshrrev_b32_e32 v18, 29, v19
	v_add_u32_e32 v18, v16, v18
	v_ashrrev_i32_e32 v18, 3, v18
	v_lshrrev_b32_e32 v20, 28, v18
	v_add_u32_e32 v20, v18, v20
	v_and_b32_e32 v20, -16, v20
	v_sub_u32_e32 v20, v18, v20
	v_cmp_eq_u32_e64 s[2:3], v21, v20
	s_and_saveexec_b64 s[4:5], s[2:3]
	s_cbranch_execz .LBB366_8
; %bb.26:                               ;   in Loop: Header=BB366_10 Depth=1
	v_lshrrev_b32_e32 v19, 25, v19
	v_add_u32_e32 v19, v16, v19
	v_lshlrev_b32_e32 v18, 3, v18
	v_ashrrev_i32_e32 v19, 7, v19
	v_sub_u32_e32 v16, v16, v18
	v_lshl_add_u32 v16, v19, 3, v16
	v_cmp_ne_u32_e64 s[2:3], 7, v16
	v_cndmask_b32_e64 v15, v30, v15, s[2:3]
	v_cmp_ne_u32_e64 s[2:3], 6, v16
	v_cndmask_b32_e64 v14, v30, v14, s[2:3]
	;; [unrolled: 2-line block ×8, first 2 shown]
	s_branch .LBB366_8
.LBB366_27:
                                        ; implicit-def: $vgpr8_vgpr9_vgpr10_vgpr11_vgpr12_vgpr13_vgpr14_vgpr15
	s_andn2_b64 vcc, exec, s[8:9]
	s_cbranch_vccz .LBB366_5
	s_branch .LBB366_6
.LBB366_28:
	v_mov_b32_e32 v23, 0
.LBB366_29:
	v_cmp_eq_u32_e64 s[0:1], 0, v21
	s_and_b64 s[0:1], s[0:1], vcc
	s_and_b64 exec, exec, s[0:1]
	s_cbranch_execz .LBB366_38
; %bb.30:
	s_andn2_b64 vcc, exec, s[20:21]
	s_cbranch_vccnz .LBB366_38
; %bb.31:
	v_cmp_lt_f32_e32 vcc, 0, v23
	s_mov_b32 s2, 0
	v_cndmask_b32_e32 v0, 1.0, v23, vcc
	v_mul_lo_u32 v4, v17, s8
	s_cmp_eq_u32 s8, 1
	s_mov_b64 s[0:1], -1
	s_cbranch_scc1 .LBB366_35
; %bb.32:
	s_and_b32 s2, s8, 0x7ffffffe
	v_mov_b32_e32 v1, v0
	v_mov_b32_e32 v5, s17
	s_mov_b32 s3, s2
	v_mov_b32_e32 v2, v4
.LBB366_33:                             ; =>This Inner Loop Header: Depth=1
	v_ashrrev_i32_e32 v3, 31, v2
	v_lshlrev_b64 v[6:7], 2, v[2:3]
	v_add_co_u32_e32 v6, vcc, s16, v6
	v_addc_co_u32_e32 v7, vcc, v5, v7, vcc
	global_load_dwordx2 v[8:9], v[6:7], off
	s_add_i32 s3, s3, -2
	s_cmp_lg_u32 s3, 0
	v_add_u32_e32 v2, 2, v2
	s_waitcnt vmcnt(0)
	v_div_scale_f32 v3, s[0:1], v1, v1, v9
	v_div_scale_f32 v11, s[0:1], v0, v0, v8
	v_rcp_f32_e32 v12, v3
	v_rcp_f32_e32 v13, v11
	v_div_scale_f32 v10, vcc, v9, v1, v9
	v_fma_f32 v15, -v3, v12, 1.0
	v_fma_f32 v16, -v11, v13, 1.0
	v_fmac_f32_e32 v12, v15, v12
	v_div_scale_f32 v14, s[0:1], v8, v0, v8
	v_fmac_f32_e32 v13, v16, v13
	v_mul_f32_e32 v15, v10, v12
	v_mul_f32_e32 v16, v14, v13
	v_fma_f32 v17, -v3, v15, v10
	v_fma_f32 v18, -v11, v16, v14
	v_fmac_f32_e32 v15, v17, v12
	v_fmac_f32_e32 v16, v18, v13
	v_fma_f32 v3, -v3, v15, v10
	v_fma_f32 v10, -v11, v16, v14
	v_div_fmas_f32 v3, v3, v12, v15
	s_mov_b64 vcc, s[0:1]
	v_div_fixup_f32 v9, v3, v1, v9
	v_div_fmas_f32 v3, v10, v13, v16
	v_div_fixup_f32 v8, v3, v0, v8
	global_store_dwordx2 v[6:7], v[8:9], off
	s_cbranch_scc1 .LBB366_33
; %bb.34:
	s_cmp_lg_u32 s2, s8
	s_cselect_b64 s[0:1], -1, 0
.LBB366_35:
	s_and_b64 vcc, exec, s[0:1]
	s_cbranch_vccz .LBB366_38
; %bb.36:
	v_ashrrev_i32_e32 v1, 31, v4
	v_add_co_u32_e32 v2, vcc, s2, v4
	v_addc_co_u32_e32 v3, vcc, 0, v1, vcc
	v_lshlrev_b64 v[2:3], 2, v[2:3]
	v_mov_b32_e32 v1, s17
	v_add_co_u32_e32 v2, vcc, s16, v2
	s_sub_i32 s0, s8, s2
	v_addc_co_u32_e32 v3, vcc, v1, v3, vcc
.LBB366_37:                             ; =>This Inner Loop Header: Depth=1
	global_load_dword v1, v[2:3], off
	s_add_i32 s0, s0, -1
	s_cmp_lg_u32 s0, 0
	s_waitcnt vmcnt(0)
	v_div_scale_f32 v4, s[2:3], v0, v0, v1
	v_rcp_f32_e32 v5, v4
	v_div_scale_f32 v6, vcc, v1, v0, v1
	v_fma_f32 v7, -v4, v5, 1.0
	v_fmac_f32_e32 v5, v7, v5
	v_mul_f32_e32 v7, v6, v5
	v_fma_f32 v8, -v4, v7, v6
	v_fmac_f32_e32 v7, v8, v5
	v_fma_f32 v4, -v4, v7, v6
	v_div_fmas_f32 v4, v4, v5, v7
	v_div_fixup_f32 v1, v4, v0, v1
	global_store_dword v[2:3], v1, off
	v_add_co_u32_e32 v2, vcc, 4, v2
	v_addc_co_u32_e32 v3, vcc, 0, v3, vcc
	s_cbranch_scc1 .LBB366_37
.LBB366_38:
	s_endpgm
	.section	.rodata,"a",@progbits
	.p2align	6, 0x0
	.amdhsa_kernel _ZN4vllm3moe10topkGatingILi8ELi128ELi4ELi16ELi32El14__hip_bfloat16LNS0_11ScoringFuncE1EEEvPKT5_PKbPfiPT4_PiiiibPKf
		.amdhsa_group_segment_fixed_size 0
		.amdhsa_private_segment_fixed_size 0
		.amdhsa_kernarg_size 72
		.amdhsa_user_sgpr_count 6
		.amdhsa_user_sgpr_private_segment_buffer 1
		.amdhsa_user_sgpr_dispatch_ptr 0
		.amdhsa_user_sgpr_queue_ptr 0
		.amdhsa_user_sgpr_kernarg_segment_ptr 1
		.amdhsa_user_sgpr_dispatch_id 0
		.amdhsa_user_sgpr_flat_scratch_init 0
		.amdhsa_user_sgpr_kernarg_preload_length 0
		.amdhsa_user_sgpr_kernarg_preload_offset 0
		.amdhsa_user_sgpr_private_segment_size 0
		.amdhsa_uses_dynamic_stack 0
		.amdhsa_system_sgpr_private_segment_wavefront_offset 0
		.amdhsa_system_sgpr_workgroup_id_x 1
		.amdhsa_system_sgpr_workgroup_id_y 0
		.amdhsa_system_sgpr_workgroup_id_z 0
		.amdhsa_system_sgpr_workgroup_info 0
		.amdhsa_system_vgpr_workitem_id 1
		.amdhsa_next_free_vgpr 37
		.amdhsa_next_free_sgpr 26
		.amdhsa_accum_offset 40
		.amdhsa_reserve_vcc 1
		.amdhsa_reserve_flat_scratch 0
		.amdhsa_float_round_mode_32 0
		.amdhsa_float_round_mode_16_64 0
		.amdhsa_float_denorm_mode_32 3
		.amdhsa_float_denorm_mode_16_64 3
		.amdhsa_dx10_clamp 1
		.amdhsa_ieee_mode 1
		.amdhsa_fp16_overflow 0
		.amdhsa_tg_split 0
		.amdhsa_exception_fp_ieee_invalid_op 0
		.amdhsa_exception_fp_denorm_src 0
		.amdhsa_exception_fp_ieee_div_zero 0
		.amdhsa_exception_fp_ieee_overflow 0
		.amdhsa_exception_fp_ieee_underflow 0
		.amdhsa_exception_fp_ieee_inexact 0
		.amdhsa_exception_int_div_zero 0
	.end_amdhsa_kernel
	.section	.text._ZN4vllm3moe10topkGatingILi8ELi128ELi4ELi16ELi32El14__hip_bfloat16LNS0_11ScoringFuncE1EEEvPKT5_PKbPfiPT4_PiiiibPKf,"axG",@progbits,_ZN4vllm3moe10topkGatingILi8ELi128ELi4ELi16ELi32El14__hip_bfloat16LNS0_11ScoringFuncE1EEEvPKT5_PKbPfiPT4_PiiiibPKf,comdat
.Lfunc_end366:
	.size	_ZN4vllm3moe10topkGatingILi8ELi128ELi4ELi16ELi32El14__hip_bfloat16LNS0_11ScoringFuncE1EEEvPKT5_PKbPfiPT4_PiiiibPKf, .Lfunc_end366-_ZN4vllm3moe10topkGatingILi8ELi128ELi4ELi16ELi32El14__hip_bfloat16LNS0_11ScoringFuncE1EEEvPKT5_PKbPfiPT4_PiiiibPKf
                                        ; -- End function
	.section	.AMDGPU.csdata,"",@progbits
; Kernel info:
; codeLenInByte = 3024
; NumSgprs: 30
; NumVgprs: 37
; NumAgprs: 0
; TotalNumVgprs: 37
; ScratchSize: 0
; MemoryBound: 0
; FloatMode: 240
; IeeeMode: 1
; LDSByteSize: 0 bytes/workgroup (compile time only)
; SGPRBlocks: 3
; VGPRBlocks: 4
; NumSGPRsForWavesPerEU: 30
; NumVGPRsForWavesPerEU: 37
; AccumOffset: 40
; Occupancy: 8
; WaveLimiterHint : 0
; COMPUTE_PGM_RSRC2:SCRATCH_EN: 0
; COMPUTE_PGM_RSRC2:USER_SGPR: 6
; COMPUTE_PGM_RSRC2:TRAP_HANDLER: 0
; COMPUTE_PGM_RSRC2:TGID_X_EN: 1
; COMPUTE_PGM_RSRC2:TGID_Y_EN: 0
; COMPUTE_PGM_RSRC2:TGID_Z_EN: 0
; COMPUTE_PGM_RSRC2:TIDIG_COMP_CNT: 1
; COMPUTE_PGM_RSRC3_GFX90A:ACCUM_OFFSET: 9
; COMPUTE_PGM_RSRC3_GFX90A:TG_SPLIT: 0
	.section	.text._ZN4vllm3moe10topkGatingILi8ELi256ELi4ELi16ELi64El14__hip_bfloat16LNS0_11ScoringFuncE1EEEvPKT5_PKbPfiPT4_PiiiibPKf,"axG",@progbits,_ZN4vllm3moe10topkGatingILi8ELi256ELi4ELi16ELi64El14__hip_bfloat16LNS0_11ScoringFuncE1EEEvPKT5_PKbPfiPT4_PiiiibPKf,comdat
	.protected	_ZN4vllm3moe10topkGatingILi8ELi256ELi4ELi16ELi64El14__hip_bfloat16LNS0_11ScoringFuncE1EEEvPKT5_PKbPfiPT4_PiiiibPKf ; -- Begin function _ZN4vllm3moe10topkGatingILi8ELi256ELi4ELi16ELi64El14__hip_bfloat16LNS0_11ScoringFuncE1EEEvPKT5_PKbPfiPT4_PiiiibPKf
	.globl	_ZN4vllm3moe10topkGatingILi8ELi256ELi4ELi16ELi64El14__hip_bfloat16LNS0_11ScoringFuncE1EEEvPKT5_PKbPfiPT4_PiiiibPKf
	.p2align	8
	.type	_ZN4vllm3moe10topkGatingILi8ELi256ELi4ELi16ELi64El14__hip_bfloat16LNS0_11ScoringFuncE1EEEvPKT5_PKbPfiPT4_PiiiibPKf,@function
_ZN4vllm3moe10topkGatingILi8ELi256ELi4ELi16ELi64El14__hip_bfloat16LNS0_11ScoringFuncE1EEEvPKT5_PKbPfiPT4_PiiiibPKf: ; @_ZN4vllm3moe10topkGatingILi8ELi256ELi4ELi16ELi64El14__hip_bfloat16LNS0_11ScoringFuncE1EEEvPKT5_PKbPfiPT4_PiiiibPKf
; %bb.0:
	s_load_dword s24, s[4:5], 0x18
	v_bfe_u32 v1, v0, 10, 10
	v_and_b32_e32 v0, 0x3ff, v0
	s_lshl_b32 s0, s6, 3
	v_lshlrev_b32_e32 v1, 1, v1
	v_lshrrev_b32_e32 v2, 5, v0
	v_add3_u32 v17, s0, v1, v2
	s_waitcnt lgkmcnt(0)
	v_cmp_gt_i32_e32 vcc, s24, v17
	s_and_saveexec_b64 s[0:1], vcc
	s_cbranch_execz .LBB367_42
; %bb.1:
	s_load_dwordx4 s[0:3], s[4:5], 0x0
	s_load_dwordx2 s[16:17], s[4:5], 0x10
	s_mov_b64 s[8:9], -1
	s_mov_b64 s[18:19], -1
	s_waitcnt lgkmcnt(0)
	s_cmp_eq_u64 s[2:3], 0
	s_cbranch_scc1 .LBB367_3
; %bb.2:
	v_ashrrev_i32_e32 v1, 31, v17
	v_mov_b32_e32 v3, s3
	v_add_co_u32_e32 v2, vcc, s2, v17
	v_addc_co_u32_e32 v3, vcc, v3, v1, vcc
	global_load_ubyte v1, v[2:3], off
	s_waitcnt vmcnt(0)
	v_and_b32_e32 v1, 1, v1
	v_cmp_eq_u32_e32 vcc, 1, v1
	s_xor_b64 s[2:3], vcc, -1
	s_orn2_b64 s[18:19], s[2:3], exec
.LBB367_3:
	v_lshlrev_b32_e32 v2, 8, v17
	v_ashrrev_i32_e32 v3, 31, v2
	v_lshlrev_b64 v[2:3], 1, v[2:3]
	v_mov_b32_e32 v1, s1
	v_add_co_u32_e32 v2, vcc, s0, v2
	v_and_b32_e32 v21, 31, v0
	v_addc_co_u32_e32 v1, vcc, v1, v3, vcc
	v_lshlrev_b32_e32 v0, 4, v21
	v_add_co_u32_e32 v0, vcc, v2, v0
	v_addc_co_u32_e32 v1, vcc, 0, v1, vcc
	global_load_dwordx4 v[0:3], v[0:1], off
	v_mov_b32_e32 v8, 0x207
	s_load_dwordx2 s[10:11], s[4:5], 0x40
	v_lshlrev_b32_e32 v22, 3, v21
	s_waitcnt lgkmcnt(0)
	s_cmp_eq_u64 s[10:11], 0
	s_waitcnt vmcnt(0)
	v_lshlrev_b32_e32 v4, 16, v0
	v_and_b32_e32 v0, 0xffff0000, v0
	v_lshlrev_b32_e32 v5, 16, v1
	v_and_b32_e32 v1, 0xffff0000, v1
	v_mul_f32_e32 v4, 0xbfb8aa3b, v4
	v_mul_f32_e32 v9, 0xbfb8aa3b, v0
	;; [unrolled: 1-line block ×3, first 2 shown]
	v_exp_f32_e32 v0, v4
	v_exp_f32_e32 v1, v9
	v_lshlrev_b32_e32 v6, 16, v2
	v_and_b32_e32 v2, 0xffff0000, v2
	v_lshlrev_b32_e32 v7, 16, v3
	v_and_b32_e32 v3, 0xffff0000, v3
	v_mul_f32_e32 v5, 0xbfb8aa3b, v5
	v_mul_f32_e32 v11, 0xbfb8aa3b, v2
	;; [unrolled: 1-line block ×3, first 2 shown]
	v_exp_f32_e32 v2, v5
	v_exp_f32_e32 v3, v10
	v_pk_add_f32 v[0:1], v[0:1], 1.0 op_sel_hi:[1,0]
	v_div_scale_f32 v9, s[0:1], v1, v1, 1.0
	v_rcp_f32_e32 v19, v9
	v_exp_f32_e32 v5, v11
	v_div_scale_f32 v11, s[0:1], v0, v0, 1.0
	v_pk_add_f32 v[2:3], v[2:3], 1.0 op_sel_hi:[1,0]
	v_rcp_f32_e32 v20, v11
	v_div_scale_f32 v13, s[2:3], v3, v3, 1.0
	v_rcp_f32_e32 v23, v13
	v_fma_f32 v26, -v9, v19, 1.0
	v_div_scale_f32 v10, vcc, 1.0, v1, 1.0
	v_div_scale_f32 v15, s[6:7], v2, v2, 1.0
	v_fmac_f32_e32 v19, v26, v19
	v_mul_f32_e32 v6, 0xbfb8aa3b, v6
	v_mul_f32_e32 v7, 0xbfb8aa3b, v7
	v_rcp_f32_e32 v24, v15
	v_fma_f32 v27, -v11, v20, 1.0
	v_mul_f32_e32 v26, v10, v19
	v_exp_f32_e32 v4, v6
	v_exp_f32_e32 v6, v7
	;; [unrolled: 1-line block ×3, first 2 shown]
	v_div_scale_f32 v12, s[0:1], 1.0, v0, 1.0
	v_fmac_f32_e32 v20, v27, v20
	v_fma_f32 v30, -v9, v26, v10
	v_fma_f32 v28, -v13, v23, 1.0
	v_mul_f32_e32 v27, v12, v20
	v_fmac_f32_e32 v26, v30, v19
	v_div_scale_f32 v14, s[2:3], 1.0, v3, 1.0
	v_fmac_f32_e32 v23, v28, v23
	v_fma_f32 v31, -v11, v27, v12
	v_fma_f32 v9, -v9, v26, v10
	v_fma_f32 v29, -v15, v24, 1.0
	v_mul_f32_e32 v28, v14, v23
	v_fmac_f32_e32 v27, v31, v20
	v_div_fmas_f32 v9, v9, v19, v26
	v_div_scale_f32 v16, s[6:7], 1.0, v2, 1.0
	v_fmac_f32_e32 v24, v29, v24
	v_fma_f32 v32, -v13, v28, v14
	v_fma_f32 v10, -v11, v27, v12
	v_div_fixup_f32 v1, v9, v1, 1.0
	s_mov_b64 vcc, s[0:1]
	v_pk_add_f32 v[4:5], v[4:5], 1.0 op_sel_hi:[1,0]
	v_mul_f32_e32 v29, v16, v24
	v_fmac_f32_e32 v28, v32, v23
	v_div_fmas_f32 v9, v10, v20, v27
	v_cmp_class_f32_e32 vcc, v1, v8
	v_div_scale_f32 v18, s[12:13], v5, v5, 1.0
	v_fma_f32 v33, -v15, v29, v16
	v_fma_f32 v11, -v13, v28, v14
	v_div_fixup_f32 v0, v9, v0, 1.0
	v_cndmask_b32_e64 v1, v1, 0, vcc
	s_mov_b64 vcc, s[2:3]
	v_rcp_f32_e32 v25, v18
	v_fmac_f32_e32 v29, v33, v24
	v_div_fmas_f32 v9, v11, v23, v28
	v_cmp_class_f32_e32 vcc, v0, v8
	v_fma_f32 v12, -v15, v29, v16
	v_cndmask_b32_e64 v0, v0, 0, vcc
	s_mov_b64 vcc, s[6:7]
	v_div_fixup_f32 v3, v9, v3, 1.0
	v_div_fmas_f32 v9, v12, v24, v29
	v_div_fixup_f32 v2, v9, v2, 1.0
	v_cmp_class_f32_e32 vcc, v3, v8
	v_cndmask_b32_e64 v3, v3, 0, vcc
	v_cmp_class_f32_e32 vcc, v2, v8
	v_fma_f32 v9, -v18, v25, 1.0
	v_cndmask_b32_e64 v2, v2, 0, vcc
	v_fmac_f32_e32 v25, v9, v25
	v_div_scale_f32 v9, vcc, 1.0, v5, 1.0
	v_mul_f32_e32 v10, v9, v25
	v_fma_f32 v11, -v18, v10, v9
	v_fmac_f32_e32 v10, v11, v25
	v_div_scale_f32 v11, s[0:1], v4, v4, 1.0
	v_rcp_f32_e32 v12, v11
	v_fma_f32 v9, -v18, v10, v9
	v_div_fmas_f32 v9, v9, v25, v10
	v_div_fixup_f32 v5, v9, v5, 1.0
	v_fma_f32 v9, -v11, v12, 1.0
	v_fmac_f32_e32 v12, v9, v12
	v_div_scale_f32 v9, vcc, 1.0, v4, 1.0
	v_mul_f32_e32 v10, v9, v12
	v_fma_f32 v13, -v11, v10, v9
	v_fmac_f32_e32 v10, v13, v12
	v_fma_f32 v9, -v11, v10, v9
	v_div_fmas_f32 v9, v9, v12, v10
	v_pk_add_f32 v[6:7], v[6:7], 1.0 op_sel_hi:[1,0]
	v_div_fixup_f32 v4, v9, v4, 1.0
	v_div_scale_f32 v9, s[0:1], v7, v7, 1.0
	v_rcp_f32_e32 v10, v9
	v_cmp_class_f32_e32 vcc, v5, v8
	v_cndmask_b32_e64 v5, v5, 0, vcc
	v_cmp_class_f32_e32 vcc, v4, v8
	v_fma_f32 v11, -v9, v10, 1.0
	v_cndmask_b32_e64 v4, v4, 0, vcc
	v_fmac_f32_e32 v10, v11, v10
	v_div_scale_f32 v11, vcc, 1.0, v7, 1.0
	v_mul_f32_e32 v12, v11, v10
	v_fma_f32 v13, -v9, v12, v11
	v_fmac_f32_e32 v12, v13, v10
	v_fma_f32 v9, -v9, v12, v11
	v_div_scale_f32 v11, s[0:1], v6, v6, 1.0
	v_rcp_f32_e32 v13, v11
	v_div_fmas_f32 v9, v9, v10, v12
	v_div_fixup_f32 v7, v9, v7, 1.0
	v_fma_f32 v9, -v11, v13, 1.0
	v_fmac_f32_e32 v13, v9, v13
	v_div_scale_f32 v9, vcc, 1.0, v6, 1.0
	v_mul_f32_e32 v10, v9, v13
	v_fma_f32 v12, -v11, v10, v9
	v_fmac_f32_e32 v10, v12, v13
	v_fma_f32 v9, -v11, v10, v9
	v_div_fmas_f32 v9, v9, v13, v10
	v_div_fixup_f32 v6, v9, v6, 1.0
	v_cmp_class_f32_e32 vcc, v7, v8
	v_cndmask_b32_e64 v7, v7, 0, vcc
	v_cmp_class_f32_e32 vcc, v6, v8
	v_cndmask_b32_e64 v6, v6, 0, vcc
	s_cbranch_scc1 .LBB367_31
; %bb.4:
	v_lshlrev_b32_e32 v16, 2, v22
	global_load_dwordx4 v[8:11], v16, s[10:11]
	global_load_dwordx4 v[12:15], v16, s[10:11] offset:16
	s_waitcnt vmcnt(1)
	v_pk_add_f32 v[8:9], v[8:9], v[0:1]
	v_pk_add_f32 v[10:11], v[10:11], v[2:3]
	s_waitcnt vmcnt(0)
	v_pk_add_f32 v[12:13], v[12:13], v[4:5]
	v_pk_add_f32 v[14:15], v[14:15], v[6:7]
	s_cbranch_execnz .LBB367_6
.LBB367_5:
	v_pk_mov_b32 v[14:15], v[6:7], v[6:7] op_sel:[0,1]
	v_pk_mov_b32 v[12:13], v[4:5], v[4:5] op_sel:[0,1]
	;; [unrolled: 1-line block ×4, first 2 shown]
.LBB367_6:
	s_load_dwordx4 s[8:11], s[4:5], 0x30
	s_mov_b32 s25, 0
	v_cmp_eq_u32_e64 s[0:1], 0, v21
	s_waitcnt lgkmcnt(0)
	s_bitcmp1_b32 s11, 0
	s_cselect_b64 vcc, -1, 0
	s_cmp_gt_i32 s8, 0
	s_cselect_b64 s[20:21], -1, 0
	s_cmp_lt_i32 s8, 1
	s_cbranch_scc1 .LBB367_32
; %bb.7:
	v_mbcnt_lo_u32_b32 v16, -1, 0
	v_mbcnt_hi_u32_b32 v16, -1, v16
	v_and_b32_e32 v18, 0x60, v16
	v_add_u32_e32 v18, 32, v18
	v_xor_b32_e32 v19, 16, v16
	v_cmp_lt_i32_e64 s[2:3], v19, v18
	v_cndmask_b32_e64 v19, v16, v19, s[2:3]
	v_lshlrev_b32_e32 v25, 2, v19
	v_xor_b32_e32 v19, 8, v16
	v_cmp_lt_i32_e64 s[2:3], v19, v18
	v_cndmask_b32_e64 v19, v16, v19, s[2:3]
	v_lshlrev_b32_e32 v26, 2, v19
	;; [unrolled: 4-line block ×3, first 2 shown]
	v_xor_b32_e32 v19, 2, v16
	v_cmp_lt_i32_e64 s[2:3], v19, v18
	s_load_dwordx4 s[12:15], s[4:5], 0x20
	v_cndmask_b32_e64 v19, v16, v19, s[2:3]
	v_lshlrev_b32_e32 v28, 2, v19
	v_xor_b32_e32 v19, 1, v16
	v_cmp_lt_i32_e64 s[2:3], v19, v18
	v_cndmask_b32_e64 v16, v16, v19, s[2:3]
	v_mul_lo_u32 v24, v17, s8
	v_lshlrev_b32_e32 v29, 2, v16
	v_mov_b32_e32 v23, 0
	v_mov_b32_e32 v30, 0x100
	v_mov_b32_e32 v31, 0xc61c4000
	v_mov_b32_e32 v32, v17
	s_branch .LBB367_10
.LBB367_8:                              ;   in Loop: Header=BB367_10 Depth=1
	s_or_b64 exec, exec, s[4:5]
.LBB367_9:                              ;   in Loop: Header=BB367_10 Depth=1
	s_cmp_eq_u32 s8, s25
	v_add_u32_e32 v32, s24, v32
	s_cbranch_scc1 .LBB367_33
.LBB367_10:                             ; =>This Inner Loop Header: Depth=1
	v_cmp_gt_f32_e64 s[2:3], v9, v8
	s_waitcnt lgkmcnt(0)
	v_cndmask_b32_e64 v19, v8, v9, s[2:3]
	v_cndmask_b32_e64 v16, 0, 1, s[2:3]
	v_cndmask_b32_e64 v18, v0, v1, s[2:3]
	v_cmp_gt_f32_e64 s[2:3], v10, v19
	v_cndmask_b32_e64 v19, v19, v10, s[2:3]
	v_cndmask_b32_e64 v16, v16, 2, s[2:3]
	v_cndmask_b32_e64 v18, v18, v2, s[2:3]
	v_cmp_gt_f32_e64 s[2:3], v11, v19
	;; [unrolled: 4-line block ×6, first 2 shown]
	v_cndmask_b32_e64 v16, v16, 7, s[2:3]
	v_cndmask_b32_e64 v33, v19, v15, s[2:3]
	v_or_b32_e32 v34, v22, v16
	v_cndmask_b32_e64 v16, v18, v7, s[2:3]
	ds_bpermute_b32 v36, v25, v33
	ds_bpermute_b32 v20, v25, v16
	ds_bpermute_b32 v35, v25, v34
                                        ; implicit-def: $vgpr18_vgpr19
	s_waitcnt lgkmcnt(0)
	v_cmp_lt_f32_e64 s[6:7], v33, v36
	v_cmp_nlt_f32_e64 s[2:3], v33, v36
	s_and_saveexec_b64 s[22:23], s[2:3]
; %bb.11:                               ;   in Loop: Header=BB367_10 Depth=1
	v_cmp_eq_f32_e64 s[2:3], v33, v36
	v_cmp_lt_i32_e64 s[4:5], v35, v34
	s_and_b64 s[2:3], s[2:3], s[4:5]
	s_andn2_b64 s[4:5], s[6:7], exec
	s_and_b64 s[2:3], s[2:3], exec
	s_or_b64 s[6:7], s[4:5], s[2:3]
	v_pk_mov_b32 v[18:19], v[16:17], v[16:17] op_sel:[0,1]
; %bb.12:                               ;   in Loop: Header=BB367_10 Depth=1
	s_or_b64 exec, exec, s[22:23]
	s_and_saveexec_b64 s[2:3], s[6:7]
; %bb.13:                               ;   in Loop: Header=BB367_10 Depth=1
	v_mov_b32_e32 v33, v36
	v_mov_b32_e32 v16, v20
	;; [unrolled: 1-line block ×3, first 2 shown]
	v_pk_mov_b32 v[18:19], v[20:21], v[20:21] op_sel:[0,1]
; %bb.14:                               ;   in Loop: Header=BB367_10 Depth=1
	s_or_b64 exec, exec, s[2:3]
	ds_bpermute_b32 v35, v26, v33
	ds_bpermute_b32 v20, v26, v16
	;; [unrolled: 1-line block ×3, first 2 shown]
	s_waitcnt lgkmcnt(2)
	v_cmp_lt_f32_e64 s[6:7], v33, v35
	v_cmp_nlt_f32_e64 s[2:3], v33, v35
	s_and_saveexec_b64 s[22:23], s[2:3]
	s_cbranch_execz .LBB367_16
; %bb.15:                               ;   in Loop: Header=BB367_10 Depth=1
	v_cmp_eq_f32_e64 s[2:3], v33, v35
	s_waitcnt lgkmcnt(0)
	v_cmp_lt_i32_e64 s[4:5], v19, v34
	s_and_b64 s[2:3], s[2:3], s[4:5]
	s_andn2_b64 s[4:5], s[6:7], exec
	s_and_b64 s[2:3], s[2:3], exec
	s_or_b64 s[6:7], s[4:5], s[2:3]
.LBB367_16:                             ;   in Loop: Header=BB367_10 Depth=1
	s_or_b64 exec, exec, s[22:23]
	s_and_saveexec_b64 s[2:3], s[6:7]
	s_cbranch_execz .LBB367_18
; %bb.17:                               ;   in Loop: Header=BB367_10 Depth=1
	v_mov_b32_e32 v33, v35
	s_waitcnt lgkmcnt(1)
	v_mov_b32_e32 v16, v20
	s_waitcnt lgkmcnt(0)
	v_mov_b32_e32 v34, v19
	v_pk_mov_b32 v[18:19], v[20:21], v[20:21] op_sel:[0,1]
.LBB367_18:                             ;   in Loop: Header=BB367_10 Depth=1
	s_or_b64 exec, exec, s[2:3]
	ds_bpermute_b32 v35, v27, v33
	s_waitcnt lgkmcnt(2)
	ds_bpermute_b32 v20, v27, v16
	s_waitcnt lgkmcnt(2)
	;; [unrolled: 2-line block ×3, first 2 shown]
	v_cmp_lt_f32_e64 s[6:7], v33, v35
	v_cmp_nlt_f32_e64 s[2:3], v33, v35
	s_and_saveexec_b64 s[22:23], s[2:3]
	s_cbranch_execz .LBB367_20
; %bb.19:                               ;   in Loop: Header=BB367_10 Depth=1
	v_cmp_eq_f32_e64 s[2:3], v33, v35
	s_waitcnt lgkmcnt(0)
	v_cmp_lt_i32_e64 s[4:5], v19, v34
	s_and_b64 s[2:3], s[2:3], s[4:5]
	s_andn2_b64 s[4:5], s[6:7], exec
	s_and_b64 s[2:3], s[2:3], exec
	s_or_b64 s[6:7], s[4:5], s[2:3]
.LBB367_20:                             ;   in Loop: Header=BB367_10 Depth=1
	s_or_b64 exec, exec, s[22:23]
	s_and_saveexec_b64 s[2:3], s[6:7]
	s_cbranch_execz .LBB367_22
; %bb.21:                               ;   in Loop: Header=BB367_10 Depth=1
	v_mov_b32_e32 v33, v35
	s_waitcnt lgkmcnt(1)
	v_mov_b32_e32 v16, v20
	s_waitcnt lgkmcnt(0)
	v_mov_b32_e32 v34, v19
	v_pk_mov_b32 v[18:19], v[20:21], v[20:21] op_sel:[0,1]
.LBB367_22:                             ;   in Loop: Header=BB367_10 Depth=1
	s_or_b64 exec, exec, s[2:3]
	ds_bpermute_b32 v35, v28, v33
	s_waitcnt lgkmcnt(2)
	ds_bpermute_b32 v20, v28, v16
	s_waitcnt lgkmcnt(2)
	;; [unrolled: 2-line block ×3, first 2 shown]
	v_cmp_lt_f32_e64 s[6:7], v33, v35
	v_cmp_nlt_f32_e64 s[2:3], v33, v35
	s_and_saveexec_b64 s[22:23], s[2:3]
	s_cbranch_execz .LBB367_24
; %bb.23:                               ;   in Loop: Header=BB367_10 Depth=1
	v_cmp_eq_f32_e64 s[2:3], v33, v35
	s_waitcnt lgkmcnt(0)
	v_cmp_lt_i32_e64 s[4:5], v19, v34
	s_and_b64 s[2:3], s[2:3], s[4:5]
	s_andn2_b64 s[4:5], s[6:7], exec
	s_and_b64 s[2:3], s[2:3], exec
	s_or_b64 s[6:7], s[4:5], s[2:3]
.LBB367_24:                             ;   in Loop: Header=BB367_10 Depth=1
	s_or_b64 exec, exec, s[22:23]
	s_and_saveexec_b64 s[2:3], s[6:7]
	s_cbranch_execz .LBB367_26
; %bb.25:                               ;   in Loop: Header=BB367_10 Depth=1
	v_mov_b32_e32 v33, v35
	s_waitcnt lgkmcnt(1)
	v_mov_b32_e32 v16, v20
	s_waitcnt lgkmcnt(0)
	v_mov_b32_e32 v34, v19
	v_pk_mov_b32 v[18:19], v[20:21], v[20:21] op_sel:[0,1]
.LBB367_26:                             ;   in Loop: Header=BB367_10 Depth=1
	s_or_b64 exec, exec, s[2:3]
	s_waitcnt lgkmcnt(1)
	ds_bpermute_b32 v20, v29, v33
	ds_bpermute_b32 v35, v29, v34
	s_waitcnt lgkmcnt(2)
	ds_bpermute_b32 v19, v29, v16
	s_waitcnt lgkmcnt(2)
	v_cmp_eq_f32_e64 s[4:5], v33, v20
	s_waitcnt lgkmcnt(1)
	v_cmp_lt_i32_e64 s[6:7], v35, v34
	v_cmp_lt_f32_e64 s[2:3], v33, v20
	s_and_b64 s[4:5], s[4:5], s[6:7]
	s_or_b64 s[2:3], s[2:3], s[4:5]
	v_cndmask_b32_e64 v16, v34, v35, s[2:3]
	s_and_saveexec_b64 s[6:7], s[0:1]
	s_cbranch_execnz .LBB367_28
; %bb.27:                               ;   in Loop: Header=BB367_10 Depth=1
	s_or_b64 exec, exec, s[6:7]
	s_add_i32 s25, s25, 1
	s_cmp_ge_i32 s25, s8
	s_cbranch_scc1 .LBB367_9
	s_branch .LBB367_29
.LBB367_28:                             ;   in Loop: Header=BB367_10 Depth=1
	s_waitcnt lgkmcnt(0)
	v_cndmask_b32_e64 v20, v18, v19, s[2:3]
	v_add_u32_e32 v18, s25, v24
	v_ashrrev_i32_e32 v19, 31, v18
	v_cmp_le_i32_e64 s[2:3], s9, v16
	v_cmp_gt_i32_e64 s[4:5], s10, v16
	v_lshlrev_b64 v[34:35], 2, v[18:19]
	s_and_b64 s[4:5], s[2:3], s[4:5]
	v_mov_b32_e32 v33, s17
	v_add_co_u32_e64 v36, s[2:3], s16, v34
	v_addc_co_u32_e64 v37, s[2:3], v33, v35, s[2:3]
	v_subrev_u32_e32 v33, s9, v16
	global_store_dword v[36:37], v20, off
	v_ashrrev_i32_e32 v36, 31, v33
	s_and_b64 s[2:3], s[18:19], s[4:5]
	v_lshlrev_b64 v[18:19], 3, v[18:19]
	v_cndmask_b32_e64 v37, 0, v36, s[2:3]
	v_cndmask_b32_e64 v36, v30, v33, s[2:3]
	v_mov_b32_e32 v33, s13
	v_add_co_u32_e64 v18, s[2:3], s12, v18
	v_addc_co_u32_e64 v19, s[2:3], v33, v19, s[2:3]
	global_store_dwordx2 v[18:19], v[36:37], off
	v_mov_b32_e32 v19, s15
	v_add_co_u32_e64 v18, s[2:3], s14, v34
	v_addc_co_u32_e64 v19, s[2:3], v19, v35, s[2:3]
	global_store_dword v[18:19], v32, off
	v_add_f32_e32 v18, v23, v20
	v_cndmask_b32_e32 v23, v23, v18, vcc
	s_or_b64 exec, exec, s[6:7]
	s_add_i32 s25, s25, 1
	s_cmp_ge_i32 s25, s8
	s_cbranch_scc1 .LBB367_9
.LBB367_29:                             ;   in Loop: Header=BB367_10 Depth=1
	v_ashrrev_i32_e32 v18, 31, v16
	s_waitcnt lgkmcnt(0)
	v_lshrrev_b32_e32 v19, 29, v18
	v_add_u32_e32 v20, v16, v19
	v_ashrrev_i32_e32 v19, 3, v20
	v_ashrrev_i32_e32 v20, 31, v20
	v_lshrrev_b32_e32 v20, 27, v20
	v_add_u32_e32 v20, v19, v20
	v_and_b32_e32 v20, 0xffffffe0, v20
	v_sub_u32_e32 v20, v19, v20
	v_cmp_eq_u32_e64 s[2:3], v21, v20
	s_and_saveexec_b64 s[4:5], s[2:3]
	s_cbranch_execz .LBB367_8
; %bb.30:                               ;   in Loop: Header=BB367_10 Depth=1
	v_add_u32_sdwa v18, v16, v18 dst_sel:DWORD dst_unused:UNUSED_PAD src0_sel:DWORD src1_sel:BYTE_3
	v_lshlrev_b32_e32 v19, 3, v19
	v_ashrrev_i32_e32 v18, 8, v18
	v_sub_u32_e32 v16, v16, v19
	v_lshl_add_u32 v16, v18, 3, v16
	v_cmp_ne_u32_e64 s[2:3], 7, v16
	v_cndmask_b32_e64 v15, v31, v15, s[2:3]
	v_cmp_ne_u32_e64 s[2:3], 6, v16
	v_cndmask_b32_e64 v14, v31, v14, s[2:3]
	;; [unrolled: 2-line block ×8, first 2 shown]
	s_branch .LBB367_8
.LBB367_31:
                                        ; implicit-def: $vgpr8_vgpr9_vgpr10_vgpr11_vgpr12_vgpr13_vgpr14_vgpr15
	s_andn2_b64 vcc, exec, s[8:9]
	s_cbranch_vccz .LBB367_5
	s_branch .LBB367_6
.LBB367_32:
	v_mov_b32_e32 v23, 0
.LBB367_33:
	v_cmp_eq_u32_e64 s[0:1], 0, v21
	s_and_b64 s[0:1], s[0:1], vcc
	s_and_b64 exec, exec, s[0:1]
	s_cbranch_execz .LBB367_42
; %bb.34:
	s_andn2_b64 vcc, exec, s[20:21]
	s_cbranch_vccnz .LBB367_42
; %bb.35:
	v_cmp_lt_f32_e32 vcc, 0, v23
	s_mov_b32 s2, 0
	v_cndmask_b32_e32 v0, 1.0, v23, vcc
	v_mul_lo_u32 v4, v17, s8
	s_cmp_eq_u32 s8, 1
	s_mov_b64 s[0:1], -1
	s_cbranch_scc1 .LBB367_39
; %bb.36:
	s_and_b32 s2, s8, 0x7ffffffe
	v_mov_b32_e32 v1, v0
	v_mov_b32_e32 v5, s17
	s_mov_b32 s3, s2
	v_mov_b32_e32 v2, v4
.LBB367_37:                             ; =>This Inner Loop Header: Depth=1
	v_ashrrev_i32_e32 v3, 31, v2
	v_lshlrev_b64 v[6:7], 2, v[2:3]
	v_add_co_u32_e32 v6, vcc, s16, v6
	v_addc_co_u32_e32 v7, vcc, v5, v7, vcc
	global_load_dwordx2 v[8:9], v[6:7], off
	s_add_i32 s3, s3, -2
	s_cmp_lg_u32 s3, 0
	v_add_u32_e32 v2, 2, v2
	s_waitcnt vmcnt(0)
	v_div_scale_f32 v3, s[0:1], v1, v1, v9
	v_div_scale_f32 v11, s[0:1], v0, v0, v8
	v_rcp_f32_e32 v12, v3
	v_rcp_f32_e32 v13, v11
	v_div_scale_f32 v10, vcc, v9, v1, v9
	v_fma_f32 v15, -v3, v12, 1.0
	v_fma_f32 v16, -v11, v13, 1.0
	v_fmac_f32_e32 v12, v15, v12
	v_div_scale_f32 v14, s[0:1], v8, v0, v8
	v_fmac_f32_e32 v13, v16, v13
	v_mul_f32_e32 v15, v10, v12
	v_mul_f32_e32 v16, v14, v13
	v_fma_f32 v17, -v3, v15, v10
	v_fma_f32 v18, -v11, v16, v14
	v_fmac_f32_e32 v15, v17, v12
	v_fmac_f32_e32 v16, v18, v13
	v_fma_f32 v3, -v3, v15, v10
	v_fma_f32 v10, -v11, v16, v14
	v_div_fmas_f32 v3, v3, v12, v15
	s_mov_b64 vcc, s[0:1]
	v_div_fixup_f32 v9, v3, v1, v9
	v_div_fmas_f32 v3, v10, v13, v16
	v_div_fixup_f32 v8, v3, v0, v8
	global_store_dwordx2 v[6:7], v[8:9], off
	s_cbranch_scc1 .LBB367_37
; %bb.38:
	s_cmp_lg_u32 s2, s8
	s_cselect_b64 s[0:1], -1, 0
.LBB367_39:
	s_and_b64 vcc, exec, s[0:1]
	s_cbranch_vccz .LBB367_42
; %bb.40:
	v_ashrrev_i32_e32 v1, 31, v4
	v_add_co_u32_e32 v2, vcc, s2, v4
	v_addc_co_u32_e32 v3, vcc, 0, v1, vcc
	v_lshlrev_b64 v[2:3], 2, v[2:3]
	v_mov_b32_e32 v1, s17
	v_add_co_u32_e32 v2, vcc, s16, v2
	s_sub_i32 s0, s8, s2
	v_addc_co_u32_e32 v3, vcc, v1, v3, vcc
.LBB367_41:                             ; =>This Inner Loop Header: Depth=1
	global_load_dword v1, v[2:3], off
	s_add_i32 s0, s0, -1
	s_cmp_lg_u32 s0, 0
	s_waitcnt vmcnt(0)
	v_div_scale_f32 v4, s[2:3], v0, v0, v1
	v_rcp_f32_e32 v5, v4
	v_div_scale_f32 v6, vcc, v1, v0, v1
	v_fma_f32 v7, -v4, v5, 1.0
	v_fmac_f32_e32 v5, v7, v5
	v_mul_f32_e32 v7, v6, v5
	v_fma_f32 v8, -v4, v7, v6
	v_fmac_f32_e32 v7, v8, v5
	v_fma_f32 v4, -v4, v7, v6
	v_div_fmas_f32 v4, v4, v5, v7
	v_div_fixup_f32 v1, v4, v0, v1
	global_store_dword v[2:3], v1, off
	v_add_co_u32_e32 v2, vcc, 4, v2
	v_addc_co_u32_e32 v3, vcc, 0, v3, vcc
	s_cbranch_scc1 .LBB367_41
.LBB367_42:
	s_endpgm
	.section	.rodata,"a",@progbits
	.p2align	6, 0x0
	.amdhsa_kernel _ZN4vllm3moe10topkGatingILi8ELi256ELi4ELi16ELi64El14__hip_bfloat16LNS0_11ScoringFuncE1EEEvPKT5_PKbPfiPT4_PiiiibPKf
		.amdhsa_group_segment_fixed_size 0
		.amdhsa_private_segment_fixed_size 0
		.amdhsa_kernarg_size 72
		.amdhsa_user_sgpr_count 6
		.amdhsa_user_sgpr_private_segment_buffer 1
		.amdhsa_user_sgpr_dispatch_ptr 0
		.amdhsa_user_sgpr_queue_ptr 0
		.amdhsa_user_sgpr_kernarg_segment_ptr 1
		.amdhsa_user_sgpr_dispatch_id 0
		.amdhsa_user_sgpr_flat_scratch_init 0
		.amdhsa_user_sgpr_kernarg_preload_length 0
		.amdhsa_user_sgpr_kernarg_preload_offset 0
		.amdhsa_user_sgpr_private_segment_size 0
		.amdhsa_uses_dynamic_stack 0
		.amdhsa_system_sgpr_private_segment_wavefront_offset 0
		.amdhsa_system_sgpr_workgroup_id_x 1
		.amdhsa_system_sgpr_workgroup_id_y 0
		.amdhsa_system_sgpr_workgroup_id_z 0
		.amdhsa_system_sgpr_workgroup_info 0
		.amdhsa_system_vgpr_workitem_id 1
		.amdhsa_next_free_vgpr 38
		.amdhsa_next_free_sgpr 26
		.amdhsa_accum_offset 40
		.amdhsa_reserve_vcc 1
		.amdhsa_reserve_flat_scratch 0
		.amdhsa_float_round_mode_32 0
		.amdhsa_float_round_mode_16_64 0
		.amdhsa_float_denorm_mode_32 3
		.amdhsa_float_denorm_mode_16_64 3
		.amdhsa_dx10_clamp 1
		.amdhsa_ieee_mode 1
		.amdhsa_fp16_overflow 0
		.amdhsa_tg_split 0
		.amdhsa_exception_fp_ieee_invalid_op 0
		.amdhsa_exception_fp_denorm_src 0
		.amdhsa_exception_fp_ieee_div_zero 0
		.amdhsa_exception_fp_ieee_overflow 0
		.amdhsa_exception_fp_ieee_underflow 0
		.amdhsa_exception_fp_ieee_inexact 0
		.amdhsa_exception_int_div_zero 0
	.end_amdhsa_kernel
	.section	.text._ZN4vllm3moe10topkGatingILi8ELi256ELi4ELi16ELi64El14__hip_bfloat16LNS0_11ScoringFuncE1EEEvPKT5_PKbPfiPT4_PiiiibPKf,"axG",@progbits,_ZN4vllm3moe10topkGatingILi8ELi256ELi4ELi16ELi64El14__hip_bfloat16LNS0_11ScoringFuncE1EEEvPKT5_PKbPfiPT4_PiiiibPKf,comdat
.Lfunc_end367:
	.size	_ZN4vllm3moe10topkGatingILi8ELi256ELi4ELi16ELi64El14__hip_bfloat16LNS0_11ScoringFuncE1EEEvPKT5_PKbPfiPT4_PiiiibPKf, .Lfunc_end367-_ZN4vllm3moe10topkGatingILi8ELi256ELi4ELi16ELi64El14__hip_bfloat16LNS0_11ScoringFuncE1EEEvPKT5_PKbPfiPT4_PiiiibPKf
                                        ; -- End function
	.section	.AMDGPU.csdata,"",@progbits
; Kernel info:
; codeLenInByte = 3196
; NumSgprs: 30
; NumVgprs: 38
; NumAgprs: 0
; TotalNumVgprs: 38
; ScratchSize: 0
; MemoryBound: 0
; FloatMode: 240
; IeeeMode: 1
; LDSByteSize: 0 bytes/workgroup (compile time only)
; SGPRBlocks: 3
; VGPRBlocks: 4
; NumSGPRsForWavesPerEU: 30
; NumVGPRsForWavesPerEU: 38
; AccumOffset: 40
; Occupancy: 8
; WaveLimiterHint : 0
; COMPUTE_PGM_RSRC2:SCRATCH_EN: 0
; COMPUTE_PGM_RSRC2:USER_SGPR: 6
; COMPUTE_PGM_RSRC2:TRAP_HANDLER: 0
; COMPUTE_PGM_RSRC2:TGID_X_EN: 1
; COMPUTE_PGM_RSRC2:TGID_Y_EN: 0
; COMPUTE_PGM_RSRC2:TGID_Z_EN: 0
; COMPUTE_PGM_RSRC2:TIDIG_COMP_CNT: 1
; COMPUTE_PGM_RSRC3_GFX90A:ACCUM_OFFSET: 9
; COMPUTE_PGM_RSRC3_GFX90A:TG_SPLIT: 0
	.section	.text._ZN4vllm3moe10topkGatingILi8ELi256ELi4ELi16ELi32El14__hip_bfloat16LNS0_11ScoringFuncE1EEEvPKT5_PKbPfiPT4_PiiiibPKf,"axG",@progbits,_ZN4vllm3moe10topkGatingILi8ELi256ELi4ELi16ELi32El14__hip_bfloat16LNS0_11ScoringFuncE1EEEvPKT5_PKbPfiPT4_PiiiibPKf,comdat
	.protected	_ZN4vllm3moe10topkGatingILi8ELi256ELi4ELi16ELi32El14__hip_bfloat16LNS0_11ScoringFuncE1EEEvPKT5_PKbPfiPT4_PiiiibPKf ; -- Begin function _ZN4vllm3moe10topkGatingILi8ELi256ELi4ELi16ELi32El14__hip_bfloat16LNS0_11ScoringFuncE1EEEvPKT5_PKbPfiPT4_PiiiibPKf
	.globl	_ZN4vllm3moe10topkGatingILi8ELi256ELi4ELi16ELi32El14__hip_bfloat16LNS0_11ScoringFuncE1EEEvPKT5_PKbPfiPT4_PiiiibPKf
	.p2align	8
	.type	_ZN4vllm3moe10topkGatingILi8ELi256ELi4ELi16ELi32El14__hip_bfloat16LNS0_11ScoringFuncE1EEEvPKT5_PKbPfiPT4_PiiiibPKf,@function
_ZN4vllm3moe10topkGatingILi8ELi256ELi4ELi16ELi32El14__hip_bfloat16LNS0_11ScoringFuncE1EEEvPKT5_PKbPfiPT4_PiiiibPKf: ; @_ZN4vllm3moe10topkGatingILi8ELi256ELi4ELi16ELi32El14__hip_bfloat16LNS0_11ScoringFuncE1EEEvPKT5_PKbPfiPT4_PiiiibPKf
; %bb.0:
	s_load_dword s24, s[4:5], 0x18
	v_and_b32_e32 v1, 0x3ff, v0
	s_lshl_b32 s0, s6, 2
	v_lshrrev_b32_e32 v2, 5, v1
	v_bfe_u32 v0, v0, 10, 10
	v_add3_u32 v17, s0, v0, v2
	s_waitcnt lgkmcnt(0)
	v_cmp_gt_i32_e32 vcc, s24, v17
	s_and_saveexec_b64 s[0:1], vcc
	s_cbranch_execz .LBB368_42
; %bb.1:
	s_load_dwordx4 s[0:3], s[4:5], 0x0
	s_load_dwordx2 s[16:17], s[4:5], 0x10
	s_mov_b64 s[8:9], -1
	s_mov_b64 s[18:19], -1
	s_waitcnt lgkmcnt(0)
	s_cmp_eq_u64 s[2:3], 0
	s_cbranch_scc1 .LBB368_3
; %bb.2:
	v_ashrrev_i32_e32 v0, 31, v17
	v_mov_b32_e32 v3, s3
	v_add_co_u32_e32 v2, vcc, s2, v17
	v_addc_co_u32_e32 v3, vcc, v3, v0, vcc
	global_load_ubyte v0, v[2:3], off
	s_waitcnt vmcnt(0)
	v_and_b32_e32 v0, 1, v0
	v_cmp_eq_u32_e32 vcc, 1, v0
	s_xor_b64 s[2:3], vcc, -1
	s_orn2_b64 s[18:19], s[2:3], exec
.LBB368_3:
	v_lshlrev_b32_e32 v2, 8, v17
	v_ashrrev_i32_e32 v3, 31, v2
	v_lshlrev_b64 v[2:3], 1, v[2:3]
	v_mov_b32_e32 v0, s1
	v_add_co_u32_e32 v2, vcc, s0, v2
	v_and_b32_e32 v21, 31, v1
	v_addc_co_u32_e32 v3, vcc, v0, v3, vcc
	v_lshlrev_b32_e32 v0, 4, v21
	v_add_co_u32_e32 v0, vcc, v2, v0
	v_addc_co_u32_e32 v1, vcc, 0, v3, vcc
	global_load_dwordx4 v[0:3], v[0:1], off
	v_mov_b32_e32 v8, 0x207
	s_load_dwordx2 s[10:11], s[4:5], 0x40
	v_lshlrev_b32_e32 v22, 3, v21
	s_waitcnt lgkmcnt(0)
	s_cmp_eq_u64 s[10:11], 0
	s_waitcnt vmcnt(0)
	v_lshlrev_b32_e32 v4, 16, v0
	v_and_b32_e32 v0, 0xffff0000, v0
	v_lshlrev_b32_e32 v5, 16, v1
	v_and_b32_e32 v1, 0xffff0000, v1
	v_mul_f32_e32 v4, 0xbfb8aa3b, v4
	v_mul_f32_e32 v9, 0xbfb8aa3b, v0
	;; [unrolled: 1-line block ×3, first 2 shown]
	v_exp_f32_e32 v0, v4
	v_exp_f32_e32 v1, v9
	v_lshlrev_b32_e32 v6, 16, v2
	v_and_b32_e32 v2, 0xffff0000, v2
	v_lshlrev_b32_e32 v7, 16, v3
	v_and_b32_e32 v3, 0xffff0000, v3
	v_mul_f32_e32 v5, 0xbfb8aa3b, v5
	v_mul_f32_e32 v11, 0xbfb8aa3b, v2
	v_mul_f32_e32 v12, 0xbfb8aa3b, v3
	v_exp_f32_e32 v2, v5
	v_exp_f32_e32 v3, v10
	v_pk_add_f32 v[0:1], v[0:1], 1.0 op_sel_hi:[1,0]
	v_div_scale_f32 v9, s[0:1], v1, v1, 1.0
	v_rcp_f32_e32 v19, v9
	v_exp_f32_e32 v5, v11
	v_div_scale_f32 v11, s[0:1], v0, v0, 1.0
	v_pk_add_f32 v[2:3], v[2:3], 1.0 op_sel_hi:[1,0]
	v_rcp_f32_e32 v20, v11
	v_div_scale_f32 v13, s[2:3], v3, v3, 1.0
	v_rcp_f32_e32 v23, v13
	v_fma_f32 v26, -v9, v19, 1.0
	v_div_scale_f32 v10, vcc, 1.0, v1, 1.0
	v_div_scale_f32 v15, s[6:7], v2, v2, 1.0
	v_fmac_f32_e32 v19, v26, v19
	v_mul_f32_e32 v6, 0xbfb8aa3b, v6
	v_mul_f32_e32 v7, 0xbfb8aa3b, v7
	v_rcp_f32_e32 v24, v15
	v_fma_f32 v27, -v11, v20, 1.0
	v_mul_f32_e32 v26, v10, v19
	v_exp_f32_e32 v4, v6
	v_exp_f32_e32 v6, v7
	;; [unrolled: 1-line block ×3, first 2 shown]
	v_div_scale_f32 v12, s[0:1], 1.0, v0, 1.0
	v_fmac_f32_e32 v20, v27, v20
	v_fma_f32 v30, -v9, v26, v10
	v_fma_f32 v28, -v13, v23, 1.0
	v_mul_f32_e32 v27, v12, v20
	v_fmac_f32_e32 v26, v30, v19
	v_div_scale_f32 v14, s[2:3], 1.0, v3, 1.0
	v_fmac_f32_e32 v23, v28, v23
	v_fma_f32 v31, -v11, v27, v12
	v_fma_f32 v9, -v9, v26, v10
	v_fma_f32 v29, -v15, v24, 1.0
	v_mul_f32_e32 v28, v14, v23
	v_fmac_f32_e32 v27, v31, v20
	v_div_fmas_f32 v9, v9, v19, v26
	v_div_scale_f32 v16, s[6:7], 1.0, v2, 1.0
	v_fmac_f32_e32 v24, v29, v24
	v_fma_f32 v32, -v13, v28, v14
	v_fma_f32 v10, -v11, v27, v12
	v_div_fixup_f32 v1, v9, v1, 1.0
	s_mov_b64 vcc, s[0:1]
	v_pk_add_f32 v[4:5], v[4:5], 1.0 op_sel_hi:[1,0]
	v_mul_f32_e32 v29, v16, v24
	v_fmac_f32_e32 v28, v32, v23
	v_div_fmas_f32 v9, v10, v20, v27
	v_cmp_class_f32_e32 vcc, v1, v8
	v_div_scale_f32 v18, s[12:13], v5, v5, 1.0
	v_fma_f32 v33, -v15, v29, v16
	v_fma_f32 v11, -v13, v28, v14
	v_div_fixup_f32 v0, v9, v0, 1.0
	v_cndmask_b32_e64 v1, v1, 0, vcc
	s_mov_b64 vcc, s[2:3]
	v_rcp_f32_e32 v25, v18
	v_fmac_f32_e32 v29, v33, v24
	v_div_fmas_f32 v9, v11, v23, v28
	v_cmp_class_f32_e32 vcc, v0, v8
	v_fma_f32 v12, -v15, v29, v16
	v_cndmask_b32_e64 v0, v0, 0, vcc
	s_mov_b64 vcc, s[6:7]
	v_div_fixup_f32 v3, v9, v3, 1.0
	v_div_fmas_f32 v9, v12, v24, v29
	v_div_fixup_f32 v2, v9, v2, 1.0
	v_cmp_class_f32_e32 vcc, v3, v8
	v_cndmask_b32_e64 v3, v3, 0, vcc
	v_cmp_class_f32_e32 vcc, v2, v8
	v_fma_f32 v9, -v18, v25, 1.0
	v_cndmask_b32_e64 v2, v2, 0, vcc
	v_fmac_f32_e32 v25, v9, v25
	v_div_scale_f32 v9, vcc, 1.0, v5, 1.0
	v_mul_f32_e32 v10, v9, v25
	v_fma_f32 v11, -v18, v10, v9
	v_fmac_f32_e32 v10, v11, v25
	v_div_scale_f32 v11, s[0:1], v4, v4, 1.0
	v_rcp_f32_e32 v12, v11
	v_fma_f32 v9, -v18, v10, v9
	v_div_fmas_f32 v9, v9, v25, v10
	v_div_fixup_f32 v5, v9, v5, 1.0
	v_fma_f32 v9, -v11, v12, 1.0
	v_fmac_f32_e32 v12, v9, v12
	v_div_scale_f32 v9, vcc, 1.0, v4, 1.0
	v_mul_f32_e32 v10, v9, v12
	v_fma_f32 v13, -v11, v10, v9
	v_fmac_f32_e32 v10, v13, v12
	v_fma_f32 v9, -v11, v10, v9
	v_div_fmas_f32 v9, v9, v12, v10
	v_pk_add_f32 v[6:7], v[6:7], 1.0 op_sel_hi:[1,0]
	v_div_fixup_f32 v4, v9, v4, 1.0
	v_div_scale_f32 v9, s[0:1], v7, v7, 1.0
	v_rcp_f32_e32 v10, v9
	v_cmp_class_f32_e32 vcc, v5, v8
	v_cndmask_b32_e64 v5, v5, 0, vcc
	v_cmp_class_f32_e32 vcc, v4, v8
	v_fma_f32 v11, -v9, v10, 1.0
	v_cndmask_b32_e64 v4, v4, 0, vcc
	v_fmac_f32_e32 v10, v11, v10
	v_div_scale_f32 v11, vcc, 1.0, v7, 1.0
	v_mul_f32_e32 v12, v11, v10
	v_fma_f32 v13, -v9, v12, v11
	v_fmac_f32_e32 v12, v13, v10
	v_fma_f32 v9, -v9, v12, v11
	v_div_scale_f32 v11, s[0:1], v6, v6, 1.0
	v_rcp_f32_e32 v13, v11
	v_div_fmas_f32 v9, v9, v10, v12
	v_div_fixup_f32 v7, v9, v7, 1.0
	v_fma_f32 v9, -v11, v13, 1.0
	v_fmac_f32_e32 v13, v9, v13
	v_div_scale_f32 v9, vcc, 1.0, v6, 1.0
	v_mul_f32_e32 v10, v9, v13
	v_fma_f32 v12, -v11, v10, v9
	v_fmac_f32_e32 v10, v12, v13
	v_fma_f32 v9, -v11, v10, v9
	v_div_fmas_f32 v9, v9, v13, v10
	v_div_fixup_f32 v6, v9, v6, 1.0
	v_cmp_class_f32_e32 vcc, v7, v8
	v_cndmask_b32_e64 v7, v7, 0, vcc
	v_cmp_class_f32_e32 vcc, v6, v8
	v_cndmask_b32_e64 v6, v6, 0, vcc
	s_cbranch_scc1 .LBB368_31
; %bb.4:
	v_lshlrev_b32_e32 v16, 2, v22
	global_load_dwordx4 v[8:11], v16, s[10:11]
	global_load_dwordx4 v[12:15], v16, s[10:11] offset:16
	s_waitcnt vmcnt(1)
	v_pk_add_f32 v[8:9], v[8:9], v[0:1]
	v_pk_add_f32 v[10:11], v[10:11], v[2:3]
	s_waitcnt vmcnt(0)
	v_pk_add_f32 v[12:13], v[12:13], v[4:5]
	v_pk_add_f32 v[14:15], v[14:15], v[6:7]
	s_cbranch_execnz .LBB368_6
.LBB368_5:
	v_pk_mov_b32 v[14:15], v[6:7], v[6:7] op_sel:[0,1]
	v_pk_mov_b32 v[12:13], v[4:5], v[4:5] op_sel:[0,1]
	;; [unrolled: 1-line block ×4, first 2 shown]
.LBB368_6:
	s_load_dwordx4 s[8:11], s[4:5], 0x30
	s_mov_b32 s25, 0
	v_cmp_eq_u32_e64 s[0:1], 0, v21
	s_waitcnt lgkmcnt(0)
	s_bitcmp1_b32 s11, 0
	s_cselect_b64 vcc, -1, 0
	s_cmp_gt_i32 s8, 0
	s_cselect_b64 s[20:21], -1, 0
	s_cmp_lt_i32 s8, 1
	s_cbranch_scc1 .LBB368_32
; %bb.7:
	v_mbcnt_lo_u32_b32 v16, -1, 0
	v_mbcnt_hi_u32_b32 v16, -1, v16
	v_and_b32_e32 v18, 0x60, v16
	v_add_u32_e32 v18, 32, v18
	v_xor_b32_e32 v19, 16, v16
	v_cmp_lt_i32_e64 s[2:3], v19, v18
	v_cndmask_b32_e64 v19, v16, v19, s[2:3]
	v_lshlrev_b32_e32 v25, 2, v19
	v_xor_b32_e32 v19, 8, v16
	v_cmp_lt_i32_e64 s[2:3], v19, v18
	v_cndmask_b32_e64 v19, v16, v19, s[2:3]
	v_lshlrev_b32_e32 v26, 2, v19
	;; [unrolled: 4-line block ×3, first 2 shown]
	v_xor_b32_e32 v19, 2, v16
	v_cmp_lt_i32_e64 s[2:3], v19, v18
	s_load_dwordx4 s[12:15], s[4:5], 0x20
	v_cndmask_b32_e64 v19, v16, v19, s[2:3]
	v_lshlrev_b32_e32 v28, 2, v19
	v_xor_b32_e32 v19, 1, v16
	v_cmp_lt_i32_e64 s[2:3], v19, v18
	v_cndmask_b32_e64 v16, v16, v19, s[2:3]
	v_mul_lo_u32 v24, v17, s8
	v_lshlrev_b32_e32 v29, 2, v16
	v_mov_b32_e32 v23, 0
	v_mov_b32_e32 v30, 0x100
	;; [unrolled: 1-line block ×4, first 2 shown]
	s_branch .LBB368_10
.LBB368_8:                              ;   in Loop: Header=BB368_10 Depth=1
	s_or_b64 exec, exec, s[4:5]
.LBB368_9:                              ;   in Loop: Header=BB368_10 Depth=1
	s_cmp_eq_u32 s8, s25
	v_add_u32_e32 v32, s24, v32
	s_cbranch_scc1 .LBB368_33
.LBB368_10:                             ; =>This Inner Loop Header: Depth=1
	v_cmp_gt_f32_e64 s[2:3], v9, v8
	s_waitcnt lgkmcnt(0)
	v_cndmask_b32_e64 v19, v8, v9, s[2:3]
	v_cndmask_b32_e64 v16, 0, 1, s[2:3]
	v_cndmask_b32_e64 v18, v0, v1, s[2:3]
	v_cmp_gt_f32_e64 s[2:3], v10, v19
	v_cndmask_b32_e64 v19, v19, v10, s[2:3]
	v_cndmask_b32_e64 v16, v16, 2, s[2:3]
	v_cndmask_b32_e64 v18, v18, v2, s[2:3]
	v_cmp_gt_f32_e64 s[2:3], v11, v19
	;; [unrolled: 4-line block ×6, first 2 shown]
	v_cndmask_b32_e64 v16, v16, 7, s[2:3]
	v_cndmask_b32_e64 v33, v19, v15, s[2:3]
	v_or_b32_e32 v34, v22, v16
	v_cndmask_b32_e64 v16, v18, v7, s[2:3]
	ds_bpermute_b32 v36, v25, v33
	ds_bpermute_b32 v20, v25, v16
	;; [unrolled: 1-line block ×3, first 2 shown]
                                        ; implicit-def: $vgpr18_vgpr19
	s_waitcnt lgkmcnt(0)
	v_cmp_lt_f32_e64 s[6:7], v33, v36
	v_cmp_nlt_f32_e64 s[2:3], v33, v36
	s_and_saveexec_b64 s[22:23], s[2:3]
; %bb.11:                               ;   in Loop: Header=BB368_10 Depth=1
	v_cmp_eq_f32_e64 s[2:3], v33, v36
	v_cmp_lt_i32_e64 s[4:5], v35, v34
	s_and_b64 s[2:3], s[2:3], s[4:5]
	s_andn2_b64 s[4:5], s[6:7], exec
	s_and_b64 s[2:3], s[2:3], exec
	s_or_b64 s[6:7], s[4:5], s[2:3]
	v_pk_mov_b32 v[18:19], v[16:17], v[16:17] op_sel:[0,1]
; %bb.12:                               ;   in Loop: Header=BB368_10 Depth=1
	s_or_b64 exec, exec, s[22:23]
	s_and_saveexec_b64 s[2:3], s[6:7]
; %bb.13:                               ;   in Loop: Header=BB368_10 Depth=1
	v_mov_b32_e32 v33, v36
	v_mov_b32_e32 v16, v20
	;; [unrolled: 1-line block ×3, first 2 shown]
	v_pk_mov_b32 v[18:19], v[20:21], v[20:21] op_sel:[0,1]
; %bb.14:                               ;   in Loop: Header=BB368_10 Depth=1
	s_or_b64 exec, exec, s[2:3]
	ds_bpermute_b32 v35, v26, v33
	ds_bpermute_b32 v20, v26, v16
	;; [unrolled: 1-line block ×3, first 2 shown]
	s_waitcnt lgkmcnt(2)
	v_cmp_lt_f32_e64 s[6:7], v33, v35
	v_cmp_nlt_f32_e64 s[2:3], v33, v35
	s_and_saveexec_b64 s[22:23], s[2:3]
	s_cbranch_execz .LBB368_16
; %bb.15:                               ;   in Loop: Header=BB368_10 Depth=1
	v_cmp_eq_f32_e64 s[2:3], v33, v35
	s_waitcnt lgkmcnt(0)
	v_cmp_lt_i32_e64 s[4:5], v19, v34
	s_and_b64 s[2:3], s[2:3], s[4:5]
	s_andn2_b64 s[4:5], s[6:7], exec
	s_and_b64 s[2:3], s[2:3], exec
	s_or_b64 s[6:7], s[4:5], s[2:3]
.LBB368_16:                             ;   in Loop: Header=BB368_10 Depth=1
	s_or_b64 exec, exec, s[22:23]
	s_and_saveexec_b64 s[2:3], s[6:7]
	s_cbranch_execz .LBB368_18
; %bb.17:                               ;   in Loop: Header=BB368_10 Depth=1
	v_mov_b32_e32 v33, v35
	s_waitcnt lgkmcnt(1)
	v_mov_b32_e32 v16, v20
	s_waitcnt lgkmcnt(0)
	v_mov_b32_e32 v34, v19
	v_pk_mov_b32 v[18:19], v[20:21], v[20:21] op_sel:[0,1]
.LBB368_18:                             ;   in Loop: Header=BB368_10 Depth=1
	s_or_b64 exec, exec, s[2:3]
	ds_bpermute_b32 v35, v27, v33
	s_waitcnt lgkmcnt(2)
	ds_bpermute_b32 v20, v27, v16
	s_waitcnt lgkmcnt(2)
	;; [unrolled: 2-line block ×3, first 2 shown]
	v_cmp_lt_f32_e64 s[6:7], v33, v35
	v_cmp_nlt_f32_e64 s[2:3], v33, v35
	s_and_saveexec_b64 s[22:23], s[2:3]
	s_cbranch_execz .LBB368_20
; %bb.19:                               ;   in Loop: Header=BB368_10 Depth=1
	v_cmp_eq_f32_e64 s[2:3], v33, v35
	s_waitcnt lgkmcnt(0)
	v_cmp_lt_i32_e64 s[4:5], v19, v34
	s_and_b64 s[2:3], s[2:3], s[4:5]
	s_andn2_b64 s[4:5], s[6:7], exec
	s_and_b64 s[2:3], s[2:3], exec
	s_or_b64 s[6:7], s[4:5], s[2:3]
.LBB368_20:                             ;   in Loop: Header=BB368_10 Depth=1
	s_or_b64 exec, exec, s[22:23]
	s_and_saveexec_b64 s[2:3], s[6:7]
	s_cbranch_execz .LBB368_22
; %bb.21:                               ;   in Loop: Header=BB368_10 Depth=1
	v_mov_b32_e32 v33, v35
	s_waitcnt lgkmcnt(1)
	v_mov_b32_e32 v16, v20
	s_waitcnt lgkmcnt(0)
	v_mov_b32_e32 v34, v19
	v_pk_mov_b32 v[18:19], v[20:21], v[20:21] op_sel:[0,1]
.LBB368_22:                             ;   in Loop: Header=BB368_10 Depth=1
	s_or_b64 exec, exec, s[2:3]
	ds_bpermute_b32 v35, v28, v33
	s_waitcnt lgkmcnt(2)
	ds_bpermute_b32 v20, v28, v16
	s_waitcnt lgkmcnt(2)
	;; [unrolled: 2-line block ×3, first 2 shown]
	v_cmp_lt_f32_e64 s[6:7], v33, v35
	v_cmp_nlt_f32_e64 s[2:3], v33, v35
	s_and_saveexec_b64 s[22:23], s[2:3]
	s_cbranch_execz .LBB368_24
; %bb.23:                               ;   in Loop: Header=BB368_10 Depth=1
	v_cmp_eq_f32_e64 s[2:3], v33, v35
	s_waitcnt lgkmcnt(0)
	v_cmp_lt_i32_e64 s[4:5], v19, v34
	s_and_b64 s[2:3], s[2:3], s[4:5]
	s_andn2_b64 s[4:5], s[6:7], exec
	s_and_b64 s[2:3], s[2:3], exec
	s_or_b64 s[6:7], s[4:5], s[2:3]
.LBB368_24:                             ;   in Loop: Header=BB368_10 Depth=1
	s_or_b64 exec, exec, s[22:23]
	s_and_saveexec_b64 s[2:3], s[6:7]
	s_cbranch_execz .LBB368_26
; %bb.25:                               ;   in Loop: Header=BB368_10 Depth=1
	v_mov_b32_e32 v33, v35
	s_waitcnt lgkmcnt(1)
	v_mov_b32_e32 v16, v20
	s_waitcnt lgkmcnt(0)
	v_mov_b32_e32 v34, v19
	v_pk_mov_b32 v[18:19], v[20:21], v[20:21] op_sel:[0,1]
.LBB368_26:                             ;   in Loop: Header=BB368_10 Depth=1
	s_or_b64 exec, exec, s[2:3]
	s_waitcnt lgkmcnt(1)
	ds_bpermute_b32 v20, v29, v33
	ds_bpermute_b32 v35, v29, v34
	s_waitcnt lgkmcnt(2)
	ds_bpermute_b32 v19, v29, v16
	s_waitcnt lgkmcnt(2)
	v_cmp_eq_f32_e64 s[4:5], v33, v20
	s_waitcnt lgkmcnt(1)
	v_cmp_lt_i32_e64 s[6:7], v35, v34
	v_cmp_lt_f32_e64 s[2:3], v33, v20
	s_and_b64 s[4:5], s[4:5], s[6:7]
	s_or_b64 s[2:3], s[2:3], s[4:5]
	v_cndmask_b32_e64 v16, v34, v35, s[2:3]
	s_and_saveexec_b64 s[6:7], s[0:1]
	s_cbranch_execnz .LBB368_28
; %bb.27:                               ;   in Loop: Header=BB368_10 Depth=1
	s_or_b64 exec, exec, s[6:7]
	s_add_i32 s25, s25, 1
	s_cmp_ge_i32 s25, s8
	s_cbranch_scc1 .LBB368_9
	s_branch .LBB368_29
.LBB368_28:                             ;   in Loop: Header=BB368_10 Depth=1
	s_waitcnt lgkmcnt(0)
	v_cndmask_b32_e64 v20, v18, v19, s[2:3]
	v_add_u32_e32 v18, s25, v24
	v_ashrrev_i32_e32 v19, 31, v18
	v_cmp_le_i32_e64 s[2:3], s9, v16
	v_cmp_gt_i32_e64 s[4:5], s10, v16
	v_lshlrev_b64 v[34:35], 2, v[18:19]
	s_and_b64 s[4:5], s[2:3], s[4:5]
	v_mov_b32_e32 v33, s17
	v_add_co_u32_e64 v36, s[2:3], s16, v34
	v_addc_co_u32_e64 v37, s[2:3], v33, v35, s[2:3]
	v_subrev_u32_e32 v33, s9, v16
	global_store_dword v[36:37], v20, off
	v_ashrrev_i32_e32 v36, 31, v33
	s_and_b64 s[2:3], s[18:19], s[4:5]
	v_lshlrev_b64 v[18:19], 3, v[18:19]
	v_cndmask_b32_e64 v37, 0, v36, s[2:3]
	v_cndmask_b32_e64 v36, v30, v33, s[2:3]
	v_mov_b32_e32 v33, s13
	v_add_co_u32_e64 v18, s[2:3], s12, v18
	v_addc_co_u32_e64 v19, s[2:3], v33, v19, s[2:3]
	global_store_dwordx2 v[18:19], v[36:37], off
	v_mov_b32_e32 v19, s15
	v_add_co_u32_e64 v18, s[2:3], s14, v34
	v_addc_co_u32_e64 v19, s[2:3], v19, v35, s[2:3]
	global_store_dword v[18:19], v32, off
	v_add_f32_e32 v18, v23, v20
	v_cndmask_b32_e32 v23, v23, v18, vcc
	s_or_b64 exec, exec, s[6:7]
	s_add_i32 s25, s25, 1
	s_cmp_ge_i32 s25, s8
	s_cbranch_scc1 .LBB368_9
.LBB368_29:                             ;   in Loop: Header=BB368_10 Depth=1
	v_ashrrev_i32_e32 v18, 31, v16
	s_waitcnt lgkmcnt(0)
	v_lshrrev_b32_e32 v19, 29, v18
	v_add_u32_e32 v20, v16, v19
	v_ashrrev_i32_e32 v19, 3, v20
	v_ashrrev_i32_e32 v20, 31, v20
	v_lshrrev_b32_e32 v20, 27, v20
	v_add_u32_e32 v20, v19, v20
	v_and_b32_e32 v20, 0xffffffe0, v20
	v_sub_u32_e32 v20, v19, v20
	v_cmp_eq_u32_e64 s[2:3], v21, v20
	s_and_saveexec_b64 s[4:5], s[2:3]
	s_cbranch_execz .LBB368_8
; %bb.30:                               ;   in Loop: Header=BB368_10 Depth=1
	v_add_u32_sdwa v18, v16, v18 dst_sel:DWORD dst_unused:UNUSED_PAD src0_sel:DWORD src1_sel:BYTE_3
	v_lshlrev_b32_e32 v19, 3, v19
	v_ashrrev_i32_e32 v18, 8, v18
	v_sub_u32_e32 v16, v16, v19
	v_lshl_add_u32 v16, v18, 3, v16
	v_cmp_ne_u32_e64 s[2:3], 7, v16
	v_cndmask_b32_e64 v15, v31, v15, s[2:3]
	v_cmp_ne_u32_e64 s[2:3], 6, v16
	v_cndmask_b32_e64 v14, v31, v14, s[2:3]
	;; [unrolled: 2-line block ×8, first 2 shown]
	s_branch .LBB368_8
.LBB368_31:
                                        ; implicit-def: $vgpr8_vgpr9_vgpr10_vgpr11_vgpr12_vgpr13_vgpr14_vgpr15
	s_andn2_b64 vcc, exec, s[8:9]
	s_cbranch_vccz .LBB368_5
	s_branch .LBB368_6
.LBB368_32:
	v_mov_b32_e32 v23, 0
.LBB368_33:
	v_cmp_eq_u32_e64 s[0:1], 0, v21
	s_and_b64 s[0:1], s[0:1], vcc
	s_and_b64 exec, exec, s[0:1]
	s_cbranch_execz .LBB368_42
; %bb.34:
	s_andn2_b64 vcc, exec, s[20:21]
	s_cbranch_vccnz .LBB368_42
; %bb.35:
	v_cmp_lt_f32_e32 vcc, 0, v23
	s_mov_b32 s2, 0
	v_cndmask_b32_e32 v0, 1.0, v23, vcc
	v_mul_lo_u32 v4, v17, s8
	s_cmp_eq_u32 s8, 1
	s_mov_b64 s[0:1], -1
	s_cbranch_scc1 .LBB368_39
; %bb.36:
	s_and_b32 s2, s8, 0x7ffffffe
	v_mov_b32_e32 v1, v0
	v_mov_b32_e32 v5, s17
	s_mov_b32 s3, s2
	v_mov_b32_e32 v2, v4
.LBB368_37:                             ; =>This Inner Loop Header: Depth=1
	v_ashrrev_i32_e32 v3, 31, v2
	v_lshlrev_b64 v[6:7], 2, v[2:3]
	v_add_co_u32_e32 v6, vcc, s16, v6
	v_addc_co_u32_e32 v7, vcc, v5, v7, vcc
	global_load_dwordx2 v[8:9], v[6:7], off
	s_add_i32 s3, s3, -2
	s_cmp_lg_u32 s3, 0
	v_add_u32_e32 v2, 2, v2
	s_waitcnt vmcnt(0)
	v_div_scale_f32 v3, s[0:1], v1, v1, v9
	v_div_scale_f32 v11, s[0:1], v0, v0, v8
	v_rcp_f32_e32 v12, v3
	v_rcp_f32_e32 v13, v11
	v_div_scale_f32 v10, vcc, v9, v1, v9
	v_fma_f32 v15, -v3, v12, 1.0
	v_fma_f32 v16, -v11, v13, 1.0
	v_fmac_f32_e32 v12, v15, v12
	v_div_scale_f32 v14, s[0:1], v8, v0, v8
	v_fmac_f32_e32 v13, v16, v13
	v_mul_f32_e32 v15, v10, v12
	v_mul_f32_e32 v16, v14, v13
	v_fma_f32 v17, -v3, v15, v10
	v_fma_f32 v18, -v11, v16, v14
	v_fmac_f32_e32 v15, v17, v12
	v_fmac_f32_e32 v16, v18, v13
	v_fma_f32 v3, -v3, v15, v10
	v_fma_f32 v10, -v11, v16, v14
	v_div_fmas_f32 v3, v3, v12, v15
	s_mov_b64 vcc, s[0:1]
	v_div_fixup_f32 v9, v3, v1, v9
	v_div_fmas_f32 v3, v10, v13, v16
	v_div_fixup_f32 v8, v3, v0, v8
	global_store_dwordx2 v[6:7], v[8:9], off
	s_cbranch_scc1 .LBB368_37
; %bb.38:
	s_cmp_lg_u32 s2, s8
	s_cselect_b64 s[0:1], -1, 0
.LBB368_39:
	s_and_b64 vcc, exec, s[0:1]
	s_cbranch_vccz .LBB368_42
; %bb.40:
	v_ashrrev_i32_e32 v1, 31, v4
	v_add_co_u32_e32 v2, vcc, s2, v4
	v_addc_co_u32_e32 v3, vcc, 0, v1, vcc
	v_lshlrev_b64 v[2:3], 2, v[2:3]
	v_mov_b32_e32 v1, s17
	v_add_co_u32_e32 v2, vcc, s16, v2
	s_sub_i32 s0, s8, s2
	v_addc_co_u32_e32 v3, vcc, v1, v3, vcc
.LBB368_41:                             ; =>This Inner Loop Header: Depth=1
	global_load_dword v1, v[2:3], off
	s_add_i32 s0, s0, -1
	s_cmp_lg_u32 s0, 0
	s_waitcnt vmcnt(0)
	v_div_scale_f32 v4, s[2:3], v0, v0, v1
	v_rcp_f32_e32 v5, v4
	v_div_scale_f32 v6, vcc, v1, v0, v1
	v_fma_f32 v7, -v4, v5, 1.0
	v_fmac_f32_e32 v5, v7, v5
	v_mul_f32_e32 v7, v6, v5
	v_fma_f32 v8, -v4, v7, v6
	v_fmac_f32_e32 v7, v8, v5
	v_fma_f32 v4, -v4, v7, v6
	v_div_fmas_f32 v4, v4, v5, v7
	v_div_fixup_f32 v1, v4, v0, v1
	global_store_dword v[2:3], v1, off
	v_add_co_u32_e32 v2, vcc, 4, v2
	v_addc_co_u32_e32 v3, vcc, 0, v3, vcc
	s_cbranch_scc1 .LBB368_41
.LBB368_42:
	s_endpgm
	.section	.rodata,"a",@progbits
	.p2align	6, 0x0
	.amdhsa_kernel _ZN4vllm3moe10topkGatingILi8ELi256ELi4ELi16ELi32El14__hip_bfloat16LNS0_11ScoringFuncE1EEEvPKT5_PKbPfiPT4_PiiiibPKf
		.amdhsa_group_segment_fixed_size 0
		.amdhsa_private_segment_fixed_size 0
		.amdhsa_kernarg_size 72
		.amdhsa_user_sgpr_count 6
		.amdhsa_user_sgpr_private_segment_buffer 1
		.amdhsa_user_sgpr_dispatch_ptr 0
		.amdhsa_user_sgpr_queue_ptr 0
		.amdhsa_user_sgpr_kernarg_segment_ptr 1
		.amdhsa_user_sgpr_dispatch_id 0
		.amdhsa_user_sgpr_flat_scratch_init 0
		.amdhsa_user_sgpr_kernarg_preload_length 0
		.amdhsa_user_sgpr_kernarg_preload_offset 0
		.amdhsa_user_sgpr_private_segment_size 0
		.amdhsa_uses_dynamic_stack 0
		.amdhsa_system_sgpr_private_segment_wavefront_offset 0
		.amdhsa_system_sgpr_workgroup_id_x 1
		.amdhsa_system_sgpr_workgroup_id_y 0
		.amdhsa_system_sgpr_workgroup_id_z 0
		.amdhsa_system_sgpr_workgroup_info 0
		.amdhsa_system_vgpr_workitem_id 1
		.amdhsa_next_free_vgpr 38
		.amdhsa_next_free_sgpr 26
		.amdhsa_accum_offset 40
		.amdhsa_reserve_vcc 1
		.amdhsa_reserve_flat_scratch 0
		.amdhsa_float_round_mode_32 0
		.amdhsa_float_round_mode_16_64 0
		.amdhsa_float_denorm_mode_32 3
		.amdhsa_float_denorm_mode_16_64 3
		.amdhsa_dx10_clamp 1
		.amdhsa_ieee_mode 1
		.amdhsa_fp16_overflow 0
		.amdhsa_tg_split 0
		.amdhsa_exception_fp_ieee_invalid_op 0
		.amdhsa_exception_fp_denorm_src 0
		.amdhsa_exception_fp_ieee_div_zero 0
		.amdhsa_exception_fp_ieee_overflow 0
		.amdhsa_exception_fp_ieee_underflow 0
		.amdhsa_exception_fp_ieee_inexact 0
		.amdhsa_exception_int_div_zero 0
	.end_amdhsa_kernel
	.section	.text._ZN4vllm3moe10topkGatingILi8ELi256ELi4ELi16ELi32El14__hip_bfloat16LNS0_11ScoringFuncE1EEEvPKT5_PKbPfiPT4_PiiiibPKf,"axG",@progbits,_ZN4vllm3moe10topkGatingILi8ELi256ELi4ELi16ELi32El14__hip_bfloat16LNS0_11ScoringFuncE1EEEvPKT5_PKbPfiPT4_PiiiibPKf,comdat
.Lfunc_end368:
	.size	_ZN4vllm3moe10topkGatingILi8ELi256ELi4ELi16ELi32El14__hip_bfloat16LNS0_11ScoringFuncE1EEEvPKT5_PKbPfiPT4_PiiiibPKf, .Lfunc_end368-_ZN4vllm3moe10topkGatingILi8ELi256ELi4ELi16ELi32El14__hip_bfloat16LNS0_11ScoringFuncE1EEEvPKT5_PKbPfiPT4_PiiiibPKf
                                        ; -- End function
	.section	.AMDGPU.csdata,"",@progbits
; Kernel info:
; codeLenInByte = 3192
; NumSgprs: 30
; NumVgprs: 38
; NumAgprs: 0
; TotalNumVgprs: 38
; ScratchSize: 0
; MemoryBound: 0
; FloatMode: 240
; IeeeMode: 1
; LDSByteSize: 0 bytes/workgroup (compile time only)
; SGPRBlocks: 3
; VGPRBlocks: 4
; NumSGPRsForWavesPerEU: 30
; NumVGPRsForWavesPerEU: 38
; AccumOffset: 40
; Occupancy: 8
; WaveLimiterHint : 0
; COMPUTE_PGM_RSRC2:SCRATCH_EN: 0
; COMPUTE_PGM_RSRC2:USER_SGPR: 6
; COMPUTE_PGM_RSRC2:TRAP_HANDLER: 0
; COMPUTE_PGM_RSRC2:TGID_X_EN: 1
; COMPUTE_PGM_RSRC2:TGID_Y_EN: 0
; COMPUTE_PGM_RSRC2:TGID_Z_EN: 0
; COMPUTE_PGM_RSRC2:TIDIG_COMP_CNT: 1
; COMPUTE_PGM_RSRC3_GFX90A:ACCUM_OFFSET: 9
; COMPUTE_PGM_RSRC3_GFX90A:TG_SPLIT: 0
	.section	.text._ZN4vllm3moe10topkGatingILi8ELi512ELi4ELi16ELi64El14__hip_bfloat16LNS0_11ScoringFuncE1EEEvPKT5_PKbPfiPT4_PiiiibPKf,"axG",@progbits,_ZN4vllm3moe10topkGatingILi8ELi512ELi4ELi16ELi64El14__hip_bfloat16LNS0_11ScoringFuncE1EEEvPKT5_PKbPfiPT4_PiiiibPKf,comdat
	.protected	_ZN4vllm3moe10topkGatingILi8ELi512ELi4ELi16ELi64El14__hip_bfloat16LNS0_11ScoringFuncE1EEEvPKT5_PKbPfiPT4_PiiiibPKf ; -- Begin function _ZN4vllm3moe10topkGatingILi8ELi512ELi4ELi16ELi64El14__hip_bfloat16LNS0_11ScoringFuncE1EEEvPKT5_PKbPfiPT4_PiiiibPKf
	.globl	_ZN4vllm3moe10topkGatingILi8ELi512ELi4ELi16ELi64El14__hip_bfloat16LNS0_11ScoringFuncE1EEEvPKT5_PKbPfiPT4_PiiiibPKf
	.p2align	8
	.type	_ZN4vllm3moe10topkGatingILi8ELi512ELi4ELi16ELi64El14__hip_bfloat16LNS0_11ScoringFuncE1EEEvPKT5_PKbPfiPT4_PiiiibPKf,@function
_ZN4vllm3moe10topkGatingILi8ELi512ELi4ELi16ELi64El14__hip_bfloat16LNS0_11ScoringFuncE1EEEvPKT5_PKbPfiPT4_PiiiibPKf: ; @_ZN4vllm3moe10topkGatingILi8ELi512ELi4ELi16ELi64El14__hip_bfloat16LNS0_11ScoringFuncE1EEEvPKT5_PKbPfiPT4_PiiiibPKf
; %bb.0:
	s_load_dword s24, s[4:5], 0x18
	v_and_b32_e32 v1, 0x3ff, v0
	s_lshl_b32 s0, s6, 2
	v_lshrrev_b32_e32 v2, 6, v1
	v_bfe_u32 v0, v0, 10, 10
	v_add3_u32 v17, s0, v0, v2
	s_waitcnt lgkmcnt(0)
	v_cmp_gt_i32_e32 vcc, s24, v17
	s_and_saveexec_b64 s[0:1], vcc
	s_cbranch_execz .LBB369_46
; %bb.1:
	s_load_dwordx4 s[0:3], s[4:5], 0x0
	s_load_dwordx2 s[16:17], s[4:5], 0x10
	s_mov_b64 s[8:9], -1
	s_mov_b64 s[18:19], -1
	s_waitcnt lgkmcnt(0)
	s_cmp_eq_u64 s[2:3], 0
	s_cbranch_scc1 .LBB369_3
; %bb.2:
	v_ashrrev_i32_e32 v0, 31, v17
	v_mov_b32_e32 v3, s3
	v_add_co_u32_e32 v2, vcc, s2, v17
	v_addc_co_u32_e32 v3, vcc, v3, v0, vcc
	global_load_ubyte v0, v[2:3], off
	s_waitcnt vmcnt(0)
	v_and_b32_e32 v0, 1, v0
	v_cmp_eq_u32_e32 vcc, 1, v0
	s_xor_b64 s[2:3], vcc, -1
	s_orn2_b64 s[18:19], s[2:3], exec
.LBB369_3:
	v_lshlrev_b32_e32 v2, 9, v17
	v_ashrrev_i32_e32 v3, 31, v2
	v_lshlrev_b64 v[2:3], 1, v[2:3]
	v_mov_b32_e32 v0, s1
	v_add_co_u32_e32 v2, vcc, s0, v2
	v_and_b32_e32 v21, 63, v1
	v_addc_co_u32_e32 v3, vcc, v0, v3, vcc
	v_lshlrev_b32_e32 v0, 4, v21
	v_add_co_u32_e32 v0, vcc, v2, v0
	v_addc_co_u32_e32 v1, vcc, 0, v3, vcc
	global_load_dwordx4 v[0:3], v[0:1], off
	v_mov_b32_e32 v8, 0x207
	s_load_dwordx2 s[10:11], s[4:5], 0x40
	v_lshlrev_b32_e32 v22, 3, v21
	s_waitcnt lgkmcnt(0)
	s_cmp_eq_u64 s[10:11], 0
	s_waitcnt vmcnt(0)
	v_lshlrev_b32_e32 v4, 16, v0
	v_and_b32_e32 v0, 0xffff0000, v0
	v_lshlrev_b32_e32 v5, 16, v1
	v_and_b32_e32 v1, 0xffff0000, v1
	v_mul_f32_e32 v4, 0xbfb8aa3b, v4
	v_mul_f32_e32 v9, 0xbfb8aa3b, v0
	;; [unrolled: 1-line block ×3, first 2 shown]
	v_exp_f32_e32 v0, v4
	v_exp_f32_e32 v1, v9
	v_lshlrev_b32_e32 v6, 16, v2
	v_and_b32_e32 v2, 0xffff0000, v2
	v_lshlrev_b32_e32 v7, 16, v3
	v_and_b32_e32 v3, 0xffff0000, v3
	v_mul_f32_e32 v5, 0xbfb8aa3b, v5
	v_mul_f32_e32 v11, 0xbfb8aa3b, v2
	;; [unrolled: 1-line block ×3, first 2 shown]
	v_exp_f32_e32 v2, v5
	v_exp_f32_e32 v3, v10
	v_pk_add_f32 v[0:1], v[0:1], 1.0 op_sel_hi:[1,0]
	v_div_scale_f32 v9, s[0:1], v1, v1, 1.0
	v_rcp_f32_e32 v19, v9
	v_exp_f32_e32 v5, v11
	v_div_scale_f32 v11, s[0:1], v0, v0, 1.0
	v_pk_add_f32 v[2:3], v[2:3], 1.0 op_sel_hi:[1,0]
	v_rcp_f32_e32 v20, v11
	v_div_scale_f32 v13, s[2:3], v3, v3, 1.0
	v_rcp_f32_e32 v23, v13
	v_fma_f32 v26, -v9, v19, 1.0
	v_div_scale_f32 v10, vcc, 1.0, v1, 1.0
	v_div_scale_f32 v15, s[6:7], v2, v2, 1.0
	v_fmac_f32_e32 v19, v26, v19
	v_mul_f32_e32 v6, 0xbfb8aa3b, v6
	v_mul_f32_e32 v7, 0xbfb8aa3b, v7
	v_rcp_f32_e32 v24, v15
	v_fma_f32 v27, -v11, v20, 1.0
	v_mul_f32_e32 v26, v10, v19
	v_exp_f32_e32 v4, v6
	v_exp_f32_e32 v6, v7
	;; [unrolled: 1-line block ×3, first 2 shown]
	v_div_scale_f32 v12, s[0:1], 1.0, v0, 1.0
	v_fmac_f32_e32 v20, v27, v20
	v_fma_f32 v30, -v9, v26, v10
	v_fma_f32 v28, -v13, v23, 1.0
	v_mul_f32_e32 v27, v12, v20
	v_fmac_f32_e32 v26, v30, v19
	v_div_scale_f32 v14, s[2:3], 1.0, v3, 1.0
	v_fmac_f32_e32 v23, v28, v23
	v_fma_f32 v31, -v11, v27, v12
	v_fma_f32 v9, -v9, v26, v10
	v_fma_f32 v29, -v15, v24, 1.0
	v_mul_f32_e32 v28, v14, v23
	v_fmac_f32_e32 v27, v31, v20
	v_div_fmas_f32 v9, v9, v19, v26
	v_div_scale_f32 v16, s[6:7], 1.0, v2, 1.0
	v_fmac_f32_e32 v24, v29, v24
	v_fma_f32 v32, -v13, v28, v14
	v_fma_f32 v10, -v11, v27, v12
	v_div_fixup_f32 v1, v9, v1, 1.0
	s_mov_b64 vcc, s[0:1]
	v_pk_add_f32 v[4:5], v[4:5], 1.0 op_sel_hi:[1,0]
	v_mul_f32_e32 v29, v16, v24
	v_fmac_f32_e32 v28, v32, v23
	v_div_fmas_f32 v9, v10, v20, v27
	v_cmp_class_f32_e32 vcc, v1, v8
	v_div_scale_f32 v18, s[12:13], v5, v5, 1.0
	v_fma_f32 v33, -v15, v29, v16
	v_fma_f32 v11, -v13, v28, v14
	v_div_fixup_f32 v0, v9, v0, 1.0
	v_cndmask_b32_e64 v1, v1, 0, vcc
	s_mov_b64 vcc, s[2:3]
	v_rcp_f32_e32 v25, v18
	v_fmac_f32_e32 v29, v33, v24
	v_div_fmas_f32 v9, v11, v23, v28
	v_cmp_class_f32_e32 vcc, v0, v8
	v_fma_f32 v12, -v15, v29, v16
	v_cndmask_b32_e64 v0, v0, 0, vcc
	s_mov_b64 vcc, s[6:7]
	v_div_fixup_f32 v3, v9, v3, 1.0
	v_div_fmas_f32 v9, v12, v24, v29
	v_div_fixup_f32 v2, v9, v2, 1.0
	v_cmp_class_f32_e32 vcc, v3, v8
	v_cndmask_b32_e64 v3, v3, 0, vcc
	v_cmp_class_f32_e32 vcc, v2, v8
	v_fma_f32 v9, -v18, v25, 1.0
	v_cndmask_b32_e64 v2, v2, 0, vcc
	v_fmac_f32_e32 v25, v9, v25
	v_div_scale_f32 v9, vcc, 1.0, v5, 1.0
	v_mul_f32_e32 v10, v9, v25
	v_fma_f32 v11, -v18, v10, v9
	v_fmac_f32_e32 v10, v11, v25
	v_div_scale_f32 v11, s[0:1], v4, v4, 1.0
	v_rcp_f32_e32 v12, v11
	v_fma_f32 v9, -v18, v10, v9
	v_div_fmas_f32 v9, v9, v25, v10
	v_div_fixup_f32 v5, v9, v5, 1.0
	v_fma_f32 v9, -v11, v12, 1.0
	v_fmac_f32_e32 v12, v9, v12
	v_div_scale_f32 v9, vcc, 1.0, v4, 1.0
	v_mul_f32_e32 v10, v9, v12
	v_fma_f32 v13, -v11, v10, v9
	v_fmac_f32_e32 v10, v13, v12
	v_fma_f32 v9, -v11, v10, v9
	v_div_fmas_f32 v9, v9, v12, v10
	v_pk_add_f32 v[6:7], v[6:7], 1.0 op_sel_hi:[1,0]
	v_div_fixup_f32 v4, v9, v4, 1.0
	v_div_scale_f32 v9, s[0:1], v7, v7, 1.0
	v_rcp_f32_e32 v10, v9
	v_cmp_class_f32_e32 vcc, v5, v8
	v_cndmask_b32_e64 v5, v5, 0, vcc
	v_cmp_class_f32_e32 vcc, v4, v8
	v_fma_f32 v11, -v9, v10, 1.0
	v_cndmask_b32_e64 v4, v4, 0, vcc
	v_fmac_f32_e32 v10, v11, v10
	v_div_scale_f32 v11, vcc, 1.0, v7, 1.0
	v_mul_f32_e32 v12, v11, v10
	v_fma_f32 v13, -v9, v12, v11
	v_fmac_f32_e32 v12, v13, v10
	v_fma_f32 v9, -v9, v12, v11
	v_div_scale_f32 v11, s[0:1], v6, v6, 1.0
	v_rcp_f32_e32 v13, v11
	v_div_fmas_f32 v9, v9, v10, v12
	v_div_fixup_f32 v7, v9, v7, 1.0
	v_fma_f32 v9, -v11, v13, 1.0
	v_fmac_f32_e32 v13, v9, v13
	v_div_scale_f32 v9, vcc, 1.0, v6, 1.0
	v_mul_f32_e32 v10, v9, v13
	v_fma_f32 v12, -v11, v10, v9
	v_fmac_f32_e32 v10, v12, v13
	v_fma_f32 v9, -v11, v10, v9
	v_div_fmas_f32 v9, v9, v13, v10
	v_div_fixup_f32 v6, v9, v6, 1.0
	v_cmp_class_f32_e32 vcc, v7, v8
	v_cndmask_b32_e64 v7, v7, 0, vcc
	v_cmp_class_f32_e32 vcc, v6, v8
	v_cndmask_b32_e64 v6, v6, 0, vcc
	s_cbranch_scc1 .LBB369_35
; %bb.4:
	v_lshlrev_b32_e32 v16, 2, v22
	global_load_dwordx4 v[8:11], v16, s[10:11]
	global_load_dwordx4 v[12:15], v16, s[10:11] offset:16
	s_waitcnt vmcnt(1)
	v_pk_add_f32 v[8:9], v[8:9], v[0:1]
	v_pk_add_f32 v[10:11], v[10:11], v[2:3]
	s_waitcnt vmcnt(0)
	v_pk_add_f32 v[12:13], v[12:13], v[4:5]
	v_pk_add_f32 v[14:15], v[14:15], v[6:7]
	s_cbranch_execnz .LBB369_6
.LBB369_5:
	v_pk_mov_b32 v[14:15], v[6:7], v[6:7] op_sel:[0,1]
	v_pk_mov_b32 v[12:13], v[4:5], v[4:5] op_sel:[0,1]
	;; [unrolled: 1-line block ×4, first 2 shown]
.LBB369_6:
	s_load_dwordx4 s[8:11], s[4:5], 0x30
	s_mov_b32 s25, 0
	v_cmp_eq_u32_e64 s[0:1], 0, v21
	s_waitcnt lgkmcnt(0)
	s_bitcmp1_b32 s11, 0
	s_cselect_b64 vcc, -1, 0
	s_cmp_gt_i32 s8, 0
	s_cselect_b64 s[20:21], -1, 0
	s_cmp_lt_i32 s8, 1
	s_cbranch_scc1 .LBB369_36
; %bb.7:
	v_mbcnt_lo_u32_b32 v16, -1, 0
	v_mbcnt_hi_u32_b32 v16, -1, v16
	v_and_b32_e32 v18, 64, v16
	v_add_u32_e32 v18, 64, v18
	v_xor_b32_e32 v19, 32, v16
	v_cmp_lt_i32_e64 s[2:3], v19, v18
	v_cndmask_b32_e64 v19, v16, v19, s[2:3]
	v_lshlrev_b32_e32 v25, 2, v19
	v_xor_b32_e32 v19, 16, v16
	v_cmp_lt_i32_e64 s[2:3], v19, v18
	v_cndmask_b32_e64 v19, v16, v19, s[2:3]
	v_lshlrev_b32_e32 v26, 2, v19
	;; [unrolled: 4-line block ×4, first 2 shown]
	v_xor_b32_e32 v19, 2, v16
	v_cmp_lt_i32_e64 s[2:3], v19, v18
	s_load_dwordx4 s[12:15], s[4:5], 0x20
	v_cndmask_b32_e64 v19, v16, v19, s[2:3]
	v_lshlrev_b32_e32 v29, 2, v19
	v_xor_b32_e32 v19, 1, v16
	v_cmp_lt_i32_e64 s[2:3], v19, v18
	v_cndmask_b32_e64 v16, v16, v19, s[2:3]
	v_mul_lo_u32 v24, v17, s8
	v_lshlrev_b32_e32 v30, 2, v16
	v_mov_b32_e32 v23, 0
	v_mov_b32_e32 v31, 0x200
	v_mov_b32_e32 v32, 0xc61c4000
	v_mov_b32_e32 v33, v17
	s_branch .LBB369_10
.LBB369_8:                              ;   in Loop: Header=BB369_10 Depth=1
	s_or_b64 exec, exec, s[4:5]
.LBB369_9:                              ;   in Loop: Header=BB369_10 Depth=1
	s_cmp_eq_u32 s8, s25
	v_add_u32_e32 v33, s24, v33
	s_cbranch_scc1 .LBB369_37
.LBB369_10:                             ; =>This Inner Loop Header: Depth=1
	v_cmp_gt_f32_e64 s[2:3], v9, v8
	s_waitcnt lgkmcnt(0)
	v_cndmask_b32_e64 v19, v8, v9, s[2:3]
	v_cndmask_b32_e64 v16, 0, 1, s[2:3]
	v_cndmask_b32_e64 v18, v0, v1, s[2:3]
	v_cmp_gt_f32_e64 s[2:3], v10, v19
	v_cndmask_b32_e64 v19, v19, v10, s[2:3]
	v_cndmask_b32_e64 v16, v16, 2, s[2:3]
	v_cndmask_b32_e64 v18, v18, v2, s[2:3]
	v_cmp_gt_f32_e64 s[2:3], v11, v19
	;; [unrolled: 4-line block ×6, first 2 shown]
	v_cndmask_b32_e64 v16, v16, 7, s[2:3]
	v_cndmask_b32_e64 v34, v19, v15, s[2:3]
	v_or_b32_e32 v35, v22, v16
	v_cndmask_b32_e64 v16, v18, v7, s[2:3]
	ds_bpermute_b32 v37, v25, v34
	ds_bpermute_b32 v20, v25, v16
	;; [unrolled: 1-line block ×3, first 2 shown]
                                        ; implicit-def: $vgpr18_vgpr19
	s_waitcnt lgkmcnt(0)
	v_cmp_lt_f32_e64 s[6:7], v34, v37
	v_cmp_nlt_f32_e64 s[2:3], v34, v37
	s_and_saveexec_b64 s[22:23], s[2:3]
; %bb.11:                               ;   in Loop: Header=BB369_10 Depth=1
	v_cmp_eq_f32_e64 s[2:3], v34, v37
	v_cmp_lt_i32_e64 s[4:5], v36, v35
	s_and_b64 s[2:3], s[2:3], s[4:5]
	s_andn2_b64 s[4:5], s[6:7], exec
	s_and_b64 s[2:3], s[2:3], exec
	s_or_b64 s[6:7], s[4:5], s[2:3]
	v_pk_mov_b32 v[18:19], v[16:17], v[16:17] op_sel:[0,1]
; %bb.12:                               ;   in Loop: Header=BB369_10 Depth=1
	s_or_b64 exec, exec, s[22:23]
	s_and_saveexec_b64 s[2:3], s[6:7]
; %bb.13:                               ;   in Loop: Header=BB369_10 Depth=1
	v_mov_b32_e32 v34, v37
	v_mov_b32_e32 v16, v20
	;; [unrolled: 1-line block ×3, first 2 shown]
	v_pk_mov_b32 v[18:19], v[20:21], v[20:21] op_sel:[0,1]
; %bb.14:                               ;   in Loop: Header=BB369_10 Depth=1
	s_or_b64 exec, exec, s[2:3]
	ds_bpermute_b32 v36, v26, v34
	ds_bpermute_b32 v20, v26, v16
	;; [unrolled: 1-line block ×3, first 2 shown]
	s_waitcnt lgkmcnt(2)
	v_cmp_lt_f32_e64 s[6:7], v34, v36
	v_cmp_nlt_f32_e64 s[2:3], v34, v36
	s_and_saveexec_b64 s[22:23], s[2:3]
	s_cbranch_execz .LBB369_16
; %bb.15:                               ;   in Loop: Header=BB369_10 Depth=1
	v_cmp_eq_f32_e64 s[2:3], v34, v36
	s_waitcnt lgkmcnt(0)
	v_cmp_lt_i32_e64 s[4:5], v19, v35
	s_and_b64 s[2:3], s[2:3], s[4:5]
	s_andn2_b64 s[4:5], s[6:7], exec
	s_and_b64 s[2:3], s[2:3], exec
	s_or_b64 s[6:7], s[4:5], s[2:3]
.LBB369_16:                             ;   in Loop: Header=BB369_10 Depth=1
	s_or_b64 exec, exec, s[22:23]
	s_and_saveexec_b64 s[2:3], s[6:7]
	s_cbranch_execz .LBB369_18
; %bb.17:                               ;   in Loop: Header=BB369_10 Depth=1
	v_mov_b32_e32 v34, v36
	s_waitcnt lgkmcnt(1)
	v_mov_b32_e32 v16, v20
	s_waitcnt lgkmcnt(0)
	v_mov_b32_e32 v35, v19
	v_pk_mov_b32 v[18:19], v[20:21], v[20:21] op_sel:[0,1]
.LBB369_18:                             ;   in Loop: Header=BB369_10 Depth=1
	s_or_b64 exec, exec, s[2:3]
	ds_bpermute_b32 v36, v27, v34
	s_waitcnt lgkmcnt(2)
	ds_bpermute_b32 v20, v27, v16
	s_waitcnt lgkmcnt(2)
	ds_bpermute_b32 v19, v27, v35
	s_waitcnt lgkmcnt(2)
	v_cmp_lt_f32_e64 s[6:7], v34, v36
	v_cmp_nlt_f32_e64 s[2:3], v34, v36
	s_and_saveexec_b64 s[22:23], s[2:3]
	s_cbranch_execz .LBB369_20
; %bb.19:                               ;   in Loop: Header=BB369_10 Depth=1
	v_cmp_eq_f32_e64 s[2:3], v34, v36
	s_waitcnt lgkmcnt(0)
	v_cmp_lt_i32_e64 s[4:5], v19, v35
	s_and_b64 s[2:3], s[2:3], s[4:5]
	s_andn2_b64 s[4:5], s[6:7], exec
	s_and_b64 s[2:3], s[2:3], exec
	s_or_b64 s[6:7], s[4:5], s[2:3]
.LBB369_20:                             ;   in Loop: Header=BB369_10 Depth=1
	s_or_b64 exec, exec, s[22:23]
	s_and_saveexec_b64 s[2:3], s[6:7]
	s_cbranch_execz .LBB369_22
; %bb.21:                               ;   in Loop: Header=BB369_10 Depth=1
	v_mov_b32_e32 v34, v36
	s_waitcnt lgkmcnt(1)
	v_mov_b32_e32 v16, v20
	s_waitcnt lgkmcnt(0)
	v_mov_b32_e32 v35, v19
	v_pk_mov_b32 v[18:19], v[20:21], v[20:21] op_sel:[0,1]
.LBB369_22:                             ;   in Loop: Header=BB369_10 Depth=1
	s_or_b64 exec, exec, s[2:3]
	ds_bpermute_b32 v36, v28, v34
	s_waitcnt lgkmcnt(2)
	ds_bpermute_b32 v20, v28, v16
	s_waitcnt lgkmcnt(2)
	ds_bpermute_b32 v19, v28, v35
	;; [unrolled: 31-line block ×3, first 2 shown]
	s_waitcnt lgkmcnt(2)
	v_cmp_lt_f32_e64 s[6:7], v34, v36
	v_cmp_nlt_f32_e64 s[2:3], v34, v36
	s_and_saveexec_b64 s[22:23], s[2:3]
	s_cbranch_execz .LBB369_28
; %bb.27:                               ;   in Loop: Header=BB369_10 Depth=1
	v_cmp_eq_f32_e64 s[2:3], v34, v36
	s_waitcnt lgkmcnt(0)
	v_cmp_lt_i32_e64 s[4:5], v19, v35
	s_and_b64 s[2:3], s[2:3], s[4:5]
	s_andn2_b64 s[4:5], s[6:7], exec
	s_and_b64 s[2:3], s[2:3], exec
	s_or_b64 s[6:7], s[4:5], s[2:3]
.LBB369_28:                             ;   in Loop: Header=BB369_10 Depth=1
	s_or_b64 exec, exec, s[22:23]
	s_and_saveexec_b64 s[2:3], s[6:7]
	s_cbranch_execz .LBB369_30
; %bb.29:                               ;   in Loop: Header=BB369_10 Depth=1
	v_mov_b32_e32 v34, v36
	s_waitcnt lgkmcnt(1)
	v_mov_b32_e32 v16, v20
	s_waitcnt lgkmcnt(0)
	v_mov_b32_e32 v35, v19
	v_pk_mov_b32 v[18:19], v[20:21], v[20:21] op_sel:[0,1]
.LBB369_30:                             ;   in Loop: Header=BB369_10 Depth=1
	s_or_b64 exec, exec, s[2:3]
	s_waitcnt lgkmcnt(1)
	ds_bpermute_b32 v20, v30, v34
	ds_bpermute_b32 v36, v30, v35
	s_waitcnt lgkmcnt(2)
	ds_bpermute_b32 v19, v30, v16
	s_waitcnt lgkmcnt(2)
	v_cmp_eq_f32_e64 s[4:5], v34, v20
	s_waitcnt lgkmcnt(1)
	v_cmp_lt_i32_e64 s[6:7], v36, v35
	v_cmp_lt_f32_e64 s[2:3], v34, v20
	s_and_b64 s[4:5], s[4:5], s[6:7]
	s_or_b64 s[2:3], s[2:3], s[4:5]
	v_cndmask_b32_e64 v16, v35, v36, s[2:3]
	s_and_saveexec_b64 s[6:7], s[0:1]
	s_cbranch_execnz .LBB369_32
; %bb.31:                               ;   in Loop: Header=BB369_10 Depth=1
	s_or_b64 exec, exec, s[6:7]
	s_add_i32 s25, s25, 1
	s_cmp_ge_i32 s25, s8
	s_cbranch_scc1 .LBB369_9
	s_branch .LBB369_33
.LBB369_32:                             ;   in Loop: Header=BB369_10 Depth=1
	s_waitcnt lgkmcnt(0)
	v_cndmask_b32_e64 v20, v18, v19, s[2:3]
	v_add_u32_e32 v18, s25, v24
	v_ashrrev_i32_e32 v19, 31, v18
	v_cmp_le_i32_e64 s[2:3], s9, v16
	v_cmp_gt_i32_e64 s[4:5], s10, v16
	v_lshlrev_b64 v[34:35], 2, v[18:19]
	s_and_b64 s[4:5], s[2:3], s[4:5]
	v_mov_b32_e32 v37, s17
	v_add_co_u32_e64 v36, s[2:3], s16, v34
	v_addc_co_u32_e64 v37, s[2:3], v37, v35, s[2:3]
	global_store_dword v[36:37], v20, off
	v_subrev_u32_e32 v36, s9, v16
	v_ashrrev_i32_e32 v37, 31, v36
	s_and_b64 s[2:3], s[18:19], s[4:5]
	v_lshlrev_b64 v[18:19], 3, v[18:19]
	v_cndmask_b32_e64 v37, 0, v37, s[2:3]
	v_cndmask_b32_e64 v36, v31, v36, s[2:3]
	v_mov_b32_e32 v38, s13
	v_add_co_u32_e64 v18, s[2:3], s12, v18
	v_addc_co_u32_e64 v19, s[2:3], v38, v19, s[2:3]
	global_store_dwordx2 v[18:19], v[36:37], off
	v_mov_b32_e32 v19, s15
	v_add_co_u32_e64 v18, s[2:3], s14, v34
	v_addc_co_u32_e64 v19, s[2:3], v19, v35, s[2:3]
	global_store_dword v[18:19], v33, off
	v_add_f32_e32 v18, v23, v20
	v_cndmask_b32_e32 v23, v23, v18, vcc
	s_or_b64 exec, exec, s[6:7]
	s_add_i32 s25, s25, 1
	s_cmp_ge_i32 s25, s8
	s_cbranch_scc1 .LBB369_9
.LBB369_33:                             ;   in Loop: Header=BB369_10 Depth=1
	s_waitcnt lgkmcnt(0)
	v_ashrrev_i32_e32 v19, 31, v16
	v_lshrrev_b32_e32 v18, 29, v19
	v_add_u32_e32 v20, v16, v18
	v_ashrrev_i32_e32 v18, 3, v20
	v_ashrrev_i32_e32 v20, 31, v20
	v_lshrrev_b32_e32 v20, 26, v20
	v_add_u32_e32 v20, v18, v20
	v_and_b32_e32 v20, 0xffffffc0, v20
	v_sub_u32_e32 v20, v18, v20
	v_cmp_eq_u32_e64 s[2:3], v21, v20
	s_and_saveexec_b64 s[4:5], s[2:3]
	s_cbranch_execz .LBB369_8
; %bb.34:                               ;   in Loop: Header=BB369_10 Depth=1
	v_lshrrev_b32_e32 v19, 23, v19
	v_add_u32_e32 v19, v16, v19
	v_lshlrev_b32_e32 v18, 3, v18
	v_ashrrev_i32_e32 v19, 9, v19
	v_sub_u32_e32 v16, v16, v18
	v_lshl_add_u32 v16, v19, 3, v16
	v_cmp_ne_u32_e64 s[2:3], 7, v16
	v_cndmask_b32_e64 v15, v32, v15, s[2:3]
	v_cmp_ne_u32_e64 s[2:3], 6, v16
	v_cndmask_b32_e64 v14, v32, v14, s[2:3]
	;; [unrolled: 2-line block ×8, first 2 shown]
	s_branch .LBB369_8
.LBB369_35:
                                        ; implicit-def: $vgpr8_vgpr9_vgpr10_vgpr11_vgpr12_vgpr13_vgpr14_vgpr15
	s_andn2_b64 vcc, exec, s[8:9]
	s_cbranch_vccz .LBB369_5
	s_branch .LBB369_6
.LBB369_36:
	v_mov_b32_e32 v23, 0
.LBB369_37:
	v_cmp_eq_u32_e64 s[0:1], 0, v21
	s_and_b64 s[0:1], s[0:1], vcc
	s_and_b64 exec, exec, s[0:1]
	s_cbranch_execz .LBB369_46
; %bb.38:
	s_andn2_b64 vcc, exec, s[20:21]
	s_cbranch_vccnz .LBB369_46
; %bb.39:
	v_cmp_lt_f32_e32 vcc, 0, v23
	s_mov_b32 s2, 0
	v_cndmask_b32_e32 v0, 1.0, v23, vcc
	v_mul_lo_u32 v4, v17, s8
	s_cmp_eq_u32 s8, 1
	s_mov_b64 s[0:1], -1
	s_cbranch_scc1 .LBB369_43
; %bb.40:
	s_and_b32 s2, s8, 0x7ffffffe
	v_mov_b32_e32 v1, v0
	v_mov_b32_e32 v5, s17
	s_mov_b32 s3, s2
	v_mov_b32_e32 v2, v4
.LBB369_41:                             ; =>This Inner Loop Header: Depth=1
	v_ashrrev_i32_e32 v3, 31, v2
	v_lshlrev_b64 v[6:7], 2, v[2:3]
	v_add_co_u32_e32 v6, vcc, s16, v6
	v_addc_co_u32_e32 v7, vcc, v5, v7, vcc
	global_load_dwordx2 v[8:9], v[6:7], off
	s_add_i32 s3, s3, -2
	s_cmp_lg_u32 s3, 0
	v_add_u32_e32 v2, 2, v2
	s_waitcnt vmcnt(0)
	v_div_scale_f32 v3, s[0:1], v1, v1, v9
	v_div_scale_f32 v11, s[0:1], v0, v0, v8
	v_rcp_f32_e32 v12, v3
	v_rcp_f32_e32 v13, v11
	v_div_scale_f32 v10, vcc, v9, v1, v9
	v_fma_f32 v15, -v3, v12, 1.0
	v_fma_f32 v16, -v11, v13, 1.0
	v_fmac_f32_e32 v12, v15, v12
	v_div_scale_f32 v14, s[0:1], v8, v0, v8
	v_fmac_f32_e32 v13, v16, v13
	v_mul_f32_e32 v15, v10, v12
	v_mul_f32_e32 v16, v14, v13
	v_fma_f32 v17, -v3, v15, v10
	v_fma_f32 v18, -v11, v16, v14
	v_fmac_f32_e32 v15, v17, v12
	v_fmac_f32_e32 v16, v18, v13
	v_fma_f32 v3, -v3, v15, v10
	v_fma_f32 v10, -v11, v16, v14
	v_div_fmas_f32 v3, v3, v12, v15
	s_mov_b64 vcc, s[0:1]
	v_div_fixup_f32 v9, v3, v1, v9
	v_div_fmas_f32 v3, v10, v13, v16
	v_div_fixup_f32 v8, v3, v0, v8
	global_store_dwordx2 v[6:7], v[8:9], off
	s_cbranch_scc1 .LBB369_41
; %bb.42:
	s_cmp_lg_u32 s2, s8
	s_cselect_b64 s[0:1], -1, 0
.LBB369_43:
	s_and_b64 vcc, exec, s[0:1]
	s_cbranch_vccz .LBB369_46
; %bb.44:
	v_ashrrev_i32_e32 v1, 31, v4
	v_add_co_u32_e32 v2, vcc, s2, v4
	v_addc_co_u32_e32 v3, vcc, 0, v1, vcc
	v_lshlrev_b64 v[2:3], 2, v[2:3]
	v_mov_b32_e32 v1, s17
	v_add_co_u32_e32 v2, vcc, s16, v2
	s_sub_i32 s0, s8, s2
	v_addc_co_u32_e32 v3, vcc, v1, v3, vcc
.LBB369_45:                             ; =>This Inner Loop Header: Depth=1
	global_load_dword v1, v[2:3], off
	s_add_i32 s0, s0, -1
	s_cmp_lg_u32 s0, 0
	s_waitcnt vmcnt(0)
	v_div_scale_f32 v4, s[2:3], v0, v0, v1
	v_rcp_f32_e32 v5, v4
	v_div_scale_f32 v6, vcc, v1, v0, v1
	v_fma_f32 v7, -v4, v5, 1.0
	v_fmac_f32_e32 v5, v7, v5
	v_mul_f32_e32 v7, v6, v5
	v_fma_f32 v8, -v4, v7, v6
	v_fmac_f32_e32 v7, v8, v5
	v_fma_f32 v4, -v4, v7, v6
	v_div_fmas_f32 v4, v4, v5, v7
	v_div_fixup_f32 v1, v4, v0, v1
	global_store_dword v[2:3], v1, off
	v_add_co_u32_e32 v2, vcc, 4, v2
	v_addc_co_u32_e32 v3, vcc, 0, v3, vcc
	s_cbranch_scc1 .LBB369_45
.LBB369_46:
	s_endpgm
	.section	.rodata,"a",@progbits
	.p2align	6, 0x0
	.amdhsa_kernel _ZN4vllm3moe10topkGatingILi8ELi512ELi4ELi16ELi64El14__hip_bfloat16LNS0_11ScoringFuncE1EEEvPKT5_PKbPfiPT4_PiiiibPKf
		.amdhsa_group_segment_fixed_size 0
		.amdhsa_private_segment_fixed_size 0
		.amdhsa_kernarg_size 72
		.amdhsa_user_sgpr_count 6
		.amdhsa_user_sgpr_private_segment_buffer 1
		.amdhsa_user_sgpr_dispatch_ptr 0
		.amdhsa_user_sgpr_queue_ptr 0
		.amdhsa_user_sgpr_kernarg_segment_ptr 1
		.amdhsa_user_sgpr_dispatch_id 0
		.amdhsa_user_sgpr_flat_scratch_init 0
		.amdhsa_user_sgpr_kernarg_preload_length 0
		.amdhsa_user_sgpr_kernarg_preload_offset 0
		.amdhsa_user_sgpr_private_segment_size 0
		.amdhsa_uses_dynamic_stack 0
		.amdhsa_system_sgpr_private_segment_wavefront_offset 0
		.amdhsa_system_sgpr_workgroup_id_x 1
		.amdhsa_system_sgpr_workgroup_id_y 0
		.amdhsa_system_sgpr_workgroup_id_z 0
		.amdhsa_system_sgpr_workgroup_info 0
		.amdhsa_system_vgpr_workitem_id 1
		.amdhsa_next_free_vgpr 39
		.amdhsa_next_free_sgpr 26
		.amdhsa_accum_offset 40
		.amdhsa_reserve_vcc 1
		.amdhsa_reserve_flat_scratch 0
		.amdhsa_float_round_mode_32 0
		.amdhsa_float_round_mode_16_64 0
		.amdhsa_float_denorm_mode_32 3
		.amdhsa_float_denorm_mode_16_64 3
		.amdhsa_dx10_clamp 1
		.amdhsa_ieee_mode 1
		.amdhsa_fp16_overflow 0
		.amdhsa_tg_split 0
		.amdhsa_exception_fp_ieee_invalid_op 0
		.amdhsa_exception_fp_denorm_src 0
		.amdhsa_exception_fp_ieee_div_zero 0
		.amdhsa_exception_fp_ieee_overflow 0
		.amdhsa_exception_fp_ieee_underflow 0
		.amdhsa_exception_fp_ieee_inexact 0
		.amdhsa_exception_int_div_zero 0
	.end_amdhsa_kernel
	.section	.text._ZN4vllm3moe10topkGatingILi8ELi512ELi4ELi16ELi64El14__hip_bfloat16LNS0_11ScoringFuncE1EEEvPKT5_PKbPfiPT4_PiiiibPKf,"axG",@progbits,_ZN4vllm3moe10topkGatingILi8ELi512ELi4ELi16ELi64El14__hip_bfloat16LNS0_11ScoringFuncE1EEEvPKT5_PKbPfiPT4_PiiiibPKf,comdat
.Lfunc_end369:
	.size	_ZN4vllm3moe10topkGatingILi8ELi512ELi4ELi16ELi64El14__hip_bfloat16LNS0_11ScoringFuncE1EEEvPKT5_PKbPfiPT4_PiiiibPKf, .Lfunc_end369-_ZN4vllm3moe10topkGatingILi8ELi512ELi4ELi16ELi64El14__hip_bfloat16LNS0_11ScoringFuncE1EEEvPKT5_PKbPfiPT4_PiiiibPKf
                                        ; -- End function
	.section	.AMDGPU.csdata,"",@progbits
; Kernel info:
; codeLenInByte = 3352
; NumSgprs: 30
; NumVgprs: 39
; NumAgprs: 0
; TotalNumVgprs: 39
; ScratchSize: 0
; MemoryBound: 0
; FloatMode: 240
; IeeeMode: 1
; LDSByteSize: 0 bytes/workgroup (compile time only)
; SGPRBlocks: 3
; VGPRBlocks: 4
; NumSGPRsForWavesPerEU: 30
; NumVGPRsForWavesPerEU: 39
; AccumOffset: 40
; Occupancy: 8
; WaveLimiterHint : 0
; COMPUTE_PGM_RSRC2:SCRATCH_EN: 0
; COMPUTE_PGM_RSRC2:USER_SGPR: 6
; COMPUTE_PGM_RSRC2:TRAP_HANDLER: 0
; COMPUTE_PGM_RSRC2:TGID_X_EN: 1
; COMPUTE_PGM_RSRC2:TGID_Y_EN: 0
; COMPUTE_PGM_RSRC2:TGID_Z_EN: 0
; COMPUTE_PGM_RSRC2:TIDIG_COMP_CNT: 1
; COMPUTE_PGM_RSRC3_GFX90A:ACCUM_OFFSET: 9
; COMPUTE_PGM_RSRC3_GFX90A:TG_SPLIT: 0
	.section	.text._ZN4vllm3moe10topkGatingILi16ELi512ELi4ELi16ELi32El14__hip_bfloat16LNS0_11ScoringFuncE1EEEvPKT5_PKbPfiPT4_PiiiibPKf,"axG",@progbits,_ZN4vllm3moe10topkGatingILi16ELi512ELi4ELi16ELi32El14__hip_bfloat16LNS0_11ScoringFuncE1EEEvPKT5_PKbPfiPT4_PiiiibPKf,comdat
	.protected	_ZN4vllm3moe10topkGatingILi16ELi512ELi4ELi16ELi32El14__hip_bfloat16LNS0_11ScoringFuncE1EEEvPKT5_PKbPfiPT4_PiiiibPKf ; -- Begin function _ZN4vllm3moe10topkGatingILi16ELi512ELi4ELi16ELi32El14__hip_bfloat16LNS0_11ScoringFuncE1EEEvPKT5_PKbPfiPT4_PiiiibPKf
	.globl	_ZN4vllm3moe10topkGatingILi16ELi512ELi4ELi16ELi32El14__hip_bfloat16LNS0_11ScoringFuncE1EEEvPKT5_PKbPfiPT4_PiiiibPKf
	.p2align	8
	.type	_ZN4vllm3moe10topkGatingILi16ELi512ELi4ELi16ELi32El14__hip_bfloat16LNS0_11ScoringFuncE1EEEvPKT5_PKbPfiPT4_PiiiibPKf,@function
_ZN4vllm3moe10topkGatingILi16ELi512ELi4ELi16ELi32El14__hip_bfloat16LNS0_11ScoringFuncE1EEEvPKT5_PKbPfiPT4_PiiiibPKf: ; @_ZN4vllm3moe10topkGatingILi16ELi512ELi4ELi16ELi32El14__hip_bfloat16LNS0_11ScoringFuncE1EEEvPKT5_PKbPfiPT4_PiiiibPKf
; %bb.0:
	s_load_dword s24, s[4:5], 0x18
	v_and_b32_e32 v1, 0x3ff, v0
	s_lshl_b32 s0, s6, 2
	v_lshrrev_b32_e32 v2, 5, v1
	v_bfe_u32 v0, v0, 10, 10
	v_add3_u32 v33, s0, v0, v2
	s_waitcnt lgkmcnt(0)
	v_cmp_gt_i32_e32 vcc, s24, v33
	s_and_saveexec_b64 s[0:1], vcc
	s_cbranch_execz .LBB370_42
; %bb.1:
	s_load_dwordx4 s[0:3], s[4:5], 0x0
	s_load_dwordx2 s[16:17], s[4:5], 0x10
	s_mov_b64 s[6:7], -1
	s_mov_b64 s[18:19], -1
	s_waitcnt lgkmcnt(0)
	s_cmp_eq_u64 s[2:3], 0
	s_cbranch_scc1 .LBB370_3
; %bb.2:
	v_ashrrev_i32_e32 v0, 31, v33
	v_mov_b32_e32 v3, s3
	v_add_co_u32_e32 v2, vcc, s2, v33
	v_addc_co_u32_e32 v3, vcc, v3, v0, vcc
	global_load_ubyte v0, v[2:3], off
	s_waitcnt vmcnt(0)
	v_and_b32_e32 v0, 1, v0
	v_cmp_eq_u32_e32 vcc, 1, v0
	s_xor_b64 s[2:3], vcc, -1
	s_orn2_b64 s[18:19], s[2:3], exec
.LBB370_3:
	v_lshlrev_b32_e32 v2, 9, v33
	v_ashrrev_i32_e32 v3, 31, v2
	v_lshlrev_b64 v[2:3], 1, v[2:3]
	v_mov_b32_e32 v0, s1
	v_add_co_u32_e32 v2, vcc, s0, v2
	v_and_b32_e32 v37, 31, v1
	v_addc_co_u32_e32 v0, vcc, v0, v3, vcc
	v_lshlrev_b32_e32 v1, 4, v37
	v_add_co_u32_e32 v8, vcc, v2, v1
	v_addc_co_u32_e32 v9, vcc, 0, v0, vcc
	global_load_dwordx4 v[0:3], v[8:9], off
	global_load_dwordx4 v[4:7], v[8:9], off offset:512
	v_mov_b32_e32 v16, 0x207
	s_load_dwordx2 s[2:3], s[4:5], 0x40
	v_lshlrev_b32_e32 v38, 3, v37
	s_waitcnt lgkmcnt(0)
	s_cmp_eq_u64 s[2:3], 0
	s_waitcnt vmcnt(1)
	v_lshlrev_b32_e32 v8, 16, v0
	v_and_b32_e32 v0, 0xffff0000, v0
	v_lshlrev_b32_e32 v9, 16, v1
	v_and_b32_e32 v1, 0xffff0000, v1
	v_mul_f32_e32 v8, 0xbfb8aa3b, v8
	v_mul_f32_e32 v17, 0xbfb8aa3b, v0
	;; [unrolled: 1-line block ×3, first 2 shown]
	v_exp_f32_e32 v0, v8
	v_exp_f32_e32 v1, v17
	v_lshlrev_b32_e32 v10, 16, v2
	v_and_b32_e32 v2, 0xffff0000, v2
	v_lshlrev_b32_e32 v11, 16, v3
	v_and_b32_e32 v3, 0xffff0000, v3
	v_mul_f32_e32 v9, 0xbfb8aa3b, v9
	v_mul_f32_e32 v19, 0xbfb8aa3b, v2
	;; [unrolled: 1-line block ×3, first 2 shown]
	v_exp_f32_e32 v2, v9
	v_exp_f32_e32 v3, v18
	s_waitcnt vmcnt(0)
	v_lshlrev_b32_e32 v12, 16, v4
	v_and_b32_e32 v4, 0xffff0000, v4
	v_pk_add_f32 v[0:1], v[0:1], 1.0 op_sel_hi:[1,0]
	v_lshlrev_b32_e32 v13, 16, v5
	v_and_b32_e32 v5, 0xffff0000, v5
	v_mul_f32_e32 v21, 0xbfb8aa3b, v4
	v_div_scale_f32 v17, s[0:1], v1, v1, 1.0
	v_lshlrev_b32_e32 v14, 16, v6
	v_lshlrev_b32_e32 v15, 16, v7
	v_and_b32_e32 v7, 0xffff0000, v7
	v_mul_f32_e32 v22, 0xbfb8aa3b, v5
	v_exp_f32_e32 v5, v19
	v_exp_f32_e32 v9, v21
	v_pk_add_f32 v[2:3], v[2:3], 1.0 op_sel_hi:[1,0]
	v_div_scale_f32 v19, s[0:1], v0, v0, 1.0
	v_rcp_f32_e32 v21, v17
	v_mul_f32_e32 v10, 0xbfb8aa3b, v10
	v_mul_f32_e32 v23, 0xbfb8aa3b, v14
	;; [unrolled: 1-line block ×4, first 2 shown]
	v_exp_f32_e32 v7, v20
	v_exp_f32_e32 v15, v22
	v_div_scale_f32 v20, s[0:1], v3, v3, 1.0
	v_rcp_f32_e32 v22, v19
	v_exp_f32_e32 v4, v10
	v_exp_f32_e32 v10, v23
	v_rcp_f32_e32 v23, v20
	v_mul_f32_e32 v12, 0xbfb8aa3b, v12
	v_and_b32_e32 v6, 0xffff0000, v6
	v_mul_f32_e32 v13, 0xbfb8aa3b, v13
	v_exp_f32_e32 v8, v12
	v_exp_f32_e32 v12, v25
	v_fma_f32 v25, -v17, v21, 1.0
	v_mul_f32_e32 v11, 0xbfb8aa3b, v11
	v_mul_f32_e32 v24, 0xbfb8aa3b, v6
	v_exp_f32_e32 v14, v13
	v_exp_f32_e32 v13, v26
	v_div_scale_f32 v18, vcc, 1.0, v1, 1.0
	v_fma_f32 v26, -v19, v22, 1.0
	v_fmac_f32_e32 v21, v25, v21
	v_exp_f32_e32 v6, v11
	v_exp_f32_e32 v11, v24
	v_div_scale_f32 v24, s[0:1], 1.0, v0, 1.0
	v_fma_f32 v27, -v20, v23, 1.0
	v_fmac_f32_e32 v22, v26, v22
	v_mul_f32_e32 v25, v18, v21
	v_fmac_f32_e32 v23, v27, v23
	v_mul_f32_e32 v26, v24, v22
	v_fma_f32 v27, -v17, v25, v18
	v_fma_f32 v28, -v19, v26, v24
	v_fmac_f32_e32 v25, v27, v21
	v_fmac_f32_e32 v26, v28, v22
	v_fma_f32 v17, -v17, v25, v18
	v_fma_f32 v18, -v19, v26, v24
	v_div_fmas_f32 v17, v17, v21, v25
	s_mov_b64 vcc, s[0:1]
	v_div_fixup_f32 v1, v17, v1, 1.0
	v_div_fmas_f32 v17, v18, v22, v26
	v_div_fixup_f32 v0, v17, v0, 1.0
	v_cmp_class_f32_e32 vcc, v1, v16
	v_cndmask_b32_e64 v1, v1, 0, vcc
	v_cmp_class_f32_e32 vcc, v0, v16
	v_cndmask_b32_e64 v0, v0, 0, vcc
	v_div_scale_f32 v17, vcc, 1.0, v3, 1.0
	v_mul_f32_e32 v18, v17, v23
	v_fma_f32 v19, -v20, v18, v17
	v_fmac_f32_e32 v18, v19, v23
	v_div_scale_f32 v19, s[0:1], v2, v2, 1.0
	v_fma_f32 v17, -v20, v18, v17
	v_rcp_f32_e32 v20, v19
	v_div_fmas_f32 v17, v17, v23, v18
	v_div_fixup_f32 v3, v17, v3, 1.0
	v_pk_add_f32 v[4:5], v[4:5], 1.0 op_sel_hi:[1,0]
	v_fma_f32 v17, -v19, v20, 1.0
	v_fmac_f32_e32 v20, v17, v20
	v_div_scale_f32 v17, vcc, 1.0, v2, 1.0
	v_mul_f32_e32 v18, v17, v20
	v_fma_f32 v21, -v19, v18, v17
	v_fmac_f32_e32 v18, v21, v20
	v_fma_f32 v17, -v19, v18, v17
	v_div_fmas_f32 v17, v17, v20, v18
	v_div_fixup_f32 v2, v17, v2, 1.0
	v_div_scale_f32 v17, s[0:1], v5, v5, 1.0
	v_rcp_f32_e32 v18, v17
	v_cmp_class_f32_e32 vcc, v3, v16
	v_cndmask_b32_e64 v3, v3, 0, vcc
	v_cmp_class_f32_e32 vcc, v2, v16
	v_fma_f32 v19, -v17, v18, 1.0
	v_cndmask_b32_e64 v2, v2, 0, vcc
	v_fmac_f32_e32 v18, v19, v18
	v_div_scale_f32 v19, vcc, 1.0, v5, 1.0
	v_mul_f32_e32 v20, v19, v18
	v_fma_f32 v21, -v17, v20, v19
	v_fmac_f32_e32 v20, v21, v18
	v_fma_f32 v17, -v17, v20, v19
	v_div_scale_f32 v19, s[0:1], v4, v4, 1.0
	v_rcp_f32_e32 v21, v19
	v_div_fmas_f32 v17, v17, v18, v20
	v_div_fixup_f32 v5, v17, v5, 1.0
	v_pk_add_f32 v[6:7], v[6:7], 1.0 op_sel_hi:[1,0]
	v_fma_f32 v17, -v19, v21, 1.0
	v_fmac_f32_e32 v21, v17, v21
	v_div_scale_f32 v17, vcc, 1.0, v4, 1.0
	v_mul_f32_e32 v18, v17, v21
	v_fma_f32 v20, -v19, v18, v17
	v_fmac_f32_e32 v18, v20, v21
	v_fma_f32 v17, -v19, v18, v17
	v_div_fmas_f32 v17, v17, v21, v18
	v_div_fixup_f32 v4, v17, v4, 1.0
	v_div_scale_f32 v17, s[0:1], v7, v7, 1.0
	v_rcp_f32_e32 v18, v17
	v_cmp_class_f32_e32 vcc, v5, v16
	v_cndmask_b32_e64 v5, v5, 0, vcc
	v_cmp_class_f32_e32 vcc, v4, v16
	v_fma_f32 v19, -v17, v18, 1.0
	v_cndmask_b32_e64 v4, v4, 0, vcc
	v_fmac_f32_e32 v18, v19, v18
	v_div_scale_f32 v19, vcc, 1.0, v7, 1.0
	v_mul_f32_e32 v20, v19, v18
	v_fma_f32 v21, -v17, v20, v19
	v_fmac_f32_e32 v20, v21, v18
	v_fma_f32 v17, -v17, v20, v19
	v_div_scale_f32 v19, s[0:1], v6, v6, 1.0
	;; [unrolled: 27-line block ×4, first 2 shown]
	v_rcp_f32_e32 v21, v19
	v_div_fmas_f32 v17, v17, v18, v20
	v_div_fixup_f32 v17, v17, v15, 1.0
	v_fma_f32 v15, -v19, v21, 1.0
	v_fmac_f32_e32 v21, v15, v21
	v_div_scale_f32 v15, vcc, 1.0, v14, 1.0
	v_mul_f32_e32 v18, v15, v21
	v_fma_f32 v20, -v19, v18, v15
	v_fmac_f32_e32 v18, v20, v21
	v_fma_f32 v15, -v19, v18, v15
	v_div_fmas_f32 v15, v15, v21, v18
	v_div_fixup_f32 v18, v15, v14, 1.0
	v_pk_add_f32 v[14:15], v[10:11], 1.0 op_sel_hi:[1,0]
	v_div_scale_f32 v19, s[0:1], v15, v15, 1.0
	v_rcp_f32_e32 v20, v19
	v_cmp_class_f32_e32 vcc, v17, v16
	v_cndmask_b32_e64 v11, v17, 0, vcc
	v_cmp_class_f32_e32 vcc, v18, v16
	v_fma_f32 v17, -v19, v20, 1.0
	v_cndmask_b32_e64 v10, v18, 0, vcc
	v_fmac_f32_e32 v20, v17, v20
	v_div_scale_f32 v17, vcc, 1.0, v15, 1.0
	v_mul_f32_e32 v18, v17, v20
	v_fma_f32 v21, -v19, v18, v17
	v_fmac_f32_e32 v18, v21, v20
	v_fma_f32 v17, -v19, v18, v17
	v_div_scale_f32 v19, s[0:1], v14, v14, 1.0
	v_rcp_f32_e32 v21, v19
	v_div_fmas_f32 v17, v17, v20, v18
	v_div_fixup_f32 v17, v17, v15, 1.0
	v_fma_f32 v15, -v19, v21, 1.0
	v_fmac_f32_e32 v21, v15, v21
	v_div_scale_f32 v15, vcc, 1.0, v14, 1.0
	v_mul_f32_e32 v18, v15, v21
	v_fma_f32 v20, -v19, v18, v15
	v_fmac_f32_e32 v18, v20, v21
	v_fma_f32 v15, -v19, v18, v15
	v_div_fmas_f32 v15, v15, v21, v18
	v_div_fixup_f32 v18, v15, v14, 1.0
	v_pk_add_f32 v[14:15], v[12:13], 1.0 op_sel_hi:[1,0]
	v_div_scale_f32 v19, s[0:1], v15, v15, 1.0
	v_rcp_f32_e32 v20, v19
	v_cmp_class_f32_e32 vcc, v17, v16
	v_cndmask_b32_e64 v13, v17, 0, vcc
	v_cmp_class_f32_e32 vcc, v18, v16
	v_fma_f32 v17, -v19, v20, 1.0
	v_cndmask_b32_e64 v12, v18, 0, vcc
	v_fmac_f32_e32 v20, v17, v20
	v_div_scale_f32 v17, vcc, 1.0, v15, 1.0
	v_mul_f32_e32 v18, v17, v20
	v_fma_f32 v21, -v19, v18, v17
	v_fmac_f32_e32 v18, v21, v20
	v_fma_f32 v17, -v19, v18, v17
	v_div_scale_f32 v19, s[0:1], v14, v14, 1.0
	v_rcp_f32_e32 v21, v19
	v_div_fmas_f32 v17, v17, v20, v18
	v_div_fixup_f32 v15, v17, v15, 1.0
	v_fma_f32 v17, -v19, v21, 1.0
	v_fmac_f32_e32 v21, v17, v21
	v_div_scale_f32 v17, vcc, 1.0, v14, 1.0
	v_mul_f32_e32 v18, v17, v21
	v_fma_f32 v20, -v19, v18, v17
	v_fmac_f32_e32 v18, v20, v21
	v_fma_f32 v17, -v19, v18, v17
	v_div_fmas_f32 v17, v17, v21, v18
	v_div_fixup_f32 v14, v17, v14, 1.0
	v_cmp_class_f32_e32 vcc, v15, v16
	v_cndmask_b32_e64 v15, v15, 0, vcc
	v_cmp_class_f32_e32 vcc, v14, v16
	v_cndmask_b32_e64 v14, v14, 0, vcc
	s_cbranch_scc1 .LBB370_31
; %bb.4:
	v_lshlrev_b32_e32 v32, 2, v38
	global_load_dwordx4 v[16:19], v32, s[2:3]
	global_load_dwordx4 v[20:23], v32, s[2:3] offset:16
	global_load_dwordx4 v[24:27], v32, s[2:3] offset:1024
	;; [unrolled: 1-line block ×3, first 2 shown]
	s_waitcnt vmcnt(3)
	v_pk_add_f32 v[16:17], v[16:17], v[0:1]
	v_pk_add_f32 v[18:19], v[18:19], v[2:3]
	s_waitcnt vmcnt(2)
	v_pk_add_f32 v[20:21], v[20:21], v[4:5]
	v_pk_add_f32 v[22:23], v[22:23], v[6:7]
	;; [unrolled: 3-line block ×4, first 2 shown]
	s_cbranch_execnz .LBB370_6
.LBB370_5:
	v_pk_mov_b32 v[30:31], v[14:15], v[14:15] op_sel:[0,1]
	v_pk_mov_b32 v[28:29], v[12:13], v[12:13] op_sel:[0,1]
	;; [unrolled: 1-line block ×8, first 2 shown]
.LBB370_6:
	s_load_dwordx4 s[8:11], s[4:5], 0x30
	s_mov_b32 s25, 0
	v_cmp_eq_u32_e64 s[0:1], 0, v37
	s_waitcnt lgkmcnt(0)
	s_bitcmp1_b32 s11, 0
	s_cselect_b64 vcc, -1, 0
	s_cmp_gt_i32 s8, 0
	s_cselect_b64 s[20:21], -1, 0
	s_cmp_lt_i32 s8, 1
	s_cbranch_scc1 .LBB370_32
; %bb.7:
	v_mbcnt_lo_u32_b32 v32, -1, 0
	v_mbcnt_hi_u32_b32 v32, -1, v32
	v_and_b32_e32 v34, 0x60, v32
	v_add_u32_e32 v34, 32, v34
	v_xor_b32_e32 v35, 16, v32
	v_cmp_lt_i32_e64 s[2:3], v35, v34
	v_cndmask_b32_e64 v35, v32, v35, s[2:3]
	v_lshlrev_b32_e32 v41, 2, v35
	v_xor_b32_e32 v35, 8, v32
	v_cmp_lt_i32_e64 s[2:3], v35, v34
	v_cndmask_b32_e64 v35, v32, v35, s[2:3]
	v_lshlrev_b32_e32 v42, 2, v35
	;; [unrolled: 4-line block ×3, first 2 shown]
	v_xor_b32_e32 v35, 2, v32
	v_cmp_lt_i32_e64 s[2:3], v35, v34
	s_load_dwordx4 s[12:15], s[4:5], 0x20
	v_cndmask_b32_e64 v35, v32, v35, s[2:3]
	v_lshlrev_b32_e32 v44, 2, v35
	v_xor_b32_e32 v35, 1, v32
	v_cmp_lt_i32_e64 s[2:3], v35, v34
	v_cndmask_b32_e64 v32, v32, v35, s[2:3]
	v_mul_lo_u32 v40, v33, s8
	v_lshlrev_b32_e32 v45, 2, v32
	v_mov_b32_e32 v39, 0
	v_mov_b32_e32 v46, 0x100
	;; [unrolled: 1-line block ×3, first 2 shown]
	v_bfrev_b32_e32 v48, 4.0
	v_bfrev_b32_e32 v49, -4.0
	v_mov_b32_e32 v50, 0x104
	v_mov_b32_e32 v51, 0x105
	;; [unrolled: 1-line block ×7, first 2 shown]
	s_branch .LBB370_10
.LBB370_8:                              ;   in Loop: Header=BB370_10 Depth=1
	s_or_b64 exec, exec, s[4:5]
.LBB370_9:                              ;   in Loop: Header=BB370_10 Depth=1
	s_cmp_eq_u32 s8, s25
	v_add_u32_e32 v56, s24, v56
	s_cbranch_scc1 .LBB370_33
.LBB370_10:                             ; =>This Inner Loop Header: Depth=1
	v_cmp_gt_f32_e64 s[2:3], v17, v16
	s_waitcnt lgkmcnt(0)
	v_cndmask_b32_e64 v35, v16, v17, s[2:3]
	v_cndmask_b32_e64 v32, 0, 1, s[2:3]
	v_cndmask_b32_e64 v34, v0, v1, s[2:3]
	v_cmp_gt_f32_e64 s[2:3], v18, v35
	v_cndmask_b32_e64 v35, v35, v18, s[2:3]
	v_cndmask_b32_e64 v32, v32, 2, s[2:3]
	v_cndmask_b32_e64 v34, v34, v2, s[2:3]
	v_cmp_gt_f32_e64 s[2:3], v19, v35
	v_cndmask_b32_e64 v35, v35, v19, s[2:3]
	v_cndmask_b32_e64 v32, v32, 3, s[2:3]
	v_cndmask_b32_e64 v34, v34, v3, s[2:3]
	v_cmp_gt_f32_e64 s[2:3], v20, v35
	v_cndmask_b32_e64 v35, v35, v20, s[2:3]
	v_cndmask_b32_e64 v32, v32, 4, s[2:3]
	v_cndmask_b32_e64 v34, v34, v4, s[2:3]
	v_cmp_gt_f32_e64 s[2:3], v21, v35
	v_cndmask_b32_e64 v35, v35, v21, s[2:3]
	v_cndmask_b32_e64 v32, v32, 5, s[2:3]
	v_cndmask_b32_e64 v34, v34, v5, s[2:3]
	v_cmp_gt_f32_e64 s[2:3], v22, v35
	v_cndmask_b32_e64 v35, v35, v22, s[2:3]
	v_cndmask_b32_e64 v32, v32, 6, s[2:3]
	v_cndmask_b32_e64 v34, v34, v6, s[2:3]
	v_cmp_gt_f32_e64 s[2:3], v23, v35
	v_cndmask_b32_e64 v35, v35, v23, s[2:3]
	v_cndmask_b32_e64 v32, v32, 7, s[2:3]
	v_cndmask_b32_e64 v34, v34, v7, s[2:3]
	v_cmp_gt_f32_e64 s[2:3], v24, v35
	v_cndmask_b32_e64 v35, v35, v24, s[2:3]
	v_cndmask_b32_e64 v32, v32, v46, s[2:3]
	v_cndmask_b32_e64 v34, v34, v8, s[2:3]
	v_cmp_gt_f32_e64 s[2:3], v25, v35
	v_cndmask_b32_e64 v35, v35, v25, s[2:3]
	v_cndmask_b32_e64 v32, v32, v47, s[2:3]
	v_cndmask_b32_e64 v34, v34, v9, s[2:3]
	v_cmp_gt_f32_e64 s[2:3], v26, v35
	v_cndmask_b32_e64 v35, v35, v26, s[2:3]
	v_cndmask_b32_e64 v32, v32, v48, s[2:3]
	v_cndmask_b32_e64 v34, v34, v10, s[2:3]
	v_cmp_gt_f32_e64 s[2:3], v27, v35
	v_cndmask_b32_e64 v35, v35, v27, s[2:3]
	v_cndmask_b32_e64 v32, v32, v49, s[2:3]
	v_cndmask_b32_e64 v34, v34, v11, s[2:3]
	v_cmp_gt_f32_e64 s[2:3], v28, v35
	v_cndmask_b32_e64 v35, v35, v28, s[2:3]
	v_cndmask_b32_e64 v32, v32, v50, s[2:3]
	v_cndmask_b32_e64 v34, v34, v12, s[2:3]
	v_cmp_gt_f32_e64 s[2:3], v29, v35
	v_cndmask_b32_e64 v35, v35, v29, s[2:3]
	v_cndmask_b32_e64 v32, v32, v51, s[2:3]
	v_cndmask_b32_e64 v34, v34, v13, s[2:3]
	v_cmp_gt_f32_e64 s[2:3], v30, v35
	v_cndmask_b32_e64 v35, v35, v30, s[2:3]
	v_cndmask_b32_e64 v32, v32, v52, s[2:3]
	v_cndmask_b32_e64 v34, v34, v14, s[2:3]
	v_cmp_gt_f32_e64 s[2:3], v31, v35
	v_cndmask_b32_e64 v32, v32, v53, s[2:3]
	v_cndmask_b32_e64 v57, v35, v31, s[2:3]
	v_or_b32_e32 v58, v38, v32
	v_cndmask_b32_e64 v32, v34, v15, s[2:3]
	ds_bpermute_b32 v60, v41, v57
	ds_bpermute_b32 v36, v41, v32
	;; [unrolled: 1-line block ×3, first 2 shown]
                                        ; implicit-def: $vgpr34_vgpr35
	s_waitcnt lgkmcnt(0)
	v_cmp_lt_f32_e64 s[6:7], v57, v60
	v_cmp_nlt_f32_e64 s[2:3], v57, v60
	s_and_saveexec_b64 s[22:23], s[2:3]
; %bb.11:                               ;   in Loop: Header=BB370_10 Depth=1
	v_cmp_eq_f32_e64 s[2:3], v57, v60
	v_cmp_lt_i32_e64 s[4:5], v59, v58
	s_and_b64 s[2:3], s[2:3], s[4:5]
	s_andn2_b64 s[4:5], s[6:7], exec
	s_and_b64 s[2:3], s[2:3], exec
	s_or_b64 s[6:7], s[4:5], s[2:3]
	v_pk_mov_b32 v[34:35], v[32:33], v[32:33] op_sel:[0,1]
; %bb.12:                               ;   in Loop: Header=BB370_10 Depth=1
	s_or_b64 exec, exec, s[22:23]
	s_and_saveexec_b64 s[2:3], s[6:7]
; %bb.13:                               ;   in Loop: Header=BB370_10 Depth=1
	v_mov_b32_e32 v57, v60
	v_mov_b32_e32 v32, v36
	;; [unrolled: 1-line block ×3, first 2 shown]
	v_pk_mov_b32 v[34:35], v[36:37], v[36:37] op_sel:[0,1]
; %bb.14:                               ;   in Loop: Header=BB370_10 Depth=1
	s_or_b64 exec, exec, s[2:3]
	ds_bpermute_b32 v59, v42, v57
	ds_bpermute_b32 v36, v42, v32
	;; [unrolled: 1-line block ×3, first 2 shown]
	s_waitcnt lgkmcnt(2)
	v_cmp_lt_f32_e64 s[6:7], v57, v59
	v_cmp_nlt_f32_e64 s[2:3], v57, v59
	s_and_saveexec_b64 s[22:23], s[2:3]
	s_cbranch_execz .LBB370_16
; %bb.15:                               ;   in Loop: Header=BB370_10 Depth=1
	v_cmp_eq_f32_e64 s[2:3], v57, v59
	s_waitcnt lgkmcnt(0)
	v_cmp_lt_i32_e64 s[4:5], v35, v58
	s_and_b64 s[2:3], s[2:3], s[4:5]
	s_andn2_b64 s[4:5], s[6:7], exec
	s_and_b64 s[2:3], s[2:3], exec
	s_or_b64 s[6:7], s[4:5], s[2:3]
.LBB370_16:                             ;   in Loop: Header=BB370_10 Depth=1
	s_or_b64 exec, exec, s[22:23]
	s_and_saveexec_b64 s[2:3], s[6:7]
	s_cbranch_execz .LBB370_18
; %bb.17:                               ;   in Loop: Header=BB370_10 Depth=1
	v_mov_b32_e32 v57, v59
	s_waitcnt lgkmcnt(1)
	v_mov_b32_e32 v32, v36
	s_waitcnt lgkmcnt(0)
	v_mov_b32_e32 v58, v35
	v_pk_mov_b32 v[34:35], v[36:37], v[36:37] op_sel:[0,1]
.LBB370_18:                             ;   in Loop: Header=BB370_10 Depth=1
	s_or_b64 exec, exec, s[2:3]
	ds_bpermute_b32 v59, v43, v57
	s_waitcnt lgkmcnt(2)
	ds_bpermute_b32 v36, v43, v32
	s_waitcnt lgkmcnt(2)
	;; [unrolled: 2-line block ×3, first 2 shown]
	v_cmp_lt_f32_e64 s[6:7], v57, v59
	v_cmp_nlt_f32_e64 s[2:3], v57, v59
	s_and_saveexec_b64 s[22:23], s[2:3]
	s_cbranch_execz .LBB370_20
; %bb.19:                               ;   in Loop: Header=BB370_10 Depth=1
	v_cmp_eq_f32_e64 s[2:3], v57, v59
	s_waitcnt lgkmcnt(0)
	v_cmp_lt_i32_e64 s[4:5], v35, v58
	s_and_b64 s[2:3], s[2:3], s[4:5]
	s_andn2_b64 s[4:5], s[6:7], exec
	s_and_b64 s[2:3], s[2:3], exec
	s_or_b64 s[6:7], s[4:5], s[2:3]
.LBB370_20:                             ;   in Loop: Header=BB370_10 Depth=1
	s_or_b64 exec, exec, s[22:23]
	s_and_saveexec_b64 s[2:3], s[6:7]
	s_cbranch_execz .LBB370_22
; %bb.21:                               ;   in Loop: Header=BB370_10 Depth=1
	v_mov_b32_e32 v57, v59
	s_waitcnt lgkmcnt(1)
	v_mov_b32_e32 v32, v36
	s_waitcnt lgkmcnt(0)
	v_mov_b32_e32 v58, v35
	v_pk_mov_b32 v[34:35], v[36:37], v[36:37] op_sel:[0,1]
.LBB370_22:                             ;   in Loop: Header=BB370_10 Depth=1
	s_or_b64 exec, exec, s[2:3]
	ds_bpermute_b32 v59, v44, v57
	s_waitcnt lgkmcnt(2)
	ds_bpermute_b32 v36, v44, v32
	s_waitcnt lgkmcnt(2)
	;; [unrolled: 2-line block ×3, first 2 shown]
	v_cmp_lt_f32_e64 s[6:7], v57, v59
	v_cmp_nlt_f32_e64 s[2:3], v57, v59
	s_and_saveexec_b64 s[22:23], s[2:3]
	s_cbranch_execz .LBB370_24
; %bb.23:                               ;   in Loop: Header=BB370_10 Depth=1
	v_cmp_eq_f32_e64 s[2:3], v57, v59
	s_waitcnt lgkmcnt(0)
	v_cmp_lt_i32_e64 s[4:5], v35, v58
	s_and_b64 s[2:3], s[2:3], s[4:5]
	s_andn2_b64 s[4:5], s[6:7], exec
	s_and_b64 s[2:3], s[2:3], exec
	s_or_b64 s[6:7], s[4:5], s[2:3]
.LBB370_24:                             ;   in Loop: Header=BB370_10 Depth=1
	s_or_b64 exec, exec, s[22:23]
	s_and_saveexec_b64 s[2:3], s[6:7]
	s_cbranch_execz .LBB370_26
; %bb.25:                               ;   in Loop: Header=BB370_10 Depth=1
	v_mov_b32_e32 v57, v59
	s_waitcnt lgkmcnt(1)
	v_mov_b32_e32 v32, v36
	s_waitcnt lgkmcnt(0)
	v_mov_b32_e32 v58, v35
	v_pk_mov_b32 v[34:35], v[36:37], v[36:37] op_sel:[0,1]
.LBB370_26:                             ;   in Loop: Header=BB370_10 Depth=1
	s_or_b64 exec, exec, s[2:3]
	s_waitcnt lgkmcnt(1)
	ds_bpermute_b32 v36, v45, v57
	ds_bpermute_b32 v59, v45, v58
	s_waitcnt lgkmcnt(2)
	ds_bpermute_b32 v35, v45, v32
	s_waitcnt lgkmcnt(2)
	v_cmp_eq_f32_e64 s[4:5], v57, v36
	s_waitcnt lgkmcnt(1)
	v_cmp_lt_i32_e64 s[6:7], v59, v58
	v_cmp_lt_f32_e64 s[2:3], v57, v36
	s_and_b64 s[4:5], s[4:5], s[6:7]
	s_or_b64 s[2:3], s[2:3], s[4:5]
	v_cndmask_b32_e64 v32, v58, v59, s[2:3]
	s_and_saveexec_b64 s[6:7], s[0:1]
	s_cbranch_execnz .LBB370_28
; %bb.27:                               ;   in Loop: Header=BB370_10 Depth=1
	s_or_b64 exec, exec, s[6:7]
	s_add_i32 s25, s25, 1
	s_cmp_ge_i32 s25, s8
	s_cbranch_scc1 .LBB370_9
	s_branch .LBB370_29
.LBB370_28:                             ;   in Loop: Header=BB370_10 Depth=1
	s_waitcnt lgkmcnt(0)
	v_cndmask_b32_e64 v36, v34, v35, s[2:3]
	v_add_u32_e32 v34, s25, v40
	v_ashrrev_i32_e32 v35, 31, v34
	v_cmp_le_i32_e64 s[2:3], s9, v32
	v_cmp_gt_i32_e64 s[4:5], s10, v32
	v_lshlrev_b64 v[58:59], 2, v[34:35]
	s_and_b64 s[4:5], s[2:3], s[4:5]
	v_mov_b32_e32 v57, s17
	v_add_co_u32_e64 v60, s[2:3], s16, v58
	v_addc_co_u32_e64 v61, s[2:3], v57, v59, s[2:3]
	v_subrev_u32_e32 v57, s9, v32
	global_store_dword v[60:61], v36, off
	v_ashrrev_i32_e32 v60, 31, v57
	s_and_b64 s[2:3], s[18:19], s[4:5]
	v_lshlrev_b64 v[34:35], 3, v[34:35]
	v_cndmask_b32_e64 v61, 0, v60, s[2:3]
	v_cndmask_b32_e64 v60, v54, v57, s[2:3]
	v_mov_b32_e32 v57, s13
	v_add_co_u32_e64 v34, s[2:3], s12, v34
	v_addc_co_u32_e64 v35, s[2:3], v57, v35, s[2:3]
	global_store_dwordx2 v[34:35], v[60:61], off
	v_mov_b32_e32 v35, s15
	v_add_co_u32_e64 v34, s[2:3], s14, v58
	v_addc_co_u32_e64 v35, s[2:3], v35, v59, s[2:3]
	global_store_dword v[34:35], v56, off
	v_add_f32_e32 v34, v39, v36
	v_cndmask_b32_e32 v39, v39, v34, vcc
	s_or_b64 exec, exec, s[6:7]
	s_add_i32 s25, s25, 1
	s_cmp_ge_i32 s25, s8
	s_cbranch_scc1 .LBB370_9
.LBB370_29:                             ;   in Loop: Header=BB370_10 Depth=1
	v_ashrrev_i32_e32 v34, 31, v32
	s_waitcnt lgkmcnt(0)
	v_lshrrev_b32_e32 v35, 29, v34
	v_add_u32_e32 v36, v32, v35
	v_ashrrev_i32_e32 v35, 3, v36
	v_ashrrev_i32_e32 v36, 31, v36
	v_lshrrev_b32_e32 v36, 27, v36
	v_add_u32_e32 v36, v35, v36
	v_and_b32_e32 v36, 0xffffffe0, v36
	v_sub_u32_e32 v36, v35, v36
	v_cmp_eq_u32_e64 s[2:3], v37, v36
	s_and_saveexec_b64 s[4:5], s[2:3]
	s_cbranch_execz .LBB370_8
; %bb.30:                               ;   in Loop: Header=BB370_10 Depth=1
	v_add_u32_sdwa v34, v32, v34 dst_sel:DWORD dst_unused:UNUSED_PAD src0_sel:DWORD src1_sel:BYTE_3
	v_lshlrev_b32_e32 v35, 3, v35
	v_ashrrev_i32_e32 v34, 8, v34
	v_sub_u32_e32 v32, v32, v35
	v_lshl_add_u32 v32, v34, 3, v32
	v_cmp_ne_u32_e64 s[2:3], 15, v32
	v_cndmask_b32_e64 v31, v55, v31, s[2:3]
	v_cmp_ne_u32_e64 s[2:3], 14, v32
	v_cndmask_b32_e64 v30, v55, v30, s[2:3]
	;; [unrolled: 2-line block ×16, first 2 shown]
	s_branch .LBB370_8
.LBB370_31:
                                        ; implicit-def: $vgpr16_vgpr17_vgpr18_vgpr19_vgpr20_vgpr21_vgpr22_vgpr23_vgpr24_vgpr25_vgpr26_vgpr27_vgpr28_vgpr29_vgpr30_vgpr31
	s_andn2_b64 vcc, exec, s[6:7]
	s_cbranch_vccz .LBB370_5
	s_branch .LBB370_6
.LBB370_32:
	v_mov_b32_e32 v39, 0
.LBB370_33:
	v_cmp_eq_u32_e64 s[0:1], 0, v37
	s_and_b64 s[0:1], s[0:1], vcc
	s_and_b64 exec, exec, s[0:1]
	s_cbranch_execz .LBB370_42
; %bb.34:
	s_andn2_b64 vcc, exec, s[20:21]
	s_cbranch_vccnz .LBB370_42
; %bb.35:
	v_cmp_lt_f32_e32 vcc, 0, v39
	s_mov_b32 s2, 0
	v_cndmask_b32_e32 v0, 1.0, v39, vcc
	v_mul_lo_u32 v4, v33, s8
	s_cmp_eq_u32 s8, 1
	s_mov_b64 s[0:1], -1
	s_cbranch_scc1 .LBB370_39
; %bb.36:
	s_and_b32 s2, s8, 0x7ffffffe
	v_mov_b32_e32 v1, v0
	v_mov_b32_e32 v5, s17
	s_mov_b32 s3, s2
	v_mov_b32_e32 v2, v4
.LBB370_37:                             ; =>This Inner Loop Header: Depth=1
	v_ashrrev_i32_e32 v3, 31, v2
	v_lshlrev_b64 v[6:7], 2, v[2:3]
	v_add_co_u32_e32 v6, vcc, s16, v6
	v_addc_co_u32_e32 v7, vcc, v5, v7, vcc
	global_load_dwordx2 v[8:9], v[6:7], off
	s_add_i32 s3, s3, -2
	s_cmp_lg_u32 s3, 0
	v_add_u32_e32 v2, 2, v2
	s_waitcnt vmcnt(0)
	v_div_scale_f32 v3, s[0:1], v1, v1, v9
	v_div_scale_f32 v11, s[0:1], v0, v0, v8
	v_rcp_f32_e32 v12, v3
	v_rcp_f32_e32 v13, v11
	v_div_scale_f32 v10, vcc, v9, v1, v9
	v_fma_f32 v15, -v3, v12, 1.0
	v_fma_f32 v16, -v11, v13, 1.0
	v_fmac_f32_e32 v12, v15, v12
	v_div_scale_f32 v14, s[0:1], v8, v0, v8
	v_fmac_f32_e32 v13, v16, v13
	v_mul_f32_e32 v15, v10, v12
	v_mul_f32_e32 v16, v14, v13
	v_fma_f32 v17, -v3, v15, v10
	v_fma_f32 v18, -v11, v16, v14
	v_fmac_f32_e32 v15, v17, v12
	v_fmac_f32_e32 v16, v18, v13
	v_fma_f32 v3, -v3, v15, v10
	v_fma_f32 v10, -v11, v16, v14
	v_div_fmas_f32 v3, v3, v12, v15
	s_mov_b64 vcc, s[0:1]
	v_div_fixup_f32 v9, v3, v1, v9
	v_div_fmas_f32 v3, v10, v13, v16
	v_div_fixup_f32 v8, v3, v0, v8
	global_store_dwordx2 v[6:7], v[8:9], off
	s_cbranch_scc1 .LBB370_37
; %bb.38:
	s_cmp_lg_u32 s2, s8
	s_cselect_b64 s[0:1], -1, 0
.LBB370_39:
	s_and_b64 vcc, exec, s[0:1]
	s_cbranch_vccz .LBB370_42
; %bb.40:
	v_ashrrev_i32_e32 v1, 31, v4
	v_add_co_u32_e32 v2, vcc, s2, v4
	v_addc_co_u32_e32 v3, vcc, 0, v1, vcc
	v_lshlrev_b64 v[2:3], 2, v[2:3]
	v_mov_b32_e32 v1, s17
	v_add_co_u32_e32 v2, vcc, s16, v2
	s_sub_i32 s0, s8, s2
	v_addc_co_u32_e32 v3, vcc, v1, v3, vcc
.LBB370_41:                             ; =>This Inner Loop Header: Depth=1
	global_load_dword v1, v[2:3], off
	s_add_i32 s0, s0, -1
	s_cmp_lg_u32 s0, 0
	s_waitcnt vmcnt(0)
	v_div_scale_f32 v4, s[2:3], v0, v0, v1
	v_rcp_f32_e32 v5, v4
	v_div_scale_f32 v6, vcc, v1, v0, v1
	v_fma_f32 v7, -v4, v5, 1.0
	v_fmac_f32_e32 v5, v7, v5
	v_mul_f32_e32 v7, v6, v5
	v_fma_f32 v8, -v4, v7, v6
	v_fmac_f32_e32 v7, v8, v5
	v_fma_f32 v4, -v4, v7, v6
	v_div_fmas_f32 v4, v4, v5, v7
	v_div_fixup_f32 v1, v4, v0, v1
	global_store_dword v[2:3], v1, off
	v_add_co_u32_e32 v2, vcc, 4, v2
	v_addc_co_u32_e32 v3, vcc, 0, v3, vcc
	s_cbranch_scc1 .LBB370_41
.LBB370_42:
	s_endpgm
	.section	.rodata,"a",@progbits
	.p2align	6, 0x0
	.amdhsa_kernel _ZN4vllm3moe10topkGatingILi16ELi512ELi4ELi16ELi32El14__hip_bfloat16LNS0_11ScoringFuncE1EEEvPKT5_PKbPfiPT4_PiiiibPKf
		.amdhsa_group_segment_fixed_size 0
		.amdhsa_private_segment_fixed_size 0
		.amdhsa_kernarg_size 72
		.amdhsa_user_sgpr_count 6
		.amdhsa_user_sgpr_private_segment_buffer 1
		.amdhsa_user_sgpr_dispatch_ptr 0
		.amdhsa_user_sgpr_queue_ptr 0
		.amdhsa_user_sgpr_kernarg_segment_ptr 1
		.amdhsa_user_sgpr_dispatch_id 0
		.amdhsa_user_sgpr_flat_scratch_init 0
		.amdhsa_user_sgpr_kernarg_preload_length 0
		.amdhsa_user_sgpr_kernarg_preload_offset 0
		.amdhsa_user_sgpr_private_segment_size 0
		.amdhsa_uses_dynamic_stack 0
		.amdhsa_system_sgpr_private_segment_wavefront_offset 0
		.amdhsa_system_sgpr_workgroup_id_x 1
		.amdhsa_system_sgpr_workgroup_id_y 0
		.amdhsa_system_sgpr_workgroup_id_z 0
		.amdhsa_system_sgpr_workgroup_info 0
		.amdhsa_system_vgpr_workitem_id 1
		.amdhsa_next_free_vgpr 62
		.amdhsa_next_free_sgpr 26
		.amdhsa_accum_offset 64
		.amdhsa_reserve_vcc 1
		.amdhsa_reserve_flat_scratch 0
		.amdhsa_float_round_mode_32 0
		.amdhsa_float_round_mode_16_64 0
		.amdhsa_float_denorm_mode_32 3
		.amdhsa_float_denorm_mode_16_64 3
		.amdhsa_dx10_clamp 1
		.amdhsa_ieee_mode 1
		.amdhsa_fp16_overflow 0
		.amdhsa_tg_split 0
		.amdhsa_exception_fp_ieee_invalid_op 0
		.amdhsa_exception_fp_denorm_src 0
		.amdhsa_exception_fp_ieee_div_zero 0
		.amdhsa_exception_fp_ieee_overflow 0
		.amdhsa_exception_fp_ieee_underflow 0
		.amdhsa_exception_fp_ieee_inexact 0
		.amdhsa_exception_int_div_zero 0
	.end_amdhsa_kernel
	.section	.text._ZN4vllm3moe10topkGatingILi16ELi512ELi4ELi16ELi32El14__hip_bfloat16LNS0_11ScoringFuncE1EEEvPKT5_PKbPfiPT4_PiiiibPKf,"axG",@progbits,_ZN4vllm3moe10topkGatingILi16ELi512ELi4ELi16ELi32El14__hip_bfloat16LNS0_11ScoringFuncE1EEEvPKT5_PKbPfiPT4_PiiiibPKf,comdat
.Lfunc_end370:
	.size	_ZN4vllm3moe10topkGatingILi16ELi512ELi4ELi16ELi32El14__hip_bfloat16LNS0_11ScoringFuncE1EEEvPKT5_PKbPfiPT4_PiiiibPKf, .Lfunc_end370-_ZN4vllm3moe10topkGatingILi16ELi512ELi4ELi16ELi32El14__hip_bfloat16LNS0_11ScoringFuncE1EEEvPKT5_PKbPfiPT4_PiiiibPKf
                                        ; -- End function
	.section	.AMDGPU.csdata,"",@progbits
; Kernel info:
; codeLenInByte = 4572
; NumSgprs: 30
; NumVgprs: 62
; NumAgprs: 0
; TotalNumVgprs: 62
; ScratchSize: 0
; MemoryBound: 0
; FloatMode: 240
; IeeeMode: 1
; LDSByteSize: 0 bytes/workgroup (compile time only)
; SGPRBlocks: 3
; VGPRBlocks: 7
; NumSGPRsForWavesPerEU: 30
; NumVGPRsForWavesPerEU: 62
; AccumOffset: 64
; Occupancy: 8
; WaveLimiterHint : 1
; COMPUTE_PGM_RSRC2:SCRATCH_EN: 0
; COMPUTE_PGM_RSRC2:USER_SGPR: 6
; COMPUTE_PGM_RSRC2:TRAP_HANDLER: 0
; COMPUTE_PGM_RSRC2:TGID_X_EN: 1
; COMPUTE_PGM_RSRC2:TGID_Y_EN: 0
; COMPUTE_PGM_RSRC2:TGID_Z_EN: 0
; COMPUTE_PGM_RSRC2:TIDIG_COMP_CNT: 1
; COMPUTE_PGM_RSRC3_GFX90A:ACCUM_OFFSET: 15
; COMPUTE_PGM_RSRC3_GFX90A:TG_SPLIT: 0
	.text
	.p2alignl 6, 3212836864
	.fill 256, 4, 3212836864
	.type	__const.__assert_fail.fmt,@object ; @__const.__assert_fail.fmt
	.section	.rodata.str1.16,"aMS",@progbits,1
	.p2align	4, 0x0
__const.__assert_fail.fmt:
	.asciz	"%s:%u: %s: Device-side assertion `%s' failed.\n"
	.size	__const.__assert_fail.fmt, 47

	.type	.str.1,@object                  ; @.str.1
	.section	.rodata.str1.1,"aMS",@progbits,1
.str.1:
	.asciz	"indices[idx] >= 0"
	.size	.str.1, 18

	.type	.str.2,@object                  ; @.str.2
.str.2:
	.asciz	"/root/src/amdgpu-assembly/repos/vllm-project__vllm/csrc/libtorch_stable/moe/topk_softmax_kernels.hip"
	.size	.str.2, 101

	.type	__PRETTY_FUNCTION__._ZN4vllm3moe7moeTopKILi256EiEEvPKfPKbPfPT0_PiiiiibS3_,@object ; @__PRETTY_FUNCTION__._ZN4vllm3moe7moeTopKILi256EiEEvPKfPKbPfPT0_PiiiiibS3_
__PRETTY_FUNCTION__._ZN4vllm3moe7moeTopKILi256EiEEvPKfPKbPfPT0_PiiiiibS3_:
	.asciz	"void vllm::moe::moeTopK(const float *, const bool *, float *, IndType *, int *, const int, const int, const int, const int, const bool, const float *) [TPB = 256, IndType = int]"
	.size	__PRETTY_FUNCTION__._ZN4vllm3moe7moeTopKILi256EiEEvPKfPKbPfPT0_PiiiiibS3_, 178

	.type	__PRETTY_FUNCTION__._ZN4vllm3moe7moeTopKILi256ElEEvPKfPKbPfPT0_PiiiiibS3_,@object ; @__PRETTY_FUNCTION__._ZN4vllm3moe7moeTopKILi256ElEEvPKfPKbPfPT0_PiiiiibS3_
__PRETTY_FUNCTION__._ZN4vllm3moe7moeTopKILi256ElEEvPKfPKbPfPT0_PiiiiibS3_:
	.asciz	"void vllm::moe::moeTopK(const float *, const bool *, float *, IndType *, int *, const int, const int, const int, const int, const bool, const float *) [TPB = 256, IndType = long]"
	.size	__PRETTY_FUNCTION__._ZN4vllm3moe7moeTopKILi256ElEEvPKfPKbPfPT0_PiiiiibS3_, 179

	.type	__hip_cuid_90e26dd3fb461d9,@object ; @__hip_cuid_90e26dd3fb461d9
	.section	.bss,"aw",@nobits
	.globl	__hip_cuid_90e26dd3fb461d9
__hip_cuid_90e26dd3fb461d9:
	.byte	0                               ; 0x0
	.size	__hip_cuid_90e26dd3fb461d9, 1

	.ident	"AMD clang version 19.0.0git (https://github.com/RadeonOpenCompute/llvm-project roc-6.4.0 25133 c7fe45cf4b819c5991fe208aaa96edf142730f1d)"
	.section	".note.GNU-stack","",@progbits
	.addrsig
	.addrsig_sym __hip_cuid_90e26dd3fb461d9
	.amdgpu_metadata
---
amdhsa.kernels:
  - .agpr_count:     0
    .args:
      - .address_space:  global
        .offset:         0
        .size:           8
        .value_kind:     global_buffer
      - .address_space:  global
        .offset:         8
        .size:           8
        .value_kind:     global_buffer
      - .address_space:  global
        .offset:         16
        .size:           8
        .value_kind:     global_buffer
      - .offset:         24
        .size:           4
        .value_kind:     by_value
      - .address_space:  global
        .offset:         32
        .size:           8
        .value_kind:     global_buffer
      - .address_space:  global
        .offset:         40
        .size:           8
        .value_kind:     global_buffer
      - .offset:         48
        .size:           4
        .value_kind:     by_value
      - .offset:         52
        .size:           4
        .value_kind:     by_value
      - .offset:         56
        .size:           4
        .value_kind:     by_value
      - .offset:         60
        .size:           1
        .value_kind:     by_value
      - .address_space:  global
        .offset:         64
        .size:           8
        .value_kind:     global_buffer
    .group_segment_fixed_size: 0
    .kernarg_segment_align: 8
    .kernarg_segment_size: 72
    .language:       OpenCL C
    .language_version:
      - 2
      - 0
    .max_flat_workgroup_size: 256
    .name:           _ZN4vllm3moe10topkGatingILi1ELi1ELi4ELi4ELi64EifLNS0_11ScoringFuncE0EEEvPKT5_PKbPfiPT4_PiiiibPKf
    .private_segment_fixed_size: 0
    .sgpr_count:     27
    .sgpr_spill_count: 0
    .symbol:         _ZN4vllm3moe10topkGatingILi1ELi1ELi4ELi4ELi64EifLNS0_11ScoringFuncE0EEEvPKT5_PKbPfiPT4_PiiiibPKf.kd
    .uniform_work_group_size: 1
    .uses_dynamic_stack: false
    .vgpr_count:     19
    .vgpr_spill_count: 0
    .wavefront_size: 64
  - .agpr_count:     0
    .args:
      - .address_space:  global
        .offset:         0
        .size:           8
        .value_kind:     global_buffer
      - .address_space:  global
        .offset:         8
        .size:           8
        .value_kind:     global_buffer
      - .address_space:  global
        .offset:         16
        .size:           8
        .value_kind:     global_buffer
      - .offset:         24
        .size:           4
        .value_kind:     by_value
      - .address_space:  global
        .offset:         32
        .size:           8
        .value_kind:     global_buffer
      - .address_space:  global
        .offset:         40
        .size:           8
        .value_kind:     global_buffer
      - .offset:         48
        .size:           4
        .value_kind:     by_value
      - .offset:         52
        .size:           4
        .value_kind:     by_value
      - .offset:         56
        .size:           4
        .value_kind:     by_value
      - .offset:         60
        .size:           1
        .value_kind:     by_value
      - .address_space:  global
        .offset:         64
        .size:           8
        .value_kind:     global_buffer
    .group_segment_fixed_size: 0
    .kernarg_segment_align: 8
    .kernarg_segment_size: 72
    .language:       OpenCL C
    .language_version:
      - 2
      - 0
    .max_flat_workgroup_size: 128
    .name:           _ZN4vllm3moe10topkGatingILi1ELi1ELi4ELi4ELi32EifLNS0_11ScoringFuncE0EEEvPKT5_PKbPfiPT4_PiiiibPKf
    .private_segment_fixed_size: 0
    .sgpr_count:     27
    .sgpr_spill_count: 0
    .symbol:         _ZN4vllm3moe10topkGatingILi1ELi1ELi4ELi4ELi32EifLNS0_11ScoringFuncE0EEEvPKT5_PKbPfiPT4_PiiiibPKf.kd
    .uniform_work_group_size: 1
    .uses_dynamic_stack: false
    .vgpr_count:     19
    .vgpr_spill_count: 0
    .wavefront_size: 64
  - .agpr_count:     0
    .args:
      - .address_space:  global
        .offset:         0
        .size:           8
        .value_kind:     global_buffer
      - .address_space:  global
        .offset:         8
        .size:           8
        .value_kind:     global_buffer
      - .address_space:  global
        .offset:         16
        .size:           8
        .value_kind:     global_buffer
      - .offset:         24
        .size:           4
        .value_kind:     by_value
      - .address_space:  global
        .offset:         32
        .size:           8
        .value_kind:     global_buffer
      - .address_space:  global
        .offset:         40
        .size:           8
        .value_kind:     global_buffer
      - .offset:         48
        .size:           4
        .value_kind:     by_value
      - .offset:         52
        .size:           4
        .value_kind:     by_value
      - .offset:         56
        .size:           4
        .value_kind:     by_value
      - .offset:         60
        .size:           1
        .value_kind:     by_value
      - .address_space:  global
        .offset:         64
        .size:           8
        .value_kind:     global_buffer
    .group_segment_fixed_size: 0
    .kernarg_segment_align: 8
    .kernarg_segment_size: 72
    .language:       OpenCL C
    .language_version:
      - 2
      - 0
    .max_flat_workgroup_size: 256
    .name:           _ZN4vllm3moe10topkGatingILi2ELi2ELi4ELi8ELi64EifLNS0_11ScoringFuncE0EEEvPKT5_PKbPfiPT4_PiiiibPKf
    .private_segment_fixed_size: 0
    .sgpr_count:     28
    .sgpr_spill_count: 0
    .symbol:         _ZN4vllm3moe10topkGatingILi2ELi2ELi4ELi8ELi64EifLNS0_11ScoringFuncE0EEEvPKT5_PKbPfiPT4_PiiiibPKf.kd
    .uniform_work_group_size: 1
    .uses_dynamic_stack: false
    .vgpr_count:     19
    .vgpr_spill_count: 0
    .wavefront_size: 64
  - .agpr_count:     0
    .args:
      - .address_space:  global
        .offset:         0
        .size:           8
        .value_kind:     global_buffer
      - .address_space:  global
        .offset:         8
        .size:           8
        .value_kind:     global_buffer
      - .address_space:  global
        .offset:         16
        .size:           8
        .value_kind:     global_buffer
      - .offset:         24
        .size:           4
        .value_kind:     by_value
      - .address_space:  global
        .offset:         32
        .size:           8
        .value_kind:     global_buffer
      - .address_space:  global
        .offset:         40
        .size:           8
        .value_kind:     global_buffer
      - .offset:         48
        .size:           4
        .value_kind:     by_value
      - .offset:         52
        .size:           4
        .value_kind:     by_value
      - .offset:         56
        .size:           4
        .value_kind:     by_value
      - .offset:         60
        .size:           1
        .value_kind:     by_value
      - .address_space:  global
        .offset:         64
        .size:           8
        .value_kind:     global_buffer
    .group_segment_fixed_size: 0
    .kernarg_segment_align: 8
    .kernarg_segment_size: 72
    .language:       OpenCL C
    .language_version:
      - 2
      - 0
    .max_flat_workgroup_size: 128
    .name:           _ZN4vllm3moe10topkGatingILi2ELi2ELi4ELi8ELi32EifLNS0_11ScoringFuncE0EEEvPKT5_PKbPfiPT4_PiiiibPKf
    .private_segment_fixed_size: 0
    .sgpr_count:     28
    .sgpr_spill_count: 0
    .symbol:         _ZN4vllm3moe10topkGatingILi2ELi2ELi4ELi8ELi32EifLNS0_11ScoringFuncE0EEEvPKT5_PKbPfiPT4_PiiiibPKf.kd
    .uniform_work_group_size: 1
    .uses_dynamic_stack: false
    .vgpr_count:     19
    .vgpr_spill_count: 0
    .wavefront_size: 64
  - .agpr_count:     0
    .args:
      - .address_space:  global
        .offset:         0
        .size:           8
        .value_kind:     global_buffer
      - .address_space:  global
        .offset:         8
        .size:           8
        .value_kind:     global_buffer
      - .address_space:  global
        .offset:         16
        .size:           8
        .value_kind:     global_buffer
      - .offset:         24
        .size:           4
        .value_kind:     by_value
      - .address_space:  global
        .offset:         32
        .size:           8
        .value_kind:     global_buffer
      - .address_space:  global
        .offset:         40
        .size:           8
        .value_kind:     global_buffer
      - .offset:         48
        .size:           4
        .value_kind:     by_value
      - .offset:         52
        .size:           4
        .value_kind:     by_value
      - .offset:         56
        .size:           4
        .value_kind:     by_value
      - .offset:         60
        .size:           1
        .value_kind:     by_value
      - .address_space:  global
        .offset:         64
        .size:           8
        .value_kind:     global_buffer
    .group_segment_fixed_size: 0
    .kernarg_segment_align: 8
    .kernarg_segment_size: 72
    .language:       OpenCL C
    .language_version:
      - 2
      - 0
    .max_flat_workgroup_size: 256
    .name:           _ZN4vllm3moe10topkGatingILi4ELi4ELi4ELi16ELi64EifLNS0_11ScoringFuncE0EEEvPKT5_PKbPfiPT4_PiiiibPKf
    .private_segment_fixed_size: 0
    .sgpr_count:     28
    .sgpr_spill_count: 0
    .symbol:         _ZN4vllm3moe10topkGatingILi4ELi4ELi4ELi16ELi64EifLNS0_11ScoringFuncE0EEEvPKT5_PKbPfiPT4_PiiiibPKf.kd
    .uniform_work_group_size: 1
    .uses_dynamic_stack: false
    .vgpr_count:     22
    .vgpr_spill_count: 0
    .wavefront_size: 64
  - .agpr_count:     0
    .args:
      - .address_space:  global
        .offset:         0
        .size:           8
        .value_kind:     global_buffer
      - .address_space:  global
        .offset:         8
        .size:           8
        .value_kind:     global_buffer
      - .address_space:  global
        .offset:         16
        .size:           8
        .value_kind:     global_buffer
      - .offset:         24
        .size:           4
        .value_kind:     by_value
      - .address_space:  global
        .offset:         32
        .size:           8
        .value_kind:     global_buffer
      - .address_space:  global
        .offset:         40
        .size:           8
        .value_kind:     global_buffer
      - .offset:         48
        .size:           4
        .value_kind:     by_value
      - .offset:         52
        .size:           4
        .value_kind:     by_value
      - .offset:         56
        .size:           4
        .value_kind:     by_value
      - .offset:         60
        .size:           1
        .value_kind:     by_value
      - .address_space:  global
        .offset:         64
        .size:           8
        .value_kind:     global_buffer
    .group_segment_fixed_size: 0
    .kernarg_segment_align: 8
    .kernarg_segment_size: 72
    .language:       OpenCL C
    .language_version:
      - 2
      - 0
    .max_flat_workgroup_size: 128
    .name:           _ZN4vllm3moe10topkGatingILi4ELi4ELi4ELi16ELi32EifLNS0_11ScoringFuncE0EEEvPKT5_PKbPfiPT4_PiiiibPKf
    .private_segment_fixed_size: 0
    .sgpr_count:     28
    .sgpr_spill_count: 0
    .symbol:         _ZN4vllm3moe10topkGatingILi4ELi4ELi4ELi16ELi32EifLNS0_11ScoringFuncE0EEEvPKT5_PKbPfiPT4_PiiiibPKf.kd
    .uniform_work_group_size: 1
    .uses_dynamic_stack: false
    .vgpr_count:     22
    .vgpr_spill_count: 0
    .wavefront_size: 64
  - .agpr_count:     0
    .args:
      - .address_space:  global
        .offset:         0
        .size:           8
        .value_kind:     global_buffer
      - .address_space:  global
        .offset:         8
        .size:           8
        .value_kind:     global_buffer
      - .address_space:  global
        .offset:         16
        .size:           8
        .value_kind:     global_buffer
      - .offset:         24
        .size:           4
        .value_kind:     by_value
      - .address_space:  global
        .offset:         32
        .size:           8
        .value_kind:     global_buffer
      - .address_space:  global
        .offset:         40
        .size:           8
        .value_kind:     global_buffer
      - .offset:         48
        .size:           4
        .value_kind:     by_value
      - .offset:         52
        .size:           4
        .value_kind:     by_value
      - .offset:         56
        .size:           4
        .value_kind:     by_value
      - .offset:         60
        .size:           1
        .value_kind:     by_value
      - .address_space:  global
        .offset:         64
        .size:           8
        .value_kind:     global_buffer
    .group_segment_fixed_size: 0
    .kernarg_segment_align: 8
    .kernarg_segment_size: 72
    .language:       OpenCL C
    .language_version:
      - 2
      - 0
    .max_flat_workgroup_size: 256
    .name:           _ZN4vllm3moe10topkGatingILi4ELi8ELi4ELi16ELi64EifLNS0_11ScoringFuncE0EEEvPKT5_PKbPfiPT4_PiiiibPKf
    .private_segment_fixed_size: 0
    .sgpr_count:     30
    .sgpr_spill_count: 0
    .symbol:         _ZN4vllm3moe10topkGatingILi4ELi8ELi4ELi16ELi64EifLNS0_11ScoringFuncE0EEEvPKT5_PKbPfiPT4_PiiiibPKf.kd
    .uniform_work_group_size: 1
    .uses_dynamic_stack: false
    .vgpr_count:     23
    .vgpr_spill_count: 0
    .wavefront_size: 64
  - .agpr_count:     0
    .args:
      - .address_space:  global
        .offset:         0
        .size:           8
        .value_kind:     global_buffer
      - .address_space:  global
        .offset:         8
        .size:           8
        .value_kind:     global_buffer
      - .address_space:  global
        .offset:         16
        .size:           8
        .value_kind:     global_buffer
      - .offset:         24
        .size:           4
        .value_kind:     by_value
      - .address_space:  global
        .offset:         32
        .size:           8
        .value_kind:     global_buffer
      - .address_space:  global
        .offset:         40
        .size:           8
        .value_kind:     global_buffer
      - .offset:         48
        .size:           4
        .value_kind:     by_value
      - .offset:         52
        .size:           4
        .value_kind:     by_value
      - .offset:         56
        .size:           4
        .value_kind:     by_value
      - .offset:         60
        .size:           1
        .value_kind:     by_value
      - .address_space:  global
        .offset:         64
        .size:           8
        .value_kind:     global_buffer
    .group_segment_fixed_size: 0
    .kernarg_segment_align: 8
    .kernarg_segment_size: 72
    .language:       OpenCL C
    .language_version:
      - 2
      - 0
    .max_flat_workgroup_size: 128
    .name:           _ZN4vllm3moe10topkGatingILi4ELi8ELi4ELi16ELi32EifLNS0_11ScoringFuncE0EEEvPKT5_PKbPfiPT4_PiiiibPKf
    .private_segment_fixed_size: 0
    .sgpr_count:     30
    .sgpr_spill_count: 0
    .symbol:         _ZN4vllm3moe10topkGatingILi4ELi8ELi4ELi16ELi32EifLNS0_11ScoringFuncE0EEEvPKT5_PKbPfiPT4_PiiiibPKf.kd
    .uniform_work_group_size: 1
    .uses_dynamic_stack: false
    .vgpr_count:     23
    .vgpr_spill_count: 0
    .wavefront_size: 64
  - .agpr_count:     0
    .args:
      - .address_space:  global
        .offset:         0
        .size:           8
        .value_kind:     global_buffer
      - .address_space:  global
        .offset:         8
        .size:           8
        .value_kind:     global_buffer
      - .address_space:  global
        .offset:         16
        .size:           8
        .value_kind:     global_buffer
      - .offset:         24
        .size:           4
        .value_kind:     by_value
      - .address_space:  global
        .offset:         32
        .size:           8
        .value_kind:     global_buffer
      - .address_space:  global
        .offset:         40
        .size:           8
        .value_kind:     global_buffer
      - .offset:         48
        .size:           4
        .value_kind:     by_value
      - .offset:         52
        .size:           4
        .value_kind:     by_value
      - .offset:         56
        .size:           4
        .value_kind:     by_value
      - .offset:         60
        .size:           1
        .value_kind:     by_value
      - .address_space:  global
        .offset:         64
        .size:           8
        .value_kind:     global_buffer
    .group_segment_fixed_size: 0
    .kernarg_segment_align: 8
    .kernarg_segment_size: 72
    .language:       OpenCL C
    .language_version:
      - 2
      - 0
    .max_flat_workgroup_size: 256
    .name:           _ZN4vllm3moe10topkGatingILi4ELi16ELi4ELi16ELi64EifLNS0_11ScoringFuncE0EEEvPKT5_PKbPfiPT4_PiiiibPKf
    .private_segment_fixed_size: 0
    .sgpr_count:     28
    .sgpr_spill_count: 0
    .symbol:         _ZN4vllm3moe10topkGatingILi4ELi16ELi4ELi16ELi64EifLNS0_11ScoringFuncE0EEEvPKT5_PKbPfiPT4_PiiiibPKf.kd
    .uniform_work_group_size: 1
    .uses_dynamic_stack: false
    .vgpr_count:     24
    .vgpr_spill_count: 0
    .wavefront_size: 64
  - .agpr_count:     0
    .args:
      - .address_space:  global
        .offset:         0
        .size:           8
        .value_kind:     global_buffer
      - .address_space:  global
        .offset:         8
        .size:           8
        .value_kind:     global_buffer
      - .address_space:  global
        .offset:         16
        .size:           8
        .value_kind:     global_buffer
      - .offset:         24
        .size:           4
        .value_kind:     by_value
      - .address_space:  global
        .offset:         32
        .size:           8
        .value_kind:     global_buffer
      - .address_space:  global
        .offset:         40
        .size:           8
        .value_kind:     global_buffer
      - .offset:         48
        .size:           4
        .value_kind:     by_value
      - .offset:         52
        .size:           4
        .value_kind:     by_value
      - .offset:         56
        .size:           4
        .value_kind:     by_value
      - .offset:         60
        .size:           1
        .value_kind:     by_value
      - .address_space:  global
        .offset:         64
        .size:           8
        .value_kind:     global_buffer
    .group_segment_fixed_size: 0
    .kernarg_segment_align: 8
    .kernarg_segment_size: 72
    .language:       OpenCL C
    .language_version:
      - 2
      - 0
    .max_flat_workgroup_size: 128
    .name:           _ZN4vllm3moe10topkGatingILi4ELi16ELi4ELi16ELi32EifLNS0_11ScoringFuncE0EEEvPKT5_PKbPfiPT4_PiiiibPKf
    .private_segment_fixed_size: 0
    .sgpr_count:     28
    .sgpr_spill_count: 0
    .symbol:         _ZN4vllm3moe10topkGatingILi4ELi16ELi4ELi16ELi32EifLNS0_11ScoringFuncE0EEEvPKT5_PKbPfiPT4_PiiiibPKf.kd
    .uniform_work_group_size: 1
    .uses_dynamic_stack: false
    .vgpr_count:     24
    .vgpr_spill_count: 0
    .wavefront_size: 64
  - .agpr_count:     0
    .args:
      - .address_space:  global
        .offset:         0
        .size:           8
        .value_kind:     global_buffer
      - .address_space:  global
        .offset:         8
        .size:           8
        .value_kind:     global_buffer
      - .address_space:  global
        .offset:         16
        .size:           8
        .value_kind:     global_buffer
      - .offset:         24
        .size:           4
        .value_kind:     by_value
      - .address_space:  global
        .offset:         32
        .size:           8
        .value_kind:     global_buffer
      - .address_space:  global
        .offset:         40
        .size:           8
        .value_kind:     global_buffer
      - .offset:         48
        .size:           4
        .value_kind:     by_value
      - .offset:         52
        .size:           4
        .value_kind:     by_value
      - .offset:         56
        .size:           4
        .value_kind:     by_value
      - .offset:         60
        .size:           1
        .value_kind:     by_value
      - .address_space:  global
        .offset:         64
        .size:           8
        .value_kind:     global_buffer
    .group_segment_fixed_size: 0
    .kernarg_segment_align: 8
    .kernarg_segment_size: 72
    .language:       OpenCL C
    .language_version:
      - 2
      - 0
    .max_flat_workgroup_size: 256
    .name:           _ZN4vllm3moe10topkGatingILi4ELi32ELi4ELi16ELi64EifLNS0_11ScoringFuncE0EEEvPKT5_PKbPfiPT4_PiiiibPKf
    .private_segment_fixed_size: 0
    .sgpr_count:     30
    .sgpr_spill_count: 0
    .symbol:         _ZN4vllm3moe10topkGatingILi4ELi32ELi4ELi16ELi64EifLNS0_11ScoringFuncE0EEEvPKT5_PKbPfiPT4_PiiiibPKf.kd
    .uniform_work_group_size: 1
    .uses_dynamic_stack: false
    .vgpr_count:     26
    .vgpr_spill_count: 0
    .wavefront_size: 64
  - .agpr_count:     0
    .args:
      - .address_space:  global
        .offset:         0
        .size:           8
        .value_kind:     global_buffer
      - .address_space:  global
        .offset:         8
        .size:           8
        .value_kind:     global_buffer
      - .address_space:  global
        .offset:         16
        .size:           8
        .value_kind:     global_buffer
      - .offset:         24
        .size:           4
        .value_kind:     by_value
      - .address_space:  global
        .offset:         32
        .size:           8
        .value_kind:     global_buffer
      - .address_space:  global
        .offset:         40
        .size:           8
        .value_kind:     global_buffer
      - .offset:         48
        .size:           4
        .value_kind:     by_value
      - .offset:         52
        .size:           4
        .value_kind:     by_value
      - .offset:         56
        .size:           4
        .value_kind:     by_value
      - .offset:         60
        .size:           1
        .value_kind:     by_value
      - .address_space:  global
        .offset:         64
        .size:           8
        .value_kind:     global_buffer
    .group_segment_fixed_size: 0
    .kernarg_segment_align: 8
    .kernarg_segment_size: 72
    .language:       OpenCL C
    .language_version:
      - 2
      - 0
    .max_flat_workgroup_size: 128
    .name:           _ZN4vllm3moe10topkGatingILi4ELi32ELi4ELi16ELi32EifLNS0_11ScoringFuncE0EEEvPKT5_PKbPfiPT4_PiiiibPKf
    .private_segment_fixed_size: 0
    .sgpr_count:     30
    .sgpr_spill_count: 0
    .symbol:         _ZN4vllm3moe10topkGatingILi4ELi32ELi4ELi16ELi32EifLNS0_11ScoringFuncE0EEEvPKT5_PKbPfiPT4_PiiiibPKf.kd
    .uniform_work_group_size: 1
    .uses_dynamic_stack: false
    .vgpr_count:     26
    .vgpr_spill_count: 0
    .wavefront_size: 64
  - .agpr_count:     0
    .args:
      - .address_space:  global
        .offset:         0
        .size:           8
        .value_kind:     global_buffer
      - .address_space:  global
        .offset:         8
        .size:           8
        .value_kind:     global_buffer
      - .address_space:  global
        .offset:         16
        .size:           8
        .value_kind:     global_buffer
      - .offset:         24
        .size:           4
        .value_kind:     by_value
      - .address_space:  global
        .offset:         32
        .size:           8
        .value_kind:     global_buffer
      - .address_space:  global
        .offset:         40
        .size:           8
        .value_kind:     global_buffer
      - .offset:         48
        .size:           4
        .value_kind:     by_value
      - .offset:         52
        .size:           4
        .value_kind:     by_value
      - .offset:         56
        .size:           4
        .value_kind:     by_value
      - .offset:         60
        .size:           1
        .value_kind:     by_value
      - .address_space:  global
        .offset:         64
        .size:           8
        .value_kind:     global_buffer
    .group_segment_fixed_size: 0
    .kernarg_segment_align: 8
    .kernarg_segment_size: 72
    .language:       OpenCL C
    .language_version:
      - 2
      - 0
    .max_flat_workgroup_size: 256
    .name:           _ZN4vllm3moe10topkGatingILi4ELi64ELi4ELi16ELi64EifLNS0_11ScoringFuncE0EEEvPKT5_PKbPfiPT4_PiiiibPKf
    .private_segment_fixed_size: 0
    .sgpr_count:     30
    .sgpr_spill_count: 0
    .symbol:         _ZN4vllm3moe10topkGatingILi4ELi64ELi4ELi16ELi64EifLNS0_11ScoringFuncE0EEEvPKT5_PKbPfiPT4_PiiiibPKf.kd
    .uniform_work_group_size: 1
    .uses_dynamic_stack: false
    .vgpr_count:     27
    .vgpr_spill_count: 0
    .wavefront_size: 64
  - .agpr_count:     0
    .args:
      - .address_space:  global
        .offset:         0
        .size:           8
        .value_kind:     global_buffer
      - .address_space:  global
        .offset:         8
        .size:           8
        .value_kind:     global_buffer
      - .address_space:  global
        .offset:         16
        .size:           8
        .value_kind:     global_buffer
      - .offset:         24
        .size:           4
        .value_kind:     by_value
      - .address_space:  global
        .offset:         32
        .size:           8
        .value_kind:     global_buffer
      - .address_space:  global
        .offset:         40
        .size:           8
        .value_kind:     global_buffer
      - .offset:         48
        .size:           4
        .value_kind:     by_value
      - .offset:         52
        .size:           4
        .value_kind:     by_value
      - .offset:         56
        .size:           4
        .value_kind:     by_value
      - .offset:         60
        .size:           1
        .value_kind:     by_value
      - .address_space:  global
        .offset:         64
        .size:           8
        .value_kind:     global_buffer
    .group_segment_fixed_size: 0
    .kernarg_segment_align: 8
    .kernarg_segment_size: 72
    .language:       OpenCL C
    .language_version:
      - 2
      - 0
    .max_flat_workgroup_size: 128
    .name:           _ZN4vllm3moe10topkGatingILi4ELi64ELi4ELi16ELi32EifLNS0_11ScoringFuncE0EEEvPKT5_PKbPfiPT4_PiiiibPKf
    .private_segment_fixed_size: 0
    .sgpr_count:     30
    .sgpr_spill_count: 0
    .symbol:         _ZN4vllm3moe10topkGatingILi4ELi64ELi4ELi16ELi32EifLNS0_11ScoringFuncE0EEEvPKT5_PKbPfiPT4_PiiiibPKf.kd
    .uniform_work_group_size: 1
    .uses_dynamic_stack: false
    .vgpr_count:     27
    .vgpr_spill_count: 0
    .wavefront_size: 64
  - .agpr_count:     0
    .args:
      - .address_space:  global
        .offset:         0
        .size:           8
        .value_kind:     global_buffer
      - .address_space:  global
        .offset:         8
        .size:           8
        .value_kind:     global_buffer
      - .address_space:  global
        .offset:         16
        .size:           8
        .value_kind:     global_buffer
      - .offset:         24
        .size:           4
        .value_kind:     by_value
      - .address_space:  global
        .offset:         32
        .size:           8
        .value_kind:     global_buffer
      - .address_space:  global
        .offset:         40
        .size:           8
        .value_kind:     global_buffer
      - .offset:         48
        .size:           4
        .value_kind:     by_value
      - .offset:         52
        .size:           4
        .value_kind:     by_value
      - .offset:         56
        .size:           4
        .value_kind:     by_value
      - .offset:         60
        .size:           1
        .value_kind:     by_value
      - .address_space:  global
        .offset:         64
        .size:           8
        .value_kind:     global_buffer
    .group_segment_fixed_size: 0
    .kernarg_segment_align: 8
    .kernarg_segment_size: 72
    .language:       OpenCL C
    .language_version:
      - 2
      - 0
    .max_flat_workgroup_size: 256
    .name:           _ZN4vllm3moe10topkGatingILi4ELi128ELi4ELi16ELi64EifLNS0_11ScoringFuncE0EEEvPKT5_PKbPfiPT4_PiiiibPKf
    .private_segment_fixed_size: 0
    .sgpr_count:     30
    .sgpr_spill_count: 0
    .symbol:         _ZN4vllm3moe10topkGatingILi4ELi128ELi4ELi16ELi64EifLNS0_11ScoringFuncE0EEEvPKT5_PKbPfiPT4_PiiiibPKf.kd
    .uniform_work_group_size: 1
    .uses_dynamic_stack: false
    .vgpr_count:     29
    .vgpr_spill_count: 0
    .wavefront_size: 64
  - .agpr_count:     0
    .args:
      - .address_space:  global
        .offset:         0
        .size:           8
        .value_kind:     global_buffer
      - .address_space:  global
        .offset:         8
        .size:           8
        .value_kind:     global_buffer
      - .address_space:  global
        .offset:         16
        .size:           8
        .value_kind:     global_buffer
      - .offset:         24
        .size:           4
        .value_kind:     by_value
      - .address_space:  global
        .offset:         32
        .size:           8
        .value_kind:     global_buffer
      - .address_space:  global
        .offset:         40
        .size:           8
        .value_kind:     global_buffer
      - .offset:         48
        .size:           4
        .value_kind:     by_value
      - .offset:         52
        .size:           4
        .value_kind:     by_value
      - .offset:         56
        .size:           4
        .value_kind:     by_value
      - .offset:         60
        .size:           1
        .value_kind:     by_value
      - .address_space:  global
        .offset:         64
        .size:           8
        .value_kind:     global_buffer
    .group_segment_fixed_size: 0
    .kernarg_segment_align: 8
    .kernarg_segment_size: 72
    .language:       OpenCL C
    .language_version:
      - 2
      - 0
    .max_flat_workgroup_size: 128
    .name:           _ZN4vllm3moe10topkGatingILi4ELi128ELi4ELi16ELi32EifLNS0_11ScoringFuncE0EEEvPKT5_PKbPfiPT4_PiiiibPKf
    .private_segment_fixed_size: 0
    .sgpr_count:     30
    .sgpr_spill_count: 0
    .symbol:         _ZN4vllm3moe10topkGatingILi4ELi128ELi4ELi16ELi32EifLNS0_11ScoringFuncE0EEEvPKT5_PKbPfiPT4_PiiiibPKf.kd
    .uniform_work_group_size: 1
    .uses_dynamic_stack: false
    .vgpr_count:     29
    .vgpr_spill_count: 0
    .wavefront_size: 64
  - .agpr_count:     0
    .args:
      - .address_space:  global
        .offset:         0
        .size:           8
        .value_kind:     global_buffer
      - .address_space:  global
        .offset:         8
        .size:           8
        .value_kind:     global_buffer
      - .address_space:  global
        .offset:         16
        .size:           8
        .value_kind:     global_buffer
      - .offset:         24
        .size:           4
        .value_kind:     by_value
      - .address_space:  global
        .offset:         32
        .size:           8
        .value_kind:     global_buffer
      - .address_space:  global
        .offset:         40
        .size:           8
        .value_kind:     global_buffer
      - .offset:         48
        .size:           4
        .value_kind:     by_value
      - .offset:         52
        .size:           4
        .value_kind:     by_value
      - .offset:         56
        .size:           4
        .value_kind:     by_value
      - .offset:         60
        .size:           1
        .value_kind:     by_value
      - .address_space:  global
        .offset:         64
        .size:           8
        .value_kind:     global_buffer
    .group_segment_fixed_size: 0
    .kernarg_segment_align: 8
    .kernarg_segment_size: 72
    .language:       OpenCL C
    .language_version:
      - 2
      - 0
    .max_flat_workgroup_size: 256
    .name:           _ZN4vllm3moe10topkGatingILi4ELi256ELi4ELi16ELi64EifLNS0_11ScoringFuncE0EEEvPKT5_PKbPfiPT4_PiiiibPKf
    .private_segment_fixed_size: 0
    .sgpr_count:     30
    .sgpr_spill_count: 0
    .symbol:         _ZN4vllm3moe10topkGatingILi4ELi256ELi4ELi16ELi64EifLNS0_11ScoringFuncE0EEEvPKT5_PKbPfiPT4_PiiiibPKf.kd
    .uniform_work_group_size: 1
    .uses_dynamic_stack: false
    .vgpr_count:     30
    .vgpr_spill_count: 0
    .wavefront_size: 64
  - .agpr_count:     0
    .args:
      - .address_space:  global
        .offset:         0
        .size:           8
        .value_kind:     global_buffer
      - .address_space:  global
        .offset:         8
        .size:           8
        .value_kind:     global_buffer
      - .address_space:  global
        .offset:         16
        .size:           8
        .value_kind:     global_buffer
      - .offset:         24
        .size:           4
        .value_kind:     by_value
      - .address_space:  global
        .offset:         32
        .size:           8
        .value_kind:     global_buffer
      - .address_space:  global
        .offset:         40
        .size:           8
        .value_kind:     global_buffer
      - .offset:         48
        .size:           4
        .value_kind:     by_value
      - .offset:         52
        .size:           4
        .value_kind:     by_value
      - .offset:         56
        .size:           4
        .value_kind:     by_value
      - .offset:         60
        .size:           1
        .value_kind:     by_value
      - .address_space:  global
        .offset:         64
        .size:           8
        .value_kind:     global_buffer
    .group_segment_fixed_size: 0
    .kernarg_segment_align: 8
    .kernarg_segment_size: 72
    .language:       OpenCL C
    .language_version:
      - 2
      - 0
    .max_flat_workgroup_size: 128
    .name:           _ZN4vllm3moe10topkGatingILi8ELi256ELi4ELi16ELi32EifLNS0_11ScoringFuncE0EEEvPKT5_PKbPfiPT4_PiiiibPKf
    .private_segment_fixed_size: 0
    .sgpr_count:     30
    .sgpr_spill_count: 0
    .symbol:         _ZN4vllm3moe10topkGatingILi8ELi256ELi4ELi16ELi32EifLNS0_11ScoringFuncE0EEEvPKT5_PKbPfiPT4_PiiiibPKf.kd
    .uniform_work_group_size: 1
    .uses_dynamic_stack: false
    .vgpr_count:     41
    .vgpr_spill_count: 0
    .wavefront_size: 64
  - .agpr_count:     0
    .args:
      - .address_space:  global
        .offset:         0
        .size:           8
        .value_kind:     global_buffer
      - .address_space:  global
        .offset:         8
        .size:           8
        .value_kind:     global_buffer
      - .address_space:  global
        .offset:         16
        .size:           8
        .value_kind:     global_buffer
      - .offset:         24
        .size:           4
        .value_kind:     by_value
      - .address_space:  global
        .offset:         32
        .size:           8
        .value_kind:     global_buffer
      - .address_space:  global
        .offset:         40
        .size:           8
        .value_kind:     global_buffer
      - .offset:         48
        .size:           4
        .value_kind:     by_value
      - .offset:         52
        .size:           4
        .value_kind:     by_value
      - .offset:         56
        .size:           4
        .value_kind:     by_value
      - .offset:         60
        .size:           1
        .value_kind:     by_value
      - .address_space:  global
        .offset:         64
        .size:           8
        .value_kind:     global_buffer
    .group_segment_fixed_size: 0
    .kernarg_segment_align: 8
    .kernarg_segment_size: 72
    .language:       OpenCL C
    .language_version:
      - 2
      - 0
    .max_flat_workgroup_size: 256
    .name:           _ZN4vllm3moe10topkGatingILi8ELi512ELi4ELi16ELi64EifLNS0_11ScoringFuncE0EEEvPKT5_PKbPfiPT4_PiiiibPKf
    .private_segment_fixed_size: 0
    .sgpr_count:     30
    .sgpr_spill_count: 0
    .symbol:         _ZN4vllm3moe10topkGatingILi8ELi512ELi4ELi16ELi64EifLNS0_11ScoringFuncE0EEEvPKT5_PKbPfiPT4_PiiiibPKf.kd
    .uniform_work_group_size: 1
    .uses_dynamic_stack: false
    .vgpr_count:     42
    .vgpr_spill_count: 0
    .wavefront_size: 64
  - .agpr_count:     0
    .args:
      - .address_space:  global
        .offset:         0
        .size:           8
        .value_kind:     global_buffer
      - .address_space:  global
        .offset:         8
        .size:           8
        .value_kind:     global_buffer
      - .address_space:  global
        .offset:         16
        .size:           8
        .value_kind:     global_buffer
      - .offset:         24
        .size:           4
        .value_kind:     by_value
      - .address_space:  global
        .offset:         32
        .size:           8
        .value_kind:     global_buffer
      - .address_space:  global
        .offset:         40
        .size:           8
        .value_kind:     global_buffer
      - .offset:         48
        .size:           4
        .value_kind:     by_value
      - .offset:         52
        .size:           4
        .value_kind:     by_value
      - .offset:         56
        .size:           4
        .value_kind:     by_value
      - .offset:         60
        .size:           1
        .value_kind:     by_value
      - .address_space:  global
        .offset:         64
        .size:           8
        .value_kind:     global_buffer
    .group_segment_fixed_size: 0
    .kernarg_segment_align: 8
    .kernarg_segment_size: 72
    .language:       OpenCL C
    .language_version:
      - 2
      - 0
    .max_flat_workgroup_size: 128
    .name:           _ZN4vllm3moe10topkGatingILi16ELi512ELi4ELi16ELi32EifLNS0_11ScoringFuncE0EEEvPKT5_PKbPfiPT4_PiiiibPKf
    .private_segment_fixed_size: 0
    .sgpr_count:     30
    .sgpr_spill_count: 0
    .symbol:         _ZN4vllm3moe10topkGatingILi16ELi512ELi4ELi16ELi32EifLNS0_11ScoringFuncE0EEEvPKT5_PKbPfiPT4_PiiiibPKf.kd
    .uniform_work_group_size: 1
    .uses_dynamic_stack: false
    .vgpr_count:     64
    .vgpr_spill_count: 0
    .wavefront_size: 64
  - .agpr_count:     0
    .args:
      - .address_space:  global
        .offset:         0
        .size:           8
        .value_kind:     global_buffer
      - .address_space:  global
        .offset:         8
        .size:           8
        .value_kind:     global_buffer
      - .address_space:  global
        .offset:         16
        .size:           8
        .value_kind:     global_buffer
      - .offset:         24
        .size:           4
        .value_kind:     by_value
    .group_segment_fixed_size: 24
    .kernarg_segment_align: 8
    .kernarg_segment_size: 28
    .language:       OpenCL C
    .language_version:
      - 2
      - 0
    .max_flat_workgroup_size: 256
    .name:           _ZN4vllm3moe10moeSoftmaxILi256EfEEvPKT0_PKbPfi
    .private_segment_fixed_size: 0
    .sgpr_count:     24
    .sgpr_spill_count: 0
    .symbol:         _ZN4vllm3moe10moeSoftmaxILi256EfEEvPKT0_PKbPfi.kd
    .uniform_work_group_size: 1
    .uses_dynamic_stack: false
    .vgpr_count:     17
    .vgpr_spill_count: 0
    .wavefront_size: 64
  - .agpr_count:     0
    .args:
      - .address_space:  global
        .offset:         0
        .size:           8
        .value_kind:     global_buffer
      - .address_space:  global
        .offset:         8
        .size:           8
        .value_kind:     global_buffer
      - .address_space:  global
        .offset:         16
        .size:           8
        .value_kind:     global_buffer
      - .address_space:  global
        .offset:         24
        .size:           8
        .value_kind:     global_buffer
      - .address_space:  global
        .offset:         32
        .size:           8
        .value_kind:     global_buffer
      - .offset:         40
        .size:           4
        .value_kind:     by_value
      - .offset:         44
        .size:           4
        .value_kind:     by_value
      - .offset:         48
        .size:           4
        .value_kind:     by_value
      - .offset:         52
        .size:           4
        .value_kind:     by_value
      - .offset:         56
        .size:           1
        .value_kind:     by_value
      - .address_space:  global
        .offset:         64
        .size:           8
        .value_kind:     global_buffer
      - .offset:         72
        .size:           4
        .value_kind:     hidden_block_count_x
      - .offset:         76
        .size:           4
        .value_kind:     hidden_block_count_y
      - .offset:         80
        .size:           4
        .value_kind:     hidden_block_count_z
      - .offset:         84
        .size:           2
        .value_kind:     hidden_group_size_x
      - .offset:         86
        .size:           2
        .value_kind:     hidden_group_size_y
      - .offset:         88
        .size:           2
        .value_kind:     hidden_group_size_z
      - .offset:         90
        .size:           2
        .value_kind:     hidden_remainder_x
      - .offset:         92
        .size:           2
        .value_kind:     hidden_remainder_y
      - .offset:         94
        .size:           2
        .value_kind:     hidden_remainder_z
      - .offset:         112
        .size:           8
        .value_kind:     hidden_global_offset_x
      - .offset:         120
        .size:           8
        .value_kind:     hidden_global_offset_y
      - .offset:         128
        .size:           8
        .value_kind:     hidden_global_offset_z
      - .offset:         136
        .size:           2
        .value_kind:     hidden_grid_dims
      - .offset:         152
        .size:           8
        .value_kind:     hidden_hostcall_buffer
    .group_segment_fixed_size: 32
    .kernarg_segment_align: 8
    .kernarg_segment_size: 328
    .language:       OpenCL C
    .language_version:
      - 2
      - 0
    .max_flat_workgroup_size: 256
    .name:           _ZN4vllm3moe7moeTopKILi256EiEEvPKfPKbPfPT0_PiiiiibS3_
    .private_segment_fixed_size: 64
    .sgpr_count:     65
    .sgpr_spill_count: 0
    .symbol:         _ZN4vllm3moe7moeTopKILi256EiEEvPKfPKbPfPT0_PiiiiibS3_.kd
    .uniform_work_group_size: 1
    .uses_dynamic_stack: false
    .vgpr_count:     41
    .vgpr_spill_count: 0
    .wavefront_size: 64
  - .agpr_count:     0
    .args:
      - .address_space:  global
        .offset:         0
        .size:           8
        .value_kind:     global_buffer
      - .address_space:  global
        .offset:         8
        .size:           8
        .value_kind:     global_buffer
      - .address_space:  global
        .offset:         16
        .size:           8
        .value_kind:     global_buffer
      - .offset:         24
        .size:           4
        .value_kind:     by_value
      - .address_space:  global
        .offset:         32
        .size:           8
        .value_kind:     global_buffer
      - .address_space:  global
        .offset:         40
        .size:           8
        .value_kind:     global_buffer
      - .offset:         48
        .size:           4
        .value_kind:     by_value
      - .offset:         52
        .size:           4
        .value_kind:     by_value
      - .offset:         56
        .size:           4
        .value_kind:     by_value
      - .offset:         60
        .size:           1
        .value_kind:     by_value
      - .address_space:  global
        .offset:         64
        .size:           8
        .value_kind:     global_buffer
    .group_segment_fixed_size: 0
    .kernarg_segment_align: 8
    .kernarg_segment_size: 72
    .language:       OpenCL C
    .language_version:
      - 2
      - 0
    .max_flat_workgroup_size: 256
    .name:           _ZN4vllm3moe10topkGatingILi1ELi1ELi4ELi4ELi64EjfLNS0_11ScoringFuncE0EEEvPKT5_PKbPfiPT4_PiiiibPKf
    .private_segment_fixed_size: 0
    .sgpr_count:     27
    .sgpr_spill_count: 0
    .symbol:         _ZN4vllm3moe10topkGatingILi1ELi1ELi4ELi4ELi64EjfLNS0_11ScoringFuncE0EEEvPKT5_PKbPfiPT4_PiiiibPKf.kd
    .uniform_work_group_size: 1
    .uses_dynamic_stack: false
    .vgpr_count:     19
    .vgpr_spill_count: 0
    .wavefront_size: 64
  - .agpr_count:     0
    .args:
      - .address_space:  global
        .offset:         0
        .size:           8
        .value_kind:     global_buffer
      - .address_space:  global
        .offset:         8
        .size:           8
        .value_kind:     global_buffer
      - .address_space:  global
        .offset:         16
        .size:           8
        .value_kind:     global_buffer
      - .offset:         24
        .size:           4
        .value_kind:     by_value
      - .address_space:  global
        .offset:         32
        .size:           8
        .value_kind:     global_buffer
      - .address_space:  global
        .offset:         40
        .size:           8
        .value_kind:     global_buffer
      - .offset:         48
        .size:           4
        .value_kind:     by_value
      - .offset:         52
        .size:           4
        .value_kind:     by_value
      - .offset:         56
        .size:           4
        .value_kind:     by_value
      - .offset:         60
        .size:           1
        .value_kind:     by_value
      - .address_space:  global
        .offset:         64
        .size:           8
        .value_kind:     global_buffer
    .group_segment_fixed_size: 0
    .kernarg_segment_align: 8
    .kernarg_segment_size: 72
    .language:       OpenCL C
    .language_version:
      - 2
      - 0
    .max_flat_workgroup_size: 128
    .name:           _ZN4vllm3moe10topkGatingILi1ELi1ELi4ELi4ELi32EjfLNS0_11ScoringFuncE0EEEvPKT5_PKbPfiPT4_PiiiibPKf
    .private_segment_fixed_size: 0
    .sgpr_count:     27
    .sgpr_spill_count: 0
    .symbol:         _ZN4vllm3moe10topkGatingILi1ELi1ELi4ELi4ELi32EjfLNS0_11ScoringFuncE0EEEvPKT5_PKbPfiPT4_PiiiibPKf.kd
    .uniform_work_group_size: 1
    .uses_dynamic_stack: false
    .vgpr_count:     19
    .vgpr_spill_count: 0
    .wavefront_size: 64
  - .agpr_count:     0
    .args:
      - .address_space:  global
        .offset:         0
        .size:           8
        .value_kind:     global_buffer
      - .address_space:  global
        .offset:         8
        .size:           8
        .value_kind:     global_buffer
      - .address_space:  global
        .offset:         16
        .size:           8
        .value_kind:     global_buffer
      - .offset:         24
        .size:           4
        .value_kind:     by_value
      - .address_space:  global
        .offset:         32
        .size:           8
        .value_kind:     global_buffer
      - .address_space:  global
        .offset:         40
        .size:           8
        .value_kind:     global_buffer
      - .offset:         48
        .size:           4
        .value_kind:     by_value
      - .offset:         52
        .size:           4
        .value_kind:     by_value
      - .offset:         56
        .size:           4
        .value_kind:     by_value
      - .offset:         60
        .size:           1
        .value_kind:     by_value
      - .address_space:  global
        .offset:         64
        .size:           8
        .value_kind:     global_buffer
    .group_segment_fixed_size: 0
    .kernarg_segment_align: 8
    .kernarg_segment_size: 72
    .language:       OpenCL C
    .language_version:
      - 2
      - 0
    .max_flat_workgroup_size: 256
    .name:           _ZN4vllm3moe10topkGatingILi2ELi2ELi4ELi8ELi64EjfLNS0_11ScoringFuncE0EEEvPKT5_PKbPfiPT4_PiiiibPKf
    .private_segment_fixed_size: 0
    .sgpr_count:     28
    .sgpr_spill_count: 0
    .symbol:         _ZN4vllm3moe10topkGatingILi2ELi2ELi4ELi8ELi64EjfLNS0_11ScoringFuncE0EEEvPKT5_PKbPfiPT4_PiiiibPKf.kd
    .uniform_work_group_size: 1
    .uses_dynamic_stack: false
    .vgpr_count:     19
    .vgpr_spill_count: 0
    .wavefront_size: 64
  - .agpr_count:     0
    .args:
      - .address_space:  global
        .offset:         0
        .size:           8
        .value_kind:     global_buffer
      - .address_space:  global
        .offset:         8
        .size:           8
        .value_kind:     global_buffer
      - .address_space:  global
        .offset:         16
        .size:           8
        .value_kind:     global_buffer
      - .offset:         24
        .size:           4
        .value_kind:     by_value
      - .address_space:  global
        .offset:         32
        .size:           8
        .value_kind:     global_buffer
      - .address_space:  global
        .offset:         40
        .size:           8
        .value_kind:     global_buffer
      - .offset:         48
        .size:           4
        .value_kind:     by_value
      - .offset:         52
        .size:           4
        .value_kind:     by_value
      - .offset:         56
        .size:           4
        .value_kind:     by_value
      - .offset:         60
        .size:           1
        .value_kind:     by_value
      - .address_space:  global
        .offset:         64
        .size:           8
        .value_kind:     global_buffer
    .group_segment_fixed_size: 0
    .kernarg_segment_align: 8
    .kernarg_segment_size: 72
    .language:       OpenCL C
    .language_version:
      - 2
      - 0
    .max_flat_workgroup_size: 128
    .name:           _ZN4vllm3moe10topkGatingILi2ELi2ELi4ELi8ELi32EjfLNS0_11ScoringFuncE0EEEvPKT5_PKbPfiPT4_PiiiibPKf
    .private_segment_fixed_size: 0
    .sgpr_count:     28
    .sgpr_spill_count: 0
    .symbol:         _ZN4vllm3moe10topkGatingILi2ELi2ELi4ELi8ELi32EjfLNS0_11ScoringFuncE0EEEvPKT5_PKbPfiPT4_PiiiibPKf.kd
    .uniform_work_group_size: 1
    .uses_dynamic_stack: false
    .vgpr_count:     19
    .vgpr_spill_count: 0
    .wavefront_size: 64
  - .agpr_count:     0
    .args:
      - .address_space:  global
        .offset:         0
        .size:           8
        .value_kind:     global_buffer
      - .address_space:  global
        .offset:         8
        .size:           8
        .value_kind:     global_buffer
      - .address_space:  global
        .offset:         16
        .size:           8
        .value_kind:     global_buffer
      - .offset:         24
        .size:           4
        .value_kind:     by_value
      - .address_space:  global
        .offset:         32
        .size:           8
        .value_kind:     global_buffer
      - .address_space:  global
        .offset:         40
        .size:           8
        .value_kind:     global_buffer
      - .offset:         48
        .size:           4
        .value_kind:     by_value
      - .offset:         52
        .size:           4
        .value_kind:     by_value
      - .offset:         56
        .size:           4
        .value_kind:     by_value
      - .offset:         60
        .size:           1
        .value_kind:     by_value
      - .address_space:  global
        .offset:         64
        .size:           8
        .value_kind:     global_buffer
    .group_segment_fixed_size: 0
    .kernarg_segment_align: 8
    .kernarg_segment_size: 72
    .language:       OpenCL C
    .language_version:
      - 2
      - 0
    .max_flat_workgroup_size: 256
    .name:           _ZN4vllm3moe10topkGatingILi4ELi4ELi4ELi16ELi64EjfLNS0_11ScoringFuncE0EEEvPKT5_PKbPfiPT4_PiiiibPKf
    .private_segment_fixed_size: 0
    .sgpr_count:     28
    .sgpr_spill_count: 0
    .symbol:         _ZN4vllm3moe10topkGatingILi4ELi4ELi4ELi16ELi64EjfLNS0_11ScoringFuncE0EEEvPKT5_PKbPfiPT4_PiiiibPKf.kd
    .uniform_work_group_size: 1
    .uses_dynamic_stack: false
    .vgpr_count:     22
    .vgpr_spill_count: 0
    .wavefront_size: 64
  - .agpr_count:     0
    .args:
      - .address_space:  global
        .offset:         0
        .size:           8
        .value_kind:     global_buffer
      - .address_space:  global
        .offset:         8
        .size:           8
        .value_kind:     global_buffer
      - .address_space:  global
        .offset:         16
        .size:           8
        .value_kind:     global_buffer
      - .offset:         24
        .size:           4
        .value_kind:     by_value
      - .address_space:  global
        .offset:         32
        .size:           8
        .value_kind:     global_buffer
      - .address_space:  global
        .offset:         40
        .size:           8
        .value_kind:     global_buffer
      - .offset:         48
        .size:           4
        .value_kind:     by_value
      - .offset:         52
        .size:           4
        .value_kind:     by_value
      - .offset:         56
        .size:           4
        .value_kind:     by_value
      - .offset:         60
        .size:           1
        .value_kind:     by_value
      - .address_space:  global
        .offset:         64
        .size:           8
        .value_kind:     global_buffer
    .group_segment_fixed_size: 0
    .kernarg_segment_align: 8
    .kernarg_segment_size: 72
    .language:       OpenCL C
    .language_version:
      - 2
      - 0
    .max_flat_workgroup_size: 128
    .name:           _ZN4vllm3moe10topkGatingILi4ELi4ELi4ELi16ELi32EjfLNS0_11ScoringFuncE0EEEvPKT5_PKbPfiPT4_PiiiibPKf
    .private_segment_fixed_size: 0
    .sgpr_count:     28
    .sgpr_spill_count: 0
    .symbol:         _ZN4vllm3moe10topkGatingILi4ELi4ELi4ELi16ELi32EjfLNS0_11ScoringFuncE0EEEvPKT5_PKbPfiPT4_PiiiibPKf.kd
    .uniform_work_group_size: 1
    .uses_dynamic_stack: false
    .vgpr_count:     22
    .vgpr_spill_count: 0
    .wavefront_size: 64
  - .agpr_count:     0
    .args:
      - .address_space:  global
        .offset:         0
        .size:           8
        .value_kind:     global_buffer
      - .address_space:  global
        .offset:         8
        .size:           8
        .value_kind:     global_buffer
      - .address_space:  global
        .offset:         16
        .size:           8
        .value_kind:     global_buffer
      - .offset:         24
        .size:           4
        .value_kind:     by_value
      - .address_space:  global
        .offset:         32
        .size:           8
        .value_kind:     global_buffer
      - .address_space:  global
        .offset:         40
        .size:           8
        .value_kind:     global_buffer
      - .offset:         48
        .size:           4
        .value_kind:     by_value
      - .offset:         52
        .size:           4
        .value_kind:     by_value
      - .offset:         56
        .size:           4
        .value_kind:     by_value
      - .offset:         60
        .size:           1
        .value_kind:     by_value
      - .address_space:  global
        .offset:         64
        .size:           8
        .value_kind:     global_buffer
    .group_segment_fixed_size: 0
    .kernarg_segment_align: 8
    .kernarg_segment_size: 72
    .language:       OpenCL C
    .language_version:
      - 2
      - 0
    .max_flat_workgroup_size: 256
    .name:           _ZN4vllm3moe10topkGatingILi4ELi8ELi4ELi16ELi64EjfLNS0_11ScoringFuncE0EEEvPKT5_PKbPfiPT4_PiiiibPKf
    .private_segment_fixed_size: 0
    .sgpr_count:     30
    .sgpr_spill_count: 0
    .symbol:         _ZN4vllm3moe10topkGatingILi4ELi8ELi4ELi16ELi64EjfLNS0_11ScoringFuncE0EEEvPKT5_PKbPfiPT4_PiiiibPKf.kd
    .uniform_work_group_size: 1
    .uses_dynamic_stack: false
    .vgpr_count:     23
    .vgpr_spill_count: 0
    .wavefront_size: 64
  - .agpr_count:     0
    .args:
      - .address_space:  global
        .offset:         0
        .size:           8
        .value_kind:     global_buffer
      - .address_space:  global
        .offset:         8
        .size:           8
        .value_kind:     global_buffer
      - .address_space:  global
        .offset:         16
        .size:           8
        .value_kind:     global_buffer
      - .offset:         24
        .size:           4
        .value_kind:     by_value
      - .address_space:  global
        .offset:         32
        .size:           8
        .value_kind:     global_buffer
      - .address_space:  global
        .offset:         40
        .size:           8
        .value_kind:     global_buffer
      - .offset:         48
        .size:           4
        .value_kind:     by_value
      - .offset:         52
        .size:           4
        .value_kind:     by_value
      - .offset:         56
        .size:           4
        .value_kind:     by_value
      - .offset:         60
        .size:           1
        .value_kind:     by_value
      - .address_space:  global
        .offset:         64
        .size:           8
        .value_kind:     global_buffer
    .group_segment_fixed_size: 0
    .kernarg_segment_align: 8
    .kernarg_segment_size: 72
    .language:       OpenCL C
    .language_version:
      - 2
      - 0
    .max_flat_workgroup_size: 128
    .name:           _ZN4vllm3moe10topkGatingILi4ELi8ELi4ELi16ELi32EjfLNS0_11ScoringFuncE0EEEvPKT5_PKbPfiPT4_PiiiibPKf
    .private_segment_fixed_size: 0
    .sgpr_count:     30
    .sgpr_spill_count: 0
    .symbol:         _ZN4vllm3moe10topkGatingILi4ELi8ELi4ELi16ELi32EjfLNS0_11ScoringFuncE0EEEvPKT5_PKbPfiPT4_PiiiibPKf.kd
    .uniform_work_group_size: 1
    .uses_dynamic_stack: false
    .vgpr_count:     23
    .vgpr_spill_count: 0
    .wavefront_size: 64
  - .agpr_count:     0
    .args:
      - .address_space:  global
        .offset:         0
        .size:           8
        .value_kind:     global_buffer
      - .address_space:  global
        .offset:         8
        .size:           8
        .value_kind:     global_buffer
      - .address_space:  global
        .offset:         16
        .size:           8
        .value_kind:     global_buffer
      - .offset:         24
        .size:           4
        .value_kind:     by_value
      - .address_space:  global
        .offset:         32
        .size:           8
        .value_kind:     global_buffer
      - .address_space:  global
        .offset:         40
        .size:           8
        .value_kind:     global_buffer
      - .offset:         48
        .size:           4
        .value_kind:     by_value
      - .offset:         52
        .size:           4
        .value_kind:     by_value
      - .offset:         56
        .size:           4
        .value_kind:     by_value
      - .offset:         60
        .size:           1
        .value_kind:     by_value
      - .address_space:  global
        .offset:         64
        .size:           8
        .value_kind:     global_buffer
    .group_segment_fixed_size: 0
    .kernarg_segment_align: 8
    .kernarg_segment_size: 72
    .language:       OpenCL C
    .language_version:
      - 2
      - 0
    .max_flat_workgroup_size: 256
    .name:           _ZN4vllm3moe10topkGatingILi4ELi16ELi4ELi16ELi64EjfLNS0_11ScoringFuncE0EEEvPKT5_PKbPfiPT4_PiiiibPKf
    .private_segment_fixed_size: 0
    .sgpr_count:     28
    .sgpr_spill_count: 0
    .symbol:         _ZN4vllm3moe10topkGatingILi4ELi16ELi4ELi16ELi64EjfLNS0_11ScoringFuncE0EEEvPKT5_PKbPfiPT4_PiiiibPKf.kd
    .uniform_work_group_size: 1
    .uses_dynamic_stack: false
    .vgpr_count:     24
    .vgpr_spill_count: 0
    .wavefront_size: 64
  - .agpr_count:     0
    .args:
      - .address_space:  global
        .offset:         0
        .size:           8
        .value_kind:     global_buffer
      - .address_space:  global
        .offset:         8
        .size:           8
        .value_kind:     global_buffer
      - .address_space:  global
        .offset:         16
        .size:           8
        .value_kind:     global_buffer
      - .offset:         24
        .size:           4
        .value_kind:     by_value
      - .address_space:  global
        .offset:         32
        .size:           8
        .value_kind:     global_buffer
      - .address_space:  global
        .offset:         40
        .size:           8
        .value_kind:     global_buffer
      - .offset:         48
        .size:           4
        .value_kind:     by_value
      - .offset:         52
        .size:           4
        .value_kind:     by_value
      - .offset:         56
        .size:           4
        .value_kind:     by_value
      - .offset:         60
        .size:           1
        .value_kind:     by_value
      - .address_space:  global
        .offset:         64
        .size:           8
        .value_kind:     global_buffer
    .group_segment_fixed_size: 0
    .kernarg_segment_align: 8
    .kernarg_segment_size: 72
    .language:       OpenCL C
    .language_version:
      - 2
      - 0
    .max_flat_workgroup_size: 128
    .name:           _ZN4vllm3moe10topkGatingILi4ELi16ELi4ELi16ELi32EjfLNS0_11ScoringFuncE0EEEvPKT5_PKbPfiPT4_PiiiibPKf
    .private_segment_fixed_size: 0
    .sgpr_count:     28
    .sgpr_spill_count: 0
    .symbol:         _ZN4vllm3moe10topkGatingILi4ELi16ELi4ELi16ELi32EjfLNS0_11ScoringFuncE0EEEvPKT5_PKbPfiPT4_PiiiibPKf.kd
    .uniform_work_group_size: 1
    .uses_dynamic_stack: false
    .vgpr_count:     24
    .vgpr_spill_count: 0
    .wavefront_size: 64
  - .agpr_count:     0
    .args:
      - .address_space:  global
        .offset:         0
        .size:           8
        .value_kind:     global_buffer
      - .address_space:  global
        .offset:         8
        .size:           8
        .value_kind:     global_buffer
      - .address_space:  global
        .offset:         16
        .size:           8
        .value_kind:     global_buffer
      - .offset:         24
        .size:           4
        .value_kind:     by_value
      - .address_space:  global
        .offset:         32
        .size:           8
        .value_kind:     global_buffer
      - .address_space:  global
        .offset:         40
        .size:           8
        .value_kind:     global_buffer
      - .offset:         48
        .size:           4
        .value_kind:     by_value
      - .offset:         52
        .size:           4
        .value_kind:     by_value
      - .offset:         56
        .size:           4
        .value_kind:     by_value
      - .offset:         60
        .size:           1
        .value_kind:     by_value
      - .address_space:  global
        .offset:         64
        .size:           8
        .value_kind:     global_buffer
    .group_segment_fixed_size: 0
    .kernarg_segment_align: 8
    .kernarg_segment_size: 72
    .language:       OpenCL C
    .language_version:
      - 2
      - 0
    .max_flat_workgroup_size: 256
    .name:           _ZN4vllm3moe10topkGatingILi4ELi32ELi4ELi16ELi64EjfLNS0_11ScoringFuncE0EEEvPKT5_PKbPfiPT4_PiiiibPKf
    .private_segment_fixed_size: 0
    .sgpr_count:     30
    .sgpr_spill_count: 0
    .symbol:         _ZN4vllm3moe10topkGatingILi4ELi32ELi4ELi16ELi64EjfLNS0_11ScoringFuncE0EEEvPKT5_PKbPfiPT4_PiiiibPKf.kd
    .uniform_work_group_size: 1
    .uses_dynamic_stack: false
    .vgpr_count:     26
    .vgpr_spill_count: 0
    .wavefront_size: 64
  - .agpr_count:     0
    .args:
      - .address_space:  global
        .offset:         0
        .size:           8
        .value_kind:     global_buffer
      - .address_space:  global
        .offset:         8
        .size:           8
        .value_kind:     global_buffer
      - .address_space:  global
        .offset:         16
        .size:           8
        .value_kind:     global_buffer
      - .offset:         24
        .size:           4
        .value_kind:     by_value
      - .address_space:  global
        .offset:         32
        .size:           8
        .value_kind:     global_buffer
      - .address_space:  global
        .offset:         40
        .size:           8
        .value_kind:     global_buffer
      - .offset:         48
        .size:           4
        .value_kind:     by_value
      - .offset:         52
        .size:           4
        .value_kind:     by_value
      - .offset:         56
        .size:           4
        .value_kind:     by_value
      - .offset:         60
        .size:           1
        .value_kind:     by_value
      - .address_space:  global
        .offset:         64
        .size:           8
        .value_kind:     global_buffer
    .group_segment_fixed_size: 0
    .kernarg_segment_align: 8
    .kernarg_segment_size: 72
    .language:       OpenCL C
    .language_version:
      - 2
      - 0
    .max_flat_workgroup_size: 128
    .name:           _ZN4vllm3moe10topkGatingILi4ELi32ELi4ELi16ELi32EjfLNS0_11ScoringFuncE0EEEvPKT5_PKbPfiPT4_PiiiibPKf
    .private_segment_fixed_size: 0
    .sgpr_count:     30
    .sgpr_spill_count: 0
    .symbol:         _ZN4vllm3moe10topkGatingILi4ELi32ELi4ELi16ELi32EjfLNS0_11ScoringFuncE0EEEvPKT5_PKbPfiPT4_PiiiibPKf.kd
    .uniform_work_group_size: 1
    .uses_dynamic_stack: false
    .vgpr_count:     26
    .vgpr_spill_count: 0
    .wavefront_size: 64
  - .agpr_count:     0
    .args:
      - .address_space:  global
        .offset:         0
        .size:           8
        .value_kind:     global_buffer
      - .address_space:  global
        .offset:         8
        .size:           8
        .value_kind:     global_buffer
      - .address_space:  global
        .offset:         16
        .size:           8
        .value_kind:     global_buffer
      - .offset:         24
        .size:           4
        .value_kind:     by_value
      - .address_space:  global
        .offset:         32
        .size:           8
        .value_kind:     global_buffer
      - .address_space:  global
        .offset:         40
        .size:           8
        .value_kind:     global_buffer
      - .offset:         48
        .size:           4
        .value_kind:     by_value
      - .offset:         52
        .size:           4
        .value_kind:     by_value
      - .offset:         56
        .size:           4
        .value_kind:     by_value
      - .offset:         60
        .size:           1
        .value_kind:     by_value
      - .address_space:  global
        .offset:         64
        .size:           8
        .value_kind:     global_buffer
    .group_segment_fixed_size: 0
    .kernarg_segment_align: 8
    .kernarg_segment_size: 72
    .language:       OpenCL C
    .language_version:
      - 2
      - 0
    .max_flat_workgroup_size: 256
    .name:           _ZN4vllm3moe10topkGatingILi4ELi64ELi4ELi16ELi64EjfLNS0_11ScoringFuncE0EEEvPKT5_PKbPfiPT4_PiiiibPKf
    .private_segment_fixed_size: 0
    .sgpr_count:     30
    .sgpr_spill_count: 0
    .symbol:         _ZN4vllm3moe10topkGatingILi4ELi64ELi4ELi16ELi64EjfLNS0_11ScoringFuncE0EEEvPKT5_PKbPfiPT4_PiiiibPKf.kd
    .uniform_work_group_size: 1
    .uses_dynamic_stack: false
    .vgpr_count:     27
    .vgpr_spill_count: 0
    .wavefront_size: 64
  - .agpr_count:     0
    .args:
      - .address_space:  global
        .offset:         0
        .size:           8
        .value_kind:     global_buffer
      - .address_space:  global
        .offset:         8
        .size:           8
        .value_kind:     global_buffer
      - .address_space:  global
        .offset:         16
        .size:           8
        .value_kind:     global_buffer
      - .offset:         24
        .size:           4
        .value_kind:     by_value
      - .address_space:  global
        .offset:         32
        .size:           8
        .value_kind:     global_buffer
      - .address_space:  global
        .offset:         40
        .size:           8
        .value_kind:     global_buffer
      - .offset:         48
        .size:           4
        .value_kind:     by_value
      - .offset:         52
        .size:           4
        .value_kind:     by_value
      - .offset:         56
        .size:           4
        .value_kind:     by_value
      - .offset:         60
        .size:           1
        .value_kind:     by_value
      - .address_space:  global
        .offset:         64
        .size:           8
        .value_kind:     global_buffer
    .group_segment_fixed_size: 0
    .kernarg_segment_align: 8
    .kernarg_segment_size: 72
    .language:       OpenCL C
    .language_version:
      - 2
      - 0
    .max_flat_workgroup_size: 128
    .name:           _ZN4vllm3moe10topkGatingILi4ELi64ELi4ELi16ELi32EjfLNS0_11ScoringFuncE0EEEvPKT5_PKbPfiPT4_PiiiibPKf
    .private_segment_fixed_size: 0
    .sgpr_count:     30
    .sgpr_spill_count: 0
    .symbol:         _ZN4vllm3moe10topkGatingILi4ELi64ELi4ELi16ELi32EjfLNS0_11ScoringFuncE0EEEvPKT5_PKbPfiPT4_PiiiibPKf.kd
    .uniform_work_group_size: 1
    .uses_dynamic_stack: false
    .vgpr_count:     27
    .vgpr_spill_count: 0
    .wavefront_size: 64
  - .agpr_count:     0
    .args:
      - .address_space:  global
        .offset:         0
        .size:           8
        .value_kind:     global_buffer
      - .address_space:  global
        .offset:         8
        .size:           8
        .value_kind:     global_buffer
      - .address_space:  global
        .offset:         16
        .size:           8
        .value_kind:     global_buffer
      - .offset:         24
        .size:           4
        .value_kind:     by_value
      - .address_space:  global
        .offset:         32
        .size:           8
        .value_kind:     global_buffer
      - .address_space:  global
        .offset:         40
        .size:           8
        .value_kind:     global_buffer
      - .offset:         48
        .size:           4
        .value_kind:     by_value
      - .offset:         52
        .size:           4
        .value_kind:     by_value
      - .offset:         56
        .size:           4
        .value_kind:     by_value
      - .offset:         60
        .size:           1
        .value_kind:     by_value
      - .address_space:  global
        .offset:         64
        .size:           8
        .value_kind:     global_buffer
    .group_segment_fixed_size: 0
    .kernarg_segment_align: 8
    .kernarg_segment_size: 72
    .language:       OpenCL C
    .language_version:
      - 2
      - 0
    .max_flat_workgroup_size: 256
    .name:           _ZN4vllm3moe10topkGatingILi4ELi128ELi4ELi16ELi64EjfLNS0_11ScoringFuncE0EEEvPKT5_PKbPfiPT4_PiiiibPKf
    .private_segment_fixed_size: 0
    .sgpr_count:     30
    .sgpr_spill_count: 0
    .symbol:         _ZN4vllm3moe10topkGatingILi4ELi128ELi4ELi16ELi64EjfLNS0_11ScoringFuncE0EEEvPKT5_PKbPfiPT4_PiiiibPKf.kd
    .uniform_work_group_size: 1
    .uses_dynamic_stack: false
    .vgpr_count:     29
    .vgpr_spill_count: 0
    .wavefront_size: 64
  - .agpr_count:     0
    .args:
      - .address_space:  global
        .offset:         0
        .size:           8
        .value_kind:     global_buffer
      - .address_space:  global
        .offset:         8
        .size:           8
        .value_kind:     global_buffer
      - .address_space:  global
        .offset:         16
        .size:           8
        .value_kind:     global_buffer
      - .offset:         24
        .size:           4
        .value_kind:     by_value
      - .address_space:  global
        .offset:         32
        .size:           8
        .value_kind:     global_buffer
      - .address_space:  global
        .offset:         40
        .size:           8
        .value_kind:     global_buffer
      - .offset:         48
        .size:           4
        .value_kind:     by_value
      - .offset:         52
        .size:           4
        .value_kind:     by_value
      - .offset:         56
        .size:           4
        .value_kind:     by_value
      - .offset:         60
        .size:           1
        .value_kind:     by_value
      - .address_space:  global
        .offset:         64
        .size:           8
        .value_kind:     global_buffer
    .group_segment_fixed_size: 0
    .kernarg_segment_align: 8
    .kernarg_segment_size: 72
    .language:       OpenCL C
    .language_version:
      - 2
      - 0
    .max_flat_workgroup_size: 128
    .name:           _ZN4vllm3moe10topkGatingILi4ELi128ELi4ELi16ELi32EjfLNS0_11ScoringFuncE0EEEvPKT5_PKbPfiPT4_PiiiibPKf
    .private_segment_fixed_size: 0
    .sgpr_count:     30
    .sgpr_spill_count: 0
    .symbol:         _ZN4vllm3moe10topkGatingILi4ELi128ELi4ELi16ELi32EjfLNS0_11ScoringFuncE0EEEvPKT5_PKbPfiPT4_PiiiibPKf.kd
    .uniform_work_group_size: 1
    .uses_dynamic_stack: false
    .vgpr_count:     29
    .vgpr_spill_count: 0
    .wavefront_size: 64
  - .agpr_count:     0
    .args:
      - .address_space:  global
        .offset:         0
        .size:           8
        .value_kind:     global_buffer
      - .address_space:  global
        .offset:         8
        .size:           8
        .value_kind:     global_buffer
      - .address_space:  global
        .offset:         16
        .size:           8
        .value_kind:     global_buffer
      - .offset:         24
        .size:           4
        .value_kind:     by_value
      - .address_space:  global
        .offset:         32
        .size:           8
        .value_kind:     global_buffer
      - .address_space:  global
        .offset:         40
        .size:           8
        .value_kind:     global_buffer
      - .offset:         48
        .size:           4
        .value_kind:     by_value
      - .offset:         52
        .size:           4
        .value_kind:     by_value
      - .offset:         56
        .size:           4
        .value_kind:     by_value
      - .offset:         60
        .size:           1
        .value_kind:     by_value
      - .address_space:  global
        .offset:         64
        .size:           8
        .value_kind:     global_buffer
    .group_segment_fixed_size: 0
    .kernarg_segment_align: 8
    .kernarg_segment_size: 72
    .language:       OpenCL C
    .language_version:
      - 2
      - 0
    .max_flat_workgroup_size: 256
    .name:           _ZN4vllm3moe10topkGatingILi4ELi256ELi4ELi16ELi64EjfLNS0_11ScoringFuncE0EEEvPKT5_PKbPfiPT4_PiiiibPKf
    .private_segment_fixed_size: 0
    .sgpr_count:     30
    .sgpr_spill_count: 0
    .symbol:         _ZN4vllm3moe10topkGatingILi4ELi256ELi4ELi16ELi64EjfLNS0_11ScoringFuncE0EEEvPKT5_PKbPfiPT4_PiiiibPKf.kd
    .uniform_work_group_size: 1
    .uses_dynamic_stack: false
    .vgpr_count:     30
    .vgpr_spill_count: 0
    .wavefront_size: 64
  - .agpr_count:     0
    .args:
      - .address_space:  global
        .offset:         0
        .size:           8
        .value_kind:     global_buffer
      - .address_space:  global
        .offset:         8
        .size:           8
        .value_kind:     global_buffer
      - .address_space:  global
        .offset:         16
        .size:           8
        .value_kind:     global_buffer
      - .offset:         24
        .size:           4
        .value_kind:     by_value
      - .address_space:  global
        .offset:         32
        .size:           8
        .value_kind:     global_buffer
      - .address_space:  global
        .offset:         40
        .size:           8
        .value_kind:     global_buffer
      - .offset:         48
        .size:           4
        .value_kind:     by_value
      - .offset:         52
        .size:           4
        .value_kind:     by_value
      - .offset:         56
        .size:           4
        .value_kind:     by_value
      - .offset:         60
        .size:           1
        .value_kind:     by_value
      - .address_space:  global
        .offset:         64
        .size:           8
        .value_kind:     global_buffer
    .group_segment_fixed_size: 0
    .kernarg_segment_align: 8
    .kernarg_segment_size: 72
    .language:       OpenCL C
    .language_version:
      - 2
      - 0
    .max_flat_workgroup_size: 128
    .name:           _ZN4vllm3moe10topkGatingILi8ELi256ELi4ELi16ELi32EjfLNS0_11ScoringFuncE0EEEvPKT5_PKbPfiPT4_PiiiibPKf
    .private_segment_fixed_size: 0
    .sgpr_count:     30
    .sgpr_spill_count: 0
    .symbol:         _ZN4vllm3moe10topkGatingILi8ELi256ELi4ELi16ELi32EjfLNS0_11ScoringFuncE0EEEvPKT5_PKbPfiPT4_PiiiibPKf.kd
    .uniform_work_group_size: 1
    .uses_dynamic_stack: false
    .vgpr_count:     41
    .vgpr_spill_count: 0
    .wavefront_size: 64
  - .agpr_count:     0
    .args:
      - .address_space:  global
        .offset:         0
        .size:           8
        .value_kind:     global_buffer
      - .address_space:  global
        .offset:         8
        .size:           8
        .value_kind:     global_buffer
      - .address_space:  global
        .offset:         16
        .size:           8
        .value_kind:     global_buffer
      - .offset:         24
        .size:           4
        .value_kind:     by_value
      - .address_space:  global
        .offset:         32
        .size:           8
        .value_kind:     global_buffer
      - .address_space:  global
        .offset:         40
        .size:           8
        .value_kind:     global_buffer
      - .offset:         48
        .size:           4
        .value_kind:     by_value
      - .offset:         52
        .size:           4
        .value_kind:     by_value
      - .offset:         56
        .size:           4
        .value_kind:     by_value
      - .offset:         60
        .size:           1
        .value_kind:     by_value
      - .address_space:  global
        .offset:         64
        .size:           8
        .value_kind:     global_buffer
    .group_segment_fixed_size: 0
    .kernarg_segment_align: 8
    .kernarg_segment_size: 72
    .language:       OpenCL C
    .language_version:
      - 2
      - 0
    .max_flat_workgroup_size: 256
    .name:           _ZN4vllm3moe10topkGatingILi8ELi512ELi4ELi16ELi64EjfLNS0_11ScoringFuncE0EEEvPKT5_PKbPfiPT4_PiiiibPKf
    .private_segment_fixed_size: 0
    .sgpr_count:     30
    .sgpr_spill_count: 0
    .symbol:         _ZN4vllm3moe10topkGatingILi8ELi512ELi4ELi16ELi64EjfLNS0_11ScoringFuncE0EEEvPKT5_PKbPfiPT4_PiiiibPKf.kd
    .uniform_work_group_size: 1
    .uses_dynamic_stack: false
    .vgpr_count:     42
    .vgpr_spill_count: 0
    .wavefront_size: 64
  - .agpr_count:     0
    .args:
      - .address_space:  global
        .offset:         0
        .size:           8
        .value_kind:     global_buffer
      - .address_space:  global
        .offset:         8
        .size:           8
        .value_kind:     global_buffer
      - .address_space:  global
        .offset:         16
        .size:           8
        .value_kind:     global_buffer
      - .offset:         24
        .size:           4
        .value_kind:     by_value
      - .address_space:  global
        .offset:         32
        .size:           8
        .value_kind:     global_buffer
      - .address_space:  global
        .offset:         40
        .size:           8
        .value_kind:     global_buffer
      - .offset:         48
        .size:           4
        .value_kind:     by_value
      - .offset:         52
        .size:           4
        .value_kind:     by_value
      - .offset:         56
        .size:           4
        .value_kind:     by_value
      - .offset:         60
        .size:           1
        .value_kind:     by_value
      - .address_space:  global
        .offset:         64
        .size:           8
        .value_kind:     global_buffer
    .group_segment_fixed_size: 0
    .kernarg_segment_align: 8
    .kernarg_segment_size: 72
    .language:       OpenCL C
    .language_version:
      - 2
      - 0
    .max_flat_workgroup_size: 128
    .name:           _ZN4vllm3moe10topkGatingILi16ELi512ELi4ELi16ELi32EjfLNS0_11ScoringFuncE0EEEvPKT5_PKbPfiPT4_PiiiibPKf
    .private_segment_fixed_size: 0
    .sgpr_count:     30
    .sgpr_spill_count: 0
    .symbol:         _ZN4vllm3moe10topkGatingILi16ELi512ELi4ELi16ELi32EjfLNS0_11ScoringFuncE0EEEvPKT5_PKbPfiPT4_PiiiibPKf.kd
    .uniform_work_group_size: 1
    .uses_dynamic_stack: false
    .vgpr_count:     64
    .vgpr_spill_count: 0
    .wavefront_size: 64
  - .agpr_count:     0
    .args:
      - .address_space:  global
        .offset:         0
        .size:           8
        .value_kind:     global_buffer
      - .address_space:  global
        .offset:         8
        .size:           8
        .value_kind:     global_buffer
      - .address_space:  global
        .offset:         16
        .size:           8
        .value_kind:     global_buffer
      - .address_space:  global
        .offset:         24
        .size:           8
        .value_kind:     global_buffer
      - .address_space:  global
        .offset:         32
        .size:           8
        .value_kind:     global_buffer
      - .offset:         40
        .size:           4
        .value_kind:     by_value
      - .offset:         44
        .size:           4
        .value_kind:     by_value
      - .offset:         48
        .size:           4
        .value_kind:     by_value
      - .offset:         52
        .size:           4
        .value_kind:     by_value
      - .offset:         56
        .size:           1
        .value_kind:     by_value
      - .address_space:  global
        .offset:         64
        .size:           8
        .value_kind:     global_buffer
      - .offset:         72
        .size:           4
        .value_kind:     hidden_block_count_x
      - .offset:         76
        .size:           4
        .value_kind:     hidden_block_count_y
      - .offset:         80
        .size:           4
        .value_kind:     hidden_block_count_z
      - .offset:         84
        .size:           2
        .value_kind:     hidden_group_size_x
      - .offset:         86
        .size:           2
        .value_kind:     hidden_group_size_y
      - .offset:         88
        .size:           2
        .value_kind:     hidden_group_size_z
      - .offset:         90
        .size:           2
        .value_kind:     hidden_remainder_x
      - .offset:         92
        .size:           2
        .value_kind:     hidden_remainder_y
      - .offset:         94
        .size:           2
        .value_kind:     hidden_remainder_z
      - .offset:         112
        .size:           8
        .value_kind:     hidden_global_offset_x
      - .offset:         120
        .size:           8
        .value_kind:     hidden_global_offset_y
      - .offset:         128
        .size:           8
        .value_kind:     hidden_global_offset_z
      - .offset:         136
        .size:           2
        .value_kind:     hidden_grid_dims
    .group_segment_fixed_size: 32
    .kernarg_segment_align: 8
    .kernarg_segment_size: 328
    .language:       OpenCL C
    .language_version:
      - 2
      - 0
    .max_flat_workgroup_size: 256
    .name:           _ZN4vllm3moe7moeTopKILi256EjEEvPKfPKbPfPT0_PiiiiibS3_
    .private_segment_fixed_size: 0
    .sgpr_count:     53
    .sgpr_spill_count: 0
    .symbol:         _ZN4vllm3moe7moeTopKILi256EjEEvPKfPKbPfPT0_PiiiiibS3_.kd
    .uniform_work_group_size: 1
    .uses_dynamic_stack: false
    .vgpr_count:     15
    .vgpr_spill_count: 0
    .wavefront_size: 64
  - .agpr_count:     0
    .args:
      - .address_space:  global
        .offset:         0
        .size:           8
        .value_kind:     global_buffer
      - .address_space:  global
        .offset:         8
        .size:           8
        .value_kind:     global_buffer
      - .address_space:  global
        .offset:         16
        .size:           8
        .value_kind:     global_buffer
      - .offset:         24
        .size:           4
        .value_kind:     by_value
      - .address_space:  global
        .offset:         32
        .size:           8
        .value_kind:     global_buffer
      - .address_space:  global
        .offset:         40
        .size:           8
        .value_kind:     global_buffer
      - .offset:         48
        .size:           4
        .value_kind:     by_value
      - .offset:         52
        .size:           4
        .value_kind:     by_value
      - .offset:         56
        .size:           4
        .value_kind:     by_value
      - .offset:         60
        .size:           1
        .value_kind:     by_value
      - .address_space:  global
        .offset:         64
        .size:           8
        .value_kind:     global_buffer
    .group_segment_fixed_size: 0
    .kernarg_segment_align: 8
    .kernarg_segment_size: 72
    .language:       OpenCL C
    .language_version:
      - 2
      - 0
    .max_flat_workgroup_size: 256
    .name:           _ZN4vllm3moe10topkGatingILi1ELi1ELi4ELi4ELi64ElfLNS0_11ScoringFuncE0EEEvPKT5_PKbPfiPT4_PiiiibPKf
    .private_segment_fixed_size: 0
    .sgpr_count:     27
    .sgpr_spill_count: 0
    .symbol:         _ZN4vllm3moe10topkGatingILi1ELi1ELi4ELi4ELi64ElfLNS0_11ScoringFuncE0EEEvPKT5_PKbPfiPT4_PiiiibPKf.kd
    .uniform_work_group_size: 1
    .uses_dynamic_stack: false
    .vgpr_count:     19
    .vgpr_spill_count: 0
    .wavefront_size: 64
  - .agpr_count:     0
    .args:
      - .address_space:  global
        .offset:         0
        .size:           8
        .value_kind:     global_buffer
      - .address_space:  global
        .offset:         8
        .size:           8
        .value_kind:     global_buffer
      - .address_space:  global
        .offset:         16
        .size:           8
        .value_kind:     global_buffer
      - .offset:         24
        .size:           4
        .value_kind:     by_value
      - .address_space:  global
        .offset:         32
        .size:           8
        .value_kind:     global_buffer
      - .address_space:  global
        .offset:         40
        .size:           8
        .value_kind:     global_buffer
      - .offset:         48
        .size:           4
        .value_kind:     by_value
      - .offset:         52
        .size:           4
        .value_kind:     by_value
      - .offset:         56
        .size:           4
        .value_kind:     by_value
      - .offset:         60
        .size:           1
        .value_kind:     by_value
      - .address_space:  global
        .offset:         64
        .size:           8
        .value_kind:     global_buffer
    .group_segment_fixed_size: 0
    .kernarg_segment_align: 8
    .kernarg_segment_size: 72
    .language:       OpenCL C
    .language_version:
      - 2
      - 0
    .max_flat_workgroup_size: 128
    .name:           _ZN4vllm3moe10topkGatingILi1ELi1ELi4ELi4ELi32ElfLNS0_11ScoringFuncE0EEEvPKT5_PKbPfiPT4_PiiiibPKf
    .private_segment_fixed_size: 0
    .sgpr_count:     27
    .sgpr_spill_count: 0
    .symbol:         _ZN4vllm3moe10topkGatingILi1ELi1ELi4ELi4ELi32ElfLNS0_11ScoringFuncE0EEEvPKT5_PKbPfiPT4_PiiiibPKf.kd
    .uniform_work_group_size: 1
    .uses_dynamic_stack: false
    .vgpr_count:     19
    .vgpr_spill_count: 0
    .wavefront_size: 64
  - .agpr_count:     0
    .args:
      - .address_space:  global
        .offset:         0
        .size:           8
        .value_kind:     global_buffer
      - .address_space:  global
        .offset:         8
        .size:           8
        .value_kind:     global_buffer
      - .address_space:  global
        .offset:         16
        .size:           8
        .value_kind:     global_buffer
      - .offset:         24
        .size:           4
        .value_kind:     by_value
      - .address_space:  global
        .offset:         32
        .size:           8
        .value_kind:     global_buffer
      - .address_space:  global
        .offset:         40
        .size:           8
        .value_kind:     global_buffer
      - .offset:         48
        .size:           4
        .value_kind:     by_value
      - .offset:         52
        .size:           4
        .value_kind:     by_value
      - .offset:         56
        .size:           4
        .value_kind:     by_value
      - .offset:         60
        .size:           1
        .value_kind:     by_value
      - .address_space:  global
        .offset:         64
        .size:           8
        .value_kind:     global_buffer
    .group_segment_fixed_size: 0
    .kernarg_segment_align: 8
    .kernarg_segment_size: 72
    .language:       OpenCL C
    .language_version:
      - 2
      - 0
    .max_flat_workgroup_size: 256
    .name:           _ZN4vllm3moe10topkGatingILi2ELi2ELi4ELi8ELi64ElfLNS0_11ScoringFuncE0EEEvPKT5_PKbPfiPT4_PiiiibPKf
    .private_segment_fixed_size: 0
    .sgpr_count:     28
    .sgpr_spill_count: 0
    .symbol:         _ZN4vllm3moe10topkGatingILi2ELi2ELi4ELi8ELi64ElfLNS0_11ScoringFuncE0EEEvPKT5_PKbPfiPT4_PiiiibPKf.kd
    .uniform_work_group_size: 1
    .uses_dynamic_stack: false
    .vgpr_count:     19
    .vgpr_spill_count: 0
    .wavefront_size: 64
  - .agpr_count:     0
    .args:
      - .address_space:  global
        .offset:         0
        .size:           8
        .value_kind:     global_buffer
      - .address_space:  global
        .offset:         8
        .size:           8
        .value_kind:     global_buffer
      - .address_space:  global
        .offset:         16
        .size:           8
        .value_kind:     global_buffer
      - .offset:         24
        .size:           4
        .value_kind:     by_value
      - .address_space:  global
        .offset:         32
        .size:           8
        .value_kind:     global_buffer
      - .address_space:  global
        .offset:         40
        .size:           8
        .value_kind:     global_buffer
      - .offset:         48
        .size:           4
        .value_kind:     by_value
      - .offset:         52
        .size:           4
        .value_kind:     by_value
      - .offset:         56
        .size:           4
        .value_kind:     by_value
      - .offset:         60
        .size:           1
        .value_kind:     by_value
      - .address_space:  global
        .offset:         64
        .size:           8
        .value_kind:     global_buffer
    .group_segment_fixed_size: 0
    .kernarg_segment_align: 8
    .kernarg_segment_size: 72
    .language:       OpenCL C
    .language_version:
      - 2
      - 0
    .max_flat_workgroup_size: 128
    .name:           _ZN4vllm3moe10topkGatingILi2ELi2ELi4ELi8ELi32ElfLNS0_11ScoringFuncE0EEEvPKT5_PKbPfiPT4_PiiiibPKf
    .private_segment_fixed_size: 0
    .sgpr_count:     28
    .sgpr_spill_count: 0
    .symbol:         _ZN4vllm3moe10topkGatingILi2ELi2ELi4ELi8ELi32ElfLNS0_11ScoringFuncE0EEEvPKT5_PKbPfiPT4_PiiiibPKf.kd
    .uniform_work_group_size: 1
    .uses_dynamic_stack: false
    .vgpr_count:     19
    .vgpr_spill_count: 0
    .wavefront_size: 64
  - .agpr_count:     0
    .args:
      - .address_space:  global
        .offset:         0
        .size:           8
        .value_kind:     global_buffer
      - .address_space:  global
        .offset:         8
        .size:           8
        .value_kind:     global_buffer
      - .address_space:  global
        .offset:         16
        .size:           8
        .value_kind:     global_buffer
      - .offset:         24
        .size:           4
        .value_kind:     by_value
      - .address_space:  global
        .offset:         32
        .size:           8
        .value_kind:     global_buffer
      - .address_space:  global
        .offset:         40
        .size:           8
        .value_kind:     global_buffer
      - .offset:         48
        .size:           4
        .value_kind:     by_value
      - .offset:         52
        .size:           4
        .value_kind:     by_value
      - .offset:         56
        .size:           4
        .value_kind:     by_value
      - .offset:         60
        .size:           1
        .value_kind:     by_value
      - .address_space:  global
        .offset:         64
        .size:           8
        .value_kind:     global_buffer
    .group_segment_fixed_size: 0
    .kernarg_segment_align: 8
    .kernarg_segment_size: 72
    .language:       OpenCL C
    .language_version:
      - 2
      - 0
    .max_flat_workgroup_size: 256
    .name:           _ZN4vllm3moe10topkGatingILi4ELi4ELi4ELi16ELi64ElfLNS0_11ScoringFuncE0EEEvPKT5_PKbPfiPT4_PiiiibPKf
    .private_segment_fixed_size: 0
    .sgpr_count:     28
    .sgpr_spill_count: 0
    .symbol:         _ZN4vllm3moe10topkGatingILi4ELi4ELi4ELi16ELi64ElfLNS0_11ScoringFuncE0EEEvPKT5_PKbPfiPT4_PiiiibPKf.kd
    .uniform_work_group_size: 1
    .uses_dynamic_stack: false
    .vgpr_count:     22
    .vgpr_spill_count: 0
    .wavefront_size: 64
  - .agpr_count:     0
    .args:
      - .address_space:  global
        .offset:         0
        .size:           8
        .value_kind:     global_buffer
      - .address_space:  global
        .offset:         8
        .size:           8
        .value_kind:     global_buffer
      - .address_space:  global
        .offset:         16
        .size:           8
        .value_kind:     global_buffer
      - .offset:         24
        .size:           4
        .value_kind:     by_value
      - .address_space:  global
        .offset:         32
        .size:           8
        .value_kind:     global_buffer
      - .address_space:  global
        .offset:         40
        .size:           8
        .value_kind:     global_buffer
      - .offset:         48
        .size:           4
        .value_kind:     by_value
      - .offset:         52
        .size:           4
        .value_kind:     by_value
      - .offset:         56
        .size:           4
        .value_kind:     by_value
      - .offset:         60
        .size:           1
        .value_kind:     by_value
      - .address_space:  global
        .offset:         64
        .size:           8
        .value_kind:     global_buffer
    .group_segment_fixed_size: 0
    .kernarg_segment_align: 8
    .kernarg_segment_size: 72
    .language:       OpenCL C
    .language_version:
      - 2
      - 0
    .max_flat_workgroup_size: 128
    .name:           _ZN4vllm3moe10topkGatingILi4ELi4ELi4ELi16ELi32ElfLNS0_11ScoringFuncE0EEEvPKT5_PKbPfiPT4_PiiiibPKf
    .private_segment_fixed_size: 0
    .sgpr_count:     28
    .sgpr_spill_count: 0
    .symbol:         _ZN4vllm3moe10topkGatingILi4ELi4ELi4ELi16ELi32ElfLNS0_11ScoringFuncE0EEEvPKT5_PKbPfiPT4_PiiiibPKf.kd
    .uniform_work_group_size: 1
    .uses_dynamic_stack: false
    .vgpr_count:     22
    .vgpr_spill_count: 0
    .wavefront_size: 64
  - .agpr_count:     0
    .args:
      - .address_space:  global
        .offset:         0
        .size:           8
        .value_kind:     global_buffer
      - .address_space:  global
        .offset:         8
        .size:           8
        .value_kind:     global_buffer
      - .address_space:  global
        .offset:         16
        .size:           8
        .value_kind:     global_buffer
      - .offset:         24
        .size:           4
        .value_kind:     by_value
      - .address_space:  global
        .offset:         32
        .size:           8
        .value_kind:     global_buffer
      - .address_space:  global
        .offset:         40
        .size:           8
        .value_kind:     global_buffer
      - .offset:         48
        .size:           4
        .value_kind:     by_value
      - .offset:         52
        .size:           4
        .value_kind:     by_value
      - .offset:         56
        .size:           4
        .value_kind:     by_value
      - .offset:         60
        .size:           1
        .value_kind:     by_value
      - .address_space:  global
        .offset:         64
        .size:           8
        .value_kind:     global_buffer
    .group_segment_fixed_size: 0
    .kernarg_segment_align: 8
    .kernarg_segment_size: 72
    .language:       OpenCL C
    .language_version:
      - 2
      - 0
    .max_flat_workgroup_size: 256
    .name:           _ZN4vllm3moe10topkGatingILi4ELi8ELi4ELi16ELi64ElfLNS0_11ScoringFuncE0EEEvPKT5_PKbPfiPT4_PiiiibPKf
    .private_segment_fixed_size: 0
    .sgpr_count:     30
    .sgpr_spill_count: 0
    .symbol:         _ZN4vllm3moe10topkGatingILi4ELi8ELi4ELi16ELi64ElfLNS0_11ScoringFuncE0EEEvPKT5_PKbPfiPT4_PiiiibPKf.kd
    .uniform_work_group_size: 1
    .uses_dynamic_stack: false
    .vgpr_count:     25
    .vgpr_spill_count: 0
    .wavefront_size: 64
  - .agpr_count:     0
    .args:
      - .address_space:  global
        .offset:         0
        .size:           8
        .value_kind:     global_buffer
      - .address_space:  global
        .offset:         8
        .size:           8
        .value_kind:     global_buffer
      - .address_space:  global
        .offset:         16
        .size:           8
        .value_kind:     global_buffer
      - .offset:         24
        .size:           4
        .value_kind:     by_value
      - .address_space:  global
        .offset:         32
        .size:           8
        .value_kind:     global_buffer
      - .address_space:  global
        .offset:         40
        .size:           8
        .value_kind:     global_buffer
      - .offset:         48
        .size:           4
        .value_kind:     by_value
      - .offset:         52
        .size:           4
        .value_kind:     by_value
      - .offset:         56
        .size:           4
        .value_kind:     by_value
      - .offset:         60
        .size:           1
        .value_kind:     by_value
      - .address_space:  global
        .offset:         64
        .size:           8
        .value_kind:     global_buffer
    .group_segment_fixed_size: 0
    .kernarg_segment_align: 8
    .kernarg_segment_size: 72
    .language:       OpenCL C
    .language_version:
      - 2
      - 0
    .max_flat_workgroup_size: 128
    .name:           _ZN4vllm3moe10topkGatingILi4ELi8ELi4ELi16ELi32ElfLNS0_11ScoringFuncE0EEEvPKT5_PKbPfiPT4_PiiiibPKf
    .private_segment_fixed_size: 0
    .sgpr_count:     30
    .sgpr_spill_count: 0
    .symbol:         _ZN4vllm3moe10topkGatingILi4ELi8ELi4ELi16ELi32ElfLNS0_11ScoringFuncE0EEEvPKT5_PKbPfiPT4_PiiiibPKf.kd
    .uniform_work_group_size: 1
    .uses_dynamic_stack: false
    .vgpr_count:     25
    .vgpr_spill_count: 0
    .wavefront_size: 64
  - .agpr_count:     0
    .args:
      - .address_space:  global
        .offset:         0
        .size:           8
        .value_kind:     global_buffer
      - .address_space:  global
        .offset:         8
        .size:           8
        .value_kind:     global_buffer
      - .address_space:  global
        .offset:         16
        .size:           8
        .value_kind:     global_buffer
      - .offset:         24
        .size:           4
        .value_kind:     by_value
      - .address_space:  global
        .offset:         32
        .size:           8
        .value_kind:     global_buffer
      - .address_space:  global
        .offset:         40
        .size:           8
        .value_kind:     global_buffer
      - .offset:         48
        .size:           4
        .value_kind:     by_value
      - .offset:         52
        .size:           4
        .value_kind:     by_value
      - .offset:         56
        .size:           4
        .value_kind:     by_value
      - .offset:         60
        .size:           1
        .value_kind:     by_value
      - .address_space:  global
        .offset:         64
        .size:           8
        .value_kind:     global_buffer
    .group_segment_fixed_size: 0
    .kernarg_segment_align: 8
    .kernarg_segment_size: 72
    .language:       OpenCL C
    .language_version:
      - 2
      - 0
    .max_flat_workgroup_size: 256
    .name:           _ZN4vllm3moe10topkGatingILi4ELi16ELi4ELi16ELi64ElfLNS0_11ScoringFuncE0EEEvPKT5_PKbPfiPT4_PiiiibPKf
    .private_segment_fixed_size: 0
    .sgpr_count:     28
    .sgpr_spill_count: 0
    .symbol:         _ZN4vllm3moe10topkGatingILi4ELi16ELi4ELi16ELi64ElfLNS0_11ScoringFuncE0EEEvPKT5_PKbPfiPT4_PiiiibPKf.kd
    .uniform_work_group_size: 1
    .uses_dynamic_stack: false
    .vgpr_count:     26
    .vgpr_spill_count: 0
    .wavefront_size: 64
  - .agpr_count:     0
    .args:
      - .address_space:  global
        .offset:         0
        .size:           8
        .value_kind:     global_buffer
      - .address_space:  global
        .offset:         8
        .size:           8
        .value_kind:     global_buffer
      - .address_space:  global
        .offset:         16
        .size:           8
        .value_kind:     global_buffer
      - .offset:         24
        .size:           4
        .value_kind:     by_value
      - .address_space:  global
        .offset:         32
        .size:           8
        .value_kind:     global_buffer
      - .address_space:  global
        .offset:         40
        .size:           8
        .value_kind:     global_buffer
      - .offset:         48
        .size:           4
        .value_kind:     by_value
      - .offset:         52
        .size:           4
        .value_kind:     by_value
      - .offset:         56
        .size:           4
        .value_kind:     by_value
      - .offset:         60
        .size:           1
        .value_kind:     by_value
      - .address_space:  global
        .offset:         64
        .size:           8
        .value_kind:     global_buffer
    .group_segment_fixed_size: 0
    .kernarg_segment_align: 8
    .kernarg_segment_size: 72
    .language:       OpenCL C
    .language_version:
      - 2
      - 0
    .max_flat_workgroup_size: 128
    .name:           _ZN4vllm3moe10topkGatingILi4ELi16ELi4ELi16ELi32ElfLNS0_11ScoringFuncE0EEEvPKT5_PKbPfiPT4_PiiiibPKf
    .private_segment_fixed_size: 0
    .sgpr_count:     28
    .sgpr_spill_count: 0
    .symbol:         _ZN4vllm3moe10topkGatingILi4ELi16ELi4ELi16ELi32ElfLNS0_11ScoringFuncE0EEEvPKT5_PKbPfiPT4_PiiiibPKf.kd
    .uniform_work_group_size: 1
    .uses_dynamic_stack: false
    .vgpr_count:     26
    .vgpr_spill_count: 0
    .wavefront_size: 64
  - .agpr_count:     0
    .args:
      - .address_space:  global
        .offset:         0
        .size:           8
        .value_kind:     global_buffer
      - .address_space:  global
        .offset:         8
        .size:           8
        .value_kind:     global_buffer
      - .address_space:  global
        .offset:         16
        .size:           8
        .value_kind:     global_buffer
      - .offset:         24
        .size:           4
        .value_kind:     by_value
      - .address_space:  global
        .offset:         32
        .size:           8
        .value_kind:     global_buffer
      - .address_space:  global
        .offset:         40
        .size:           8
        .value_kind:     global_buffer
      - .offset:         48
        .size:           4
        .value_kind:     by_value
      - .offset:         52
        .size:           4
        .value_kind:     by_value
      - .offset:         56
        .size:           4
        .value_kind:     by_value
      - .offset:         60
        .size:           1
        .value_kind:     by_value
      - .address_space:  global
        .offset:         64
        .size:           8
        .value_kind:     global_buffer
    .group_segment_fixed_size: 0
    .kernarg_segment_align: 8
    .kernarg_segment_size: 72
    .language:       OpenCL C
    .language_version:
      - 2
      - 0
    .max_flat_workgroup_size: 256
    .name:           _ZN4vllm3moe10topkGatingILi4ELi32ELi4ELi16ELi64ElfLNS0_11ScoringFuncE0EEEvPKT5_PKbPfiPT4_PiiiibPKf
    .private_segment_fixed_size: 0
    .sgpr_count:     30
    .sgpr_spill_count: 0
    .symbol:         _ZN4vllm3moe10topkGatingILi4ELi32ELi4ELi16ELi64ElfLNS0_11ScoringFuncE0EEEvPKT5_PKbPfiPT4_PiiiibPKf.kd
    .uniform_work_group_size: 1
    .uses_dynamic_stack: false
    .vgpr_count:     27
    .vgpr_spill_count: 0
    .wavefront_size: 64
  - .agpr_count:     0
    .args:
      - .address_space:  global
        .offset:         0
        .size:           8
        .value_kind:     global_buffer
      - .address_space:  global
        .offset:         8
        .size:           8
        .value_kind:     global_buffer
      - .address_space:  global
        .offset:         16
        .size:           8
        .value_kind:     global_buffer
      - .offset:         24
        .size:           4
        .value_kind:     by_value
      - .address_space:  global
        .offset:         32
        .size:           8
        .value_kind:     global_buffer
      - .address_space:  global
        .offset:         40
        .size:           8
        .value_kind:     global_buffer
      - .offset:         48
        .size:           4
        .value_kind:     by_value
      - .offset:         52
        .size:           4
        .value_kind:     by_value
      - .offset:         56
        .size:           4
        .value_kind:     by_value
      - .offset:         60
        .size:           1
        .value_kind:     by_value
      - .address_space:  global
        .offset:         64
        .size:           8
        .value_kind:     global_buffer
    .group_segment_fixed_size: 0
    .kernarg_segment_align: 8
    .kernarg_segment_size: 72
    .language:       OpenCL C
    .language_version:
      - 2
      - 0
    .max_flat_workgroup_size: 128
    .name:           _ZN4vllm3moe10topkGatingILi4ELi32ELi4ELi16ELi32ElfLNS0_11ScoringFuncE0EEEvPKT5_PKbPfiPT4_PiiiibPKf
    .private_segment_fixed_size: 0
    .sgpr_count:     30
    .sgpr_spill_count: 0
    .symbol:         _ZN4vllm3moe10topkGatingILi4ELi32ELi4ELi16ELi32ElfLNS0_11ScoringFuncE0EEEvPKT5_PKbPfiPT4_PiiiibPKf.kd
    .uniform_work_group_size: 1
    .uses_dynamic_stack: false
    .vgpr_count:     27
    .vgpr_spill_count: 0
    .wavefront_size: 64
  - .agpr_count:     0
    .args:
      - .address_space:  global
        .offset:         0
        .size:           8
        .value_kind:     global_buffer
      - .address_space:  global
        .offset:         8
        .size:           8
        .value_kind:     global_buffer
      - .address_space:  global
        .offset:         16
        .size:           8
        .value_kind:     global_buffer
      - .offset:         24
        .size:           4
        .value_kind:     by_value
      - .address_space:  global
        .offset:         32
        .size:           8
        .value_kind:     global_buffer
      - .address_space:  global
        .offset:         40
        .size:           8
        .value_kind:     global_buffer
      - .offset:         48
        .size:           4
        .value_kind:     by_value
      - .offset:         52
        .size:           4
        .value_kind:     by_value
      - .offset:         56
        .size:           4
        .value_kind:     by_value
      - .offset:         60
        .size:           1
        .value_kind:     by_value
      - .address_space:  global
        .offset:         64
        .size:           8
        .value_kind:     global_buffer
    .group_segment_fixed_size: 0
    .kernarg_segment_align: 8
    .kernarg_segment_size: 72
    .language:       OpenCL C
    .language_version:
      - 2
      - 0
    .max_flat_workgroup_size: 256
    .name:           _ZN4vllm3moe10topkGatingILi4ELi64ELi4ELi16ELi64ElfLNS0_11ScoringFuncE0EEEvPKT5_PKbPfiPT4_PiiiibPKf
    .private_segment_fixed_size: 0
    .sgpr_count:     30
    .sgpr_spill_count: 0
    .symbol:         _ZN4vllm3moe10topkGatingILi4ELi64ELi4ELi16ELi64ElfLNS0_11ScoringFuncE0EEEvPKT5_PKbPfiPT4_PiiiibPKf.kd
    .uniform_work_group_size: 1
    .uses_dynamic_stack: false
    .vgpr_count:     28
    .vgpr_spill_count: 0
    .wavefront_size: 64
  - .agpr_count:     0
    .args:
      - .address_space:  global
        .offset:         0
        .size:           8
        .value_kind:     global_buffer
      - .address_space:  global
        .offset:         8
        .size:           8
        .value_kind:     global_buffer
      - .address_space:  global
        .offset:         16
        .size:           8
        .value_kind:     global_buffer
      - .offset:         24
        .size:           4
        .value_kind:     by_value
      - .address_space:  global
        .offset:         32
        .size:           8
        .value_kind:     global_buffer
      - .address_space:  global
        .offset:         40
        .size:           8
        .value_kind:     global_buffer
      - .offset:         48
        .size:           4
        .value_kind:     by_value
      - .offset:         52
        .size:           4
        .value_kind:     by_value
      - .offset:         56
        .size:           4
        .value_kind:     by_value
      - .offset:         60
        .size:           1
        .value_kind:     by_value
      - .address_space:  global
        .offset:         64
        .size:           8
        .value_kind:     global_buffer
    .group_segment_fixed_size: 0
    .kernarg_segment_align: 8
    .kernarg_segment_size: 72
    .language:       OpenCL C
    .language_version:
      - 2
      - 0
    .max_flat_workgroup_size: 128
    .name:           _ZN4vllm3moe10topkGatingILi4ELi64ELi4ELi16ELi32ElfLNS0_11ScoringFuncE0EEEvPKT5_PKbPfiPT4_PiiiibPKf
    .private_segment_fixed_size: 0
    .sgpr_count:     30
    .sgpr_spill_count: 0
    .symbol:         _ZN4vllm3moe10topkGatingILi4ELi64ELi4ELi16ELi32ElfLNS0_11ScoringFuncE0EEEvPKT5_PKbPfiPT4_PiiiibPKf.kd
    .uniform_work_group_size: 1
    .uses_dynamic_stack: false
    .vgpr_count:     28
    .vgpr_spill_count: 0
    .wavefront_size: 64
  - .agpr_count:     0
    .args:
      - .address_space:  global
        .offset:         0
        .size:           8
        .value_kind:     global_buffer
      - .address_space:  global
        .offset:         8
        .size:           8
        .value_kind:     global_buffer
      - .address_space:  global
        .offset:         16
        .size:           8
        .value_kind:     global_buffer
      - .offset:         24
        .size:           4
        .value_kind:     by_value
      - .address_space:  global
        .offset:         32
        .size:           8
        .value_kind:     global_buffer
      - .address_space:  global
        .offset:         40
        .size:           8
        .value_kind:     global_buffer
      - .offset:         48
        .size:           4
        .value_kind:     by_value
      - .offset:         52
        .size:           4
        .value_kind:     by_value
      - .offset:         56
        .size:           4
        .value_kind:     by_value
      - .offset:         60
        .size:           1
        .value_kind:     by_value
      - .address_space:  global
        .offset:         64
        .size:           8
        .value_kind:     global_buffer
    .group_segment_fixed_size: 0
    .kernarg_segment_align: 8
    .kernarg_segment_size: 72
    .language:       OpenCL C
    .language_version:
      - 2
      - 0
    .max_flat_workgroup_size: 256
    .name:           _ZN4vllm3moe10topkGatingILi4ELi128ELi4ELi16ELi64ElfLNS0_11ScoringFuncE0EEEvPKT5_PKbPfiPT4_PiiiibPKf
    .private_segment_fixed_size: 0
    .sgpr_count:     30
    .sgpr_spill_count: 0
    .symbol:         _ZN4vllm3moe10topkGatingILi4ELi128ELi4ELi16ELi64ElfLNS0_11ScoringFuncE0EEEvPKT5_PKbPfiPT4_PiiiibPKf.kd
    .uniform_work_group_size: 1
    .uses_dynamic_stack: false
    .vgpr_count:     30
    .vgpr_spill_count: 0
    .wavefront_size: 64
  - .agpr_count:     0
    .args:
      - .address_space:  global
        .offset:         0
        .size:           8
        .value_kind:     global_buffer
      - .address_space:  global
        .offset:         8
        .size:           8
        .value_kind:     global_buffer
      - .address_space:  global
        .offset:         16
        .size:           8
        .value_kind:     global_buffer
      - .offset:         24
        .size:           4
        .value_kind:     by_value
      - .address_space:  global
        .offset:         32
        .size:           8
        .value_kind:     global_buffer
      - .address_space:  global
        .offset:         40
        .size:           8
        .value_kind:     global_buffer
      - .offset:         48
        .size:           4
        .value_kind:     by_value
      - .offset:         52
        .size:           4
        .value_kind:     by_value
      - .offset:         56
        .size:           4
        .value_kind:     by_value
      - .offset:         60
        .size:           1
        .value_kind:     by_value
      - .address_space:  global
        .offset:         64
        .size:           8
        .value_kind:     global_buffer
    .group_segment_fixed_size: 0
    .kernarg_segment_align: 8
    .kernarg_segment_size: 72
    .language:       OpenCL C
    .language_version:
      - 2
      - 0
    .max_flat_workgroup_size: 128
    .name:           _ZN4vllm3moe10topkGatingILi4ELi128ELi4ELi16ELi32ElfLNS0_11ScoringFuncE0EEEvPKT5_PKbPfiPT4_PiiiibPKf
    .private_segment_fixed_size: 0
    .sgpr_count:     30
    .sgpr_spill_count: 0
    .symbol:         _ZN4vllm3moe10topkGatingILi4ELi128ELi4ELi16ELi32ElfLNS0_11ScoringFuncE0EEEvPKT5_PKbPfiPT4_PiiiibPKf.kd
    .uniform_work_group_size: 1
    .uses_dynamic_stack: false
    .vgpr_count:     30
    .vgpr_spill_count: 0
    .wavefront_size: 64
  - .agpr_count:     0
    .args:
      - .address_space:  global
        .offset:         0
        .size:           8
        .value_kind:     global_buffer
      - .address_space:  global
        .offset:         8
        .size:           8
        .value_kind:     global_buffer
      - .address_space:  global
        .offset:         16
        .size:           8
        .value_kind:     global_buffer
      - .offset:         24
        .size:           4
        .value_kind:     by_value
      - .address_space:  global
        .offset:         32
        .size:           8
        .value_kind:     global_buffer
      - .address_space:  global
        .offset:         40
        .size:           8
        .value_kind:     global_buffer
      - .offset:         48
        .size:           4
        .value_kind:     by_value
      - .offset:         52
        .size:           4
        .value_kind:     by_value
      - .offset:         56
        .size:           4
        .value_kind:     by_value
      - .offset:         60
        .size:           1
        .value_kind:     by_value
      - .address_space:  global
        .offset:         64
        .size:           8
        .value_kind:     global_buffer
    .group_segment_fixed_size: 0
    .kernarg_segment_align: 8
    .kernarg_segment_size: 72
    .language:       OpenCL C
    .language_version:
      - 2
      - 0
    .max_flat_workgroup_size: 256
    .name:           _ZN4vllm3moe10topkGatingILi4ELi256ELi4ELi16ELi64ElfLNS0_11ScoringFuncE0EEEvPKT5_PKbPfiPT4_PiiiibPKf
    .private_segment_fixed_size: 0
    .sgpr_count:     30
    .sgpr_spill_count: 0
    .symbol:         _ZN4vllm3moe10topkGatingILi4ELi256ELi4ELi16ELi64ElfLNS0_11ScoringFuncE0EEEvPKT5_PKbPfiPT4_PiiiibPKf.kd
    .uniform_work_group_size: 1
    .uses_dynamic_stack: false
    .vgpr_count:     31
    .vgpr_spill_count: 0
    .wavefront_size: 64
  - .agpr_count:     0
    .args:
      - .address_space:  global
        .offset:         0
        .size:           8
        .value_kind:     global_buffer
      - .address_space:  global
        .offset:         8
        .size:           8
        .value_kind:     global_buffer
      - .address_space:  global
        .offset:         16
        .size:           8
        .value_kind:     global_buffer
      - .offset:         24
        .size:           4
        .value_kind:     by_value
      - .address_space:  global
        .offset:         32
        .size:           8
        .value_kind:     global_buffer
      - .address_space:  global
        .offset:         40
        .size:           8
        .value_kind:     global_buffer
      - .offset:         48
        .size:           4
        .value_kind:     by_value
      - .offset:         52
        .size:           4
        .value_kind:     by_value
      - .offset:         56
        .size:           4
        .value_kind:     by_value
      - .offset:         60
        .size:           1
        .value_kind:     by_value
      - .address_space:  global
        .offset:         64
        .size:           8
        .value_kind:     global_buffer
    .group_segment_fixed_size: 0
    .kernarg_segment_align: 8
    .kernarg_segment_size: 72
    .language:       OpenCL C
    .language_version:
      - 2
      - 0
    .max_flat_workgroup_size: 128
    .name:           _ZN4vllm3moe10topkGatingILi8ELi256ELi4ELi16ELi32ElfLNS0_11ScoringFuncE0EEEvPKT5_PKbPfiPT4_PiiiibPKf
    .private_segment_fixed_size: 0
    .sgpr_count:     30
    .sgpr_spill_count: 0
    .symbol:         _ZN4vllm3moe10topkGatingILi8ELi256ELi4ELi16ELi32ElfLNS0_11ScoringFuncE0EEEvPKT5_PKbPfiPT4_PiiiibPKf.kd
    .uniform_work_group_size: 1
    .uses_dynamic_stack: false
    .vgpr_count:     42
    .vgpr_spill_count: 0
    .wavefront_size: 64
  - .agpr_count:     0
    .args:
      - .address_space:  global
        .offset:         0
        .size:           8
        .value_kind:     global_buffer
      - .address_space:  global
        .offset:         8
        .size:           8
        .value_kind:     global_buffer
      - .address_space:  global
        .offset:         16
        .size:           8
        .value_kind:     global_buffer
      - .offset:         24
        .size:           4
        .value_kind:     by_value
      - .address_space:  global
        .offset:         32
        .size:           8
        .value_kind:     global_buffer
      - .address_space:  global
        .offset:         40
        .size:           8
        .value_kind:     global_buffer
      - .offset:         48
        .size:           4
        .value_kind:     by_value
      - .offset:         52
        .size:           4
        .value_kind:     by_value
      - .offset:         56
        .size:           4
        .value_kind:     by_value
      - .offset:         60
        .size:           1
        .value_kind:     by_value
      - .address_space:  global
        .offset:         64
        .size:           8
        .value_kind:     global_buffer
    .group_segment_fixed_size: 0
    .kernarg_segment_align: 8
    .kernarg_segment_size: 72
    .language:       OpenCL C
    .language_version:
      - 2
      - 0
    .max_flat_workgroup_size: 256
    .name:           _ZN4vllm3moe10topkGatingILi8ELi512ELi4ELi16ELi64ElfLNS0_11ScoringFuncE0EEEvPKT5_PKbPfiPT4_PiiiibPKf
    .private_segment_fixed_size: 0
    .sgpr_count:     30
    .sgpr_spill_count: 0
    .symbol:         _ZN4vllm3moe10topkGatingILi8ELi512ELi4ELi16ELi64ElfLNS0_11ScoringFuncE0EEEvPKT5_PKbPfiPT4_PiiiibPKf.kd
    .uniform_work_group_size: 1
    .uses_dynamic_stack: false
    .vgpr_count:     43
    .vgpr_spill_count: 0
    .wavefront_size: 64
  - .agpr_count:     0
    .args:
      - .address_space:  global
        .offset:         0
        .size:           8
        .value_kind:     global_buffer
      - .address_space:  global
        .offset:         8
        .size:           8
        .value_kind:     global_buffer
      - .address_space:  global
        .offset:         16
        .size:           8
        .value_kind:     global_buffer
      - .offset:         24
        .size:           4
        .value_kind:     by_value
      - .address_space:  global
        .offset:         32
        .size:           8
        .value_kind:     global_buffer
      - .address_space:  global
        .offset:         40
        .size:           8
        .value_kind:     global_buffer
      - .offset:         48
        .size:           4
        .value_kind:     by_value
      - .offset:         52
        .size:           4
        .value_kind:     by_value
      - .offset:         56
        .size:           4
        .value_kind:     by_value
      - .offset:         60
        .size:           1
        .value_kind:     by_value
      - .address_space:  global
        .offset:         64
        .size:           8
        .value_kind:     global_buffer
    .group_segment_fixed_size: 0
    .kernarg_segment_align: 8
    .kernarg_segment_size: 72
    .language:       OpenCL C
    .language_version:
      - 2
      - 0
    .max_flat_workgroup_size: 128
    .name:           _ZN4vllm3moe10topkGatingILi16ELi512ELi4ELi16ELi32ElfLNS0_11ScoringFuncE0EEEvPKT5_PKbPfiPT4_PiiiibPKf
    .private_segment_fixed_size: 0
    .sgpr_count:     30
    .sgpr_spill_count: 0
    .symbol:         _ZN4vllm3moe10topkGatingILi16ELi512ELi4ELi16ELi32ElfLNS0_11ScoringFuncE0EEEvPKT5_PKbPfiPT4_PiiiibPKf.kd
    .uniform_work_group_size: 1
    .uses_dynamic_stack: false
    .vgpr_count:     63
    .vgpr_spill_count: 0
    .wavefront_size: 64
  - .agpr_count:     0
    .args:
      - .address_space:  global
        .offset:         0
        .size:           8
        .value_kind:     global_buffer
      - .address_space:  global
        .offset:         8
        .size:           8
        .value_kind:     global_buffer
      - .address_space:  global
        .offset:         16
        .size:           8
        .value_kind:     global_buffer
      - .address_space:  global
        .offset:         24
        .size:           8
        .value_kind:     global_buffer
      - .address_space:  global
        .offset:         32
        .size:           8
        .value_kind:     global_buffer
      - .offset:         40
        .size:           4
        .value_kind:     by_value
      - .offset:         44
        .size:           4
        .value_kind:     by_value
      - .offset:         48
        .size:           4
        .value_kind:     by_value
      - .offset:         52
        .size:           4
        .value_kind:     by_value
      - .offset:         56
        .size:           1
        .value_kind:     by_value
      - .address_space:  global
        .offset:         64
        .size:           8
        .value_kind:     global_buffer
      - .offset:         72
        .size:           4
        .value_kind:     hidden_block_count_x
      - .offset:         76
        .size:           4
        .value_kind:     hidden_block_count_y
      - .offset:         80
        .size:           4
        .value_kind:     hidden_block_count_z
      - .offset:         84
        .size:           2
        .value_kind:     hidden_group_size_x
      - .offset:         86
        .size:           2
        .value_kind:     hidden_group_size_y
      - .offset:         88
        .size:           2
        .value_kind:     hidden_group_size_z
      - .offset:         90
        .size:           2
        .value_kind:     hidden_remainder_x
      - .offset:         92
        .size:           2
        .value_kind:     hidden_remainder_y
      - .offset:         94
        .size:           2
        .value_kind:     hidden_remainder_z
      - .offset:         112
        .size:           8
        .value_kind:     hidden_global_offset_x
      - .offset:         120
        .size:           8
        .value_kind:     hidden_global_offset_y
      - .offset:         128
        .size:           8
        .value_kind:     hidden_global_offset_z
      - .offset:         136
        .size:           2
        .value_kind:     hidden_grid_dims
      - .offset:         152
        .size:           8
        .value_kind:     hidden_hostcall_buffer
    .group_segment_fixed_size: 32
    .kernarg_segment_align: 8
    .kernarg_segment_size: 328
    .language:       OpenCL C
    .language_version:
      - 2
      - 0
    .max_flat_workgroup_size: 256
    .name:           _ZN4vllm3moe7moeTopKILi256ElEEvPKfPKbPfPT0_PiiiiibS3_
    .private_segment_fixed_size: 64
    .sgpr_count:     65
    .sgpr_spill_count: 0
    .symbol:         _ZN4vllm3moe7moeTopKILi256ElEEvPKfPKbPfPT0_PiiiiibS3_.kd
    .uniform_work_group_size: 1
    .uses_dynamic_stack: false
    .vgpr_count:     41
    .vgpr_spill_count: 0
    .wavefront_size: 64
  - .agpr_count:     0
    .args:
      - .address_space:  global
        .offset:         0
        .size:           8
        .value_kind:     global_buffer
      - .address_space:  global
        .offset:         8
        .size:           8
        .value_kind:     global_buffer
      - .address_space:  global
        .offset:         16
        .size:           8
        .value_kind:     global_buffer
      - .offset:         24
        .size:           4
        .value_kind:     by_value
      - .address_space:  global
        .offset:         32
        .size:           8
        .value_kind:     global_buffer
      - .address_space:  global
        .offset:         40
        .size:           8
        .value_kind:     global_buffer
      - .offset:         48
        .size:           4
        .value_kind:     by_value
      - .offset:         52
        .size:           4
        .value_kind:     by_value
      - .offset:         56
        .size:           4
        .value_kind:     by_value
      - .offset:         60
        .size:           1
        .value_kind:     by_value
      - .address_space:  global
        .offset:         64
        .size:           8
        .value_kind:     global_buffer
    .group_segment_fixed_size: 0
    .kernarg_segment_align: 8
    .kernarg_segment_size: 72
    .language:       OpenCL C
    .language_version:
      - 2
      - 0
    .max_flat_workgroup_size: 256
    .name:           _ZN4vllm3moe10topkGatingILi1ELi1ELi4ELi2ELi64Ei6__halfLNS0_11ScoringFuncE0EEEvPKT5_PKbPfiPT4_PiiiibPKf
    .private_segment_fixed_size: 0
    .sgpr_count:     27
    .sgpr_spill_count: 0
    .symbol:         _ZN4vllm3moe10topkGatingILi1ELi1ELi4ELi2ELi64Ei6__halfLNS0_11ScoringFuncE0EEEvPKT5_PKbPfiPT4_PiiiibPKf.kd
    .uniform_work_group_size: 1
    .uses_dynamic_stack: false
    .vgpr_count:     19
    .vgpr_spill_count: 0
    .wavefront_size: 64
  - .agpr_count:     0
    .args:
      - .address_space:  global
        .offset:         0
        .size:           8
        .value_kind:     global_buffer
      - .address_space:  global
        .offset:         8
        .size:           8
        .value_kind:     global_buffer
      - .address_space:  global
        .offset:         16
        .size:           8
        .value_kind:     global_buffer
      - .offset:         24
        .size:           4
        .value_kind:     by_value
      - .address_space:  global
        .offset:         32
        .size:           8
        .value_kind:     global_buffer
      - .address_space:  global
        .offset:         40
        .size:           8
        .value_kind:     global_buffer
      - .offset:         48
        .size:           4
        .value_kind:     by_value
      - .offset:         52
        .size:           4
        .value_kind:     by_value
      - .offset:         56
        .size:           4
        .value_kind:     by_value
      - .offset:         60
        .size:           1
        .value_kind:     by_value
      - .address_space:  global
        .offset:         64
        .size:           8
        .value_kind:     global_buffer
    .group_segment_fixed_size: 0
    .kernarg_segment_align: 8
    .kernarg_segment_size: 72
    .language:       OpenCL C
    .language_version:
      - 2
      - 0
    .max_flat_workgroup_size: 128
    .name:           _ZN4vllm3moe10topkGatingILi1ELi1ELi4ELi2ELi32Ei6__halfLNS0_11ScoringFuncE0EEEvPKT5_PKbPfiPT4_PiiiibPKf
    .private_segment_fixed_size: 0
    .sgpr_count:     27
    .sgpr_spill_count: 0
    .symbol:         _ZN4vllm3moe10topkGatingILi1ELi1ELi4ELi2ELi32Ei6__halfLNS0_11ScoringFuncE0EEEvPKT5_PKbPfiPT4_PiiiibPKf.kd
    .uniform_work_group_size: 1
    .uses_dynamic_stack: false
    .vgpr_count:     19
    .vgpr_spill_count: 0
    .wavefront_size: 64
  - .agpr_count:     0
    .args:
      - .address_space:  global
        .offset:         0
        .size:           8
        .value_kind:     global_buffer
      - .address_space:  global
        .offset:         8
        .size:           8
        .value_kind:     global_buffer
      - .address_space:  global
        .offset:         16
        .size:           8
        .value_kind:     global_buffer
      - .offset:         24
        .size:           4
        .value_kind:     by_value
      - .address_space:  global
        .offset:         32
        .size:           8
        .value_kind:     global_buffer
      - .address_space:  global
        .offset:         40
        .size:           8
        .value_kind:     global_buffer
      - .offset:         48
        .size:           4
        .value_kind:     by_value
      - .offset:         52
        .size:           4
        .value_kind:     by_value
      - .offset:         56
        .size:           4
        .value_kind:     by_value
      - .offset:         60
        .size:           1
        .value_kind:     by_value
      - .address_space:  global
        .offset:         64
        .size:           8
        .value_kind:     global_buffer
    .group_segment_fixed_size: 0
    .kernarg_segment_align: 8
    .kernarg_segment_size: 72
    .language:       OpenCL C
    .language_version:
      - 2
      - 0
    .max_flat_workgroup_size: 256
    .name:           _ZN4vllm3moe10topkGatingILi2ELi2ELi4ELi4ELi64Ei6__halfLNS0_11ScoringFuncE0EEEvPKT5_PKbPfiPT4_PiiiibPKf
    .private_segment_fixed_size: 0
    .sgpr_count:     28
    .sgpr_spill_count: 0
    .symbol:         _ZN4vllm3moe10topkGatingILi2ELi2ELi4ELi4ELi64Ei6__halfLNS0_11ScoringFuncE0EEEvPKT5_PKbPfiPT4_PiiiibPKf.kd
    .uniform_work_group_size: 1
    .uses_dynamic_stack: false
    .vgpr_count:     19
    .vgpr_spill_count: 0
    .wavefront_size: 64
  - .agpr_count:     0
    .args:
      - .address_space:  global
        .offset:         0
        .size:           8
        .value_kind:     global_buffer
      - .address_space:  global
        .offset:         8
        .size:           8
        .value_kind:     global_buffer
      - .address_space:  global
        .offset:         16
        .size:           8
        .value_kind:     global_buffer
      - .offset:         24
        .size:           4
        .value_kind:     by_value
      - .address_space:  global
        .offset:         32
        .size:           8
        .value_kind:     global_buffer
      - .address_space:  global
        .offset:         40
        .size:           8
        .value_kind:     global_buffer
      - .offset:         48
        .size:           4
        .value_kind:     by_value
      - .offset:         52
        .size:           4
        .value_kind:     by_value
      - .offset:         56
        .size:           4
        .value_kind:     by_value
      - .offset:         60
        .size:           1
        .value_kind:     by_value
      - .address_space:  global
        .offset:         64
        .size:           8
        .value_kind:     global_buffer
    .group_segment_fixed_size: 0
    .kernarg_segment_align: 8
    .kernarg_segment_size: 72
    .language:       OpenCL C
    .language_version:
      - 2
      - 0
    .max_flat_workgroup_size: 128
    .name:           _ZN4vllm3moe10topkGatingILi2ELi2ELi4ELi4ELi32Ei6__halfLNS0_11ScoringFuncE0EEEvPKT5_PKbPfiPT4_PiiiibPKf
    .private_segment_fixed_size: 0
    .sgpr_count:     28
    .sgpr_spill_count: 0
    .symbol:         _ZN4vllm3moe10topkGatingILi2ELi2ELi4ELi4ELi32Ei6__halfLNS0_11ScoringFuncE0EEEvPKT5_PKbPfiPT4_PiiiibPKf.kd
    .uniform_work_group_size: 1
    .uses_dynamic_stack: false
    .vgpr_count:     19
    .vgpr_spill_count: 0
    .wavefront_size: 64
  - .agpr_count:     0
    .args:
      - .address_space:  global
        .offset:         0
        .size:           8
        .value_kind:     global_buffer
      - .address_space:  global
        .offset:         8
        .size:           8
        .value_kind:     global_buffer
      - .address_space:  global
        .offset:         16
        .size:           8
        .value_kind:     global_buffer
      - .offset:         24
        .size:           4
        .value_kind:     by_value
      - .address_space:  global
        .offset:         32
        .size:           8
        .value_kind:     global_buffer
      - .address_space:  global
        .offset:         40
        .size:           8
        .value_kind:     global_buffer
      - .offset:         48
        .size:           4
        .value_kind:     by_value
      - .offset:         52
        .size:           4
        .value_kind:     by_value
      - .offset:         56
        .size:           4
        .value_kind:     by_value
      - .offset:         60
        .size:           1
        .value_kind:     by_value
      - .address_space:  global
        .offset:         64
        .size:           8
        .value_kind:     global_buffer
    .group_segment_fixed_size: 0
    .kernarg_segment_align: 8
    .kernarg_segment_size: 72
    .language:       OpenCL C
    .language_version:
      - 2
      - 0
    .max_flat_workgroup_size: 256
    .name:           _ZN4vllm3moe10topkGatingILi4ELi4ELi4ELi8ELi64Ei6__halfLNS0_11ScoringFuncE0EEEvPKT5_PKbPfiPT4_PiiiibPKf
    .private_segment_fixed_size: 0
    .sgpr_count:     28
    .sgpr_spill_count: 0
    .symbol:         _ZN4vllm3moe10topkGatingILi4ELi4ELi4ELi8ELi64Ei6__halfLNS0_11ScoringFuncE0EEEvPKT5_PKbPfiPT4_PiiiibPKf.kd
    .uniform_work_group_size: 1
    .uses_dynamic_stack: false
    .vgpr_count:     22
    .vgpr_spill_count: 0
    .wavefront_size: 64
  - .agpr_count:     0
    .args:
      - .address_space:  global
        .offset:         0
        .size:           8
        .value_kind:     global_buffer
      - .address_space:  global
        .offset:         8
        .size:           8
        .value_kind:     global_buffer
      - .address_space:  global
        .offset:         16
        .size:           8
        .value_kind:     global_buffer
      - .offset:         24
        .size:           4
        .value_kind:     by_value
      - .address_space:  global
        .offset:         32
        .size:           8
        .value_kind:     global_buffer
      - .address_space:  global
        .offset:         40
        .size:           8
        .value_kind:     global_buffer
      - .offset:         48
        .size:           4
        .value_kind:     by_value
      - .offset:         52
        .size:           4
        .value_kind:     by_value
      - .offset:         56
        .size:           4
        .value_kind:     by_value
      - .offset:         60
        .size:           1
        .value_kind:     by_value
      - .address_space:  global
        .offset:         64
        .size:           8
        .value_kind:     global_buffer
    .group_segment_fixed_size: 0
    .kernarg_segment_align: 8
    .kernarg_segment_size: 72
    .language:       OpenCL C
    .language_version:
      - 2
      - 0
    .max_flat_workgroup_size: 128
    .name:           _ZN4vllm3moe10topkGatingILi4ELi4ELi4ELi8ELi32Ei6__halfLNS0_11ScoringFuncE0EEEvPKT5_PKbPfiPT4_PiiiibPKf
    .private_segment_fixed_size: 0
    .sgpr_count:     28
    .sgpr_spill_count: 0
    .symbol:         _ZN4vllm3moe10topkGatingILi4ELi4ELi4ELi8ELi32Ei6__halfLNS0_11ScoringFuncE0EEEvPKT5_PKbPfiPT4_PiiiibPKf.kd
    .uniform_work_group_size: 1
    .uses_dynamic_stack: false
    .vgpr_count:     22
    .vgpr_spill_count: 0
    .wavefront_size: 64
  - .agpr_count:     0
    .args:
      - .address_space:  global
        .offset:         0
        .size:           8
        .value_kind:     global_buffer
      - .address_space:  global
        .offset:         8
        .size:           8
        .value_kind:     global_buffer
      - .address_space:  global
        .offset:         16
        .size:           8
        .value_kind:     global_buffer
      - .offset:         24
        .size:           4
        .value_kind:     by_value
      - .address_space:  global
        .offset:         32
        .size:           8
        .value_kind:     global_buffer
      - .address_space:  global
        .offset:         40
        .size:           8
        .value_kind:     global_buffer
      - .offset:         48
        .size:           4
        .value_kind:     by_value
      - .offset:         52
        .size:           4
        .value_kind:     by_value
      - .offset:         56
        .size:           4
        .value_kind:     by_value
      - .offset:         60
        .size:           1
        .value_kind:     by_value
      - .address_space:  global
        .offset:         64
        .size:           8
        .value_kind:     global_buffer
    .group_segment_fixed_size: 0
    .kernarg_segment_align: 8
    .kernarg_segment_size: 72
    .language:       OpenCL C
    .language_version:
      - 2
      - 0
    .max_flat_workgroup_size: 256
    .name:           _ZN4vllm3moe10topkGatingILi8ELi8ELi4ELi16ELi64Ei6__halfLNS0_11ScoringFuncE0EEEvPKT5_PKbPfiPT4_PiiiibPKf
    .private_segment_fixed_size: 0
    .sgpr_count:     32
    .sgpr_spill_count: 0
    .symbol:         _ZN4vllm3moe10topkGatingILi8ELi8ELi4ELi16ELi64Ei6__halfLNS0_11ScoringFuncE0EEEvPKT5_PKbPfiPT4_PiiiibPKf.kd
    .uniform_work_group_size: 1
    .uses_dynamic_stack: false
    .vgpr_count:     32
    .vgpr_spill_count: 0
    .wavefront_size: 64
  - .agpr_count:     0
    .args:
      - .address_space:  global
        .offset:         0
        .size:           8
        .value_kind:     global_buffer
      - .address_space:  global
        .offset:         8
        .size:           8
        .value_kind:     global_buffer
      - .address_space:  global
        .offset:         16
        .size:           8
        .value_kind:     global_buffer
      - .offset:         24
        .size:           4
        .value_kind:     by_value
      - .address_space:  global
        .offset:         32
        .size:           8
        .value_kind:     global_buffer
      - .address_space:  global
        .offset:         40
        .size:           8
        .value_kind:     global_buffer
      - .offset:         48
        .size:           4
        .value_kind:     by_value
      - .offset:         52
        .size:           4
        .value_kind:     by_value
      - .offset:         56
        .size:           4
        .value_kind:     by_value
      - .offset:         60
        .size:           1
        .value_kind:     by_value
      - .address_space:  global
        .offset:         64
        .size:           8
        .value_kind:     global_buffer
    .group_segment_fixed_size: 0
    .kernarg_segment_align: 8
    .kernarg_segment_size: 72
    .language:       OpenCL C
    .language_version:
      - 2
      - 0
    .max_flat_workgroup_size: 128
    .name:           _ZN4vllm3moe10topkGatingILi8ELi8ELi4ELi16ELi32Ei6__halfLNS0_11ScoringFuncE0EEEvPKT5_PKbPfiPT4_PiiiibPKf
    .private_segment_fixed_size: 0
    .sgpr_count:     32
    .sgpr_spill_count: 0
    .symbol:         _ZN4vllm3moe10topkGatingILi8ELi8ELi4ELi16ELi32Ei6__halfLNS0_11ScoringFuncE0EEEvPKT5_PKbPfiPT4_PiiiibPKf.kd
    .uniform_work_group_size: 1
    .uses_dynamic_stack: false
    .vgpr_count:     32
    .vgpr_spill_count: 0
    .wavefront_size: 64
  - .agpr_count:     0
    .args:
      - .address_space:  global
        .offset:         0
        .size:           8
        .value_kind:     global_buffer
      - .address_space:  global
        .offset:         8
        .size:           8
        .value_kind:     global_buffer
      - .address_space:  global
        .offset:         16
        .size:           8
        .value_kind:     global_buffer
      - .offset:         24
        .size:           4
        .value_kind:     by_value
      - .address_space:  global
        .offset:         32
        .size:           8
        .value_kind:     global_buffer
      - .address_space:  global
        .offset:         40
        .size:           8
        .value_kind:     global_buffer
      - .offset:         48
        .size:           4
        .value_kind:     by_value
      - .offset:         52
        .size:           4
        .value_kind:     by_value
      - .offset:         56
        .size:           4
        .value_kind:     by_value
      - .offset:         60
        .size:           1
        .value_kind:     by_value
      - .address_space:  global
        .offset:         64
        .size:           8
        .value_kind:     global_buffer
    .group_segment_fixed_size: 0
    .kernarg_segment_align: 8
    .kernarg_segment_size: 72
    .language:       OpenCL C
    .language_version:
      - 2
      - 0
    .max_flat_workgroup_size: 256
    .name:           _ZN4vllm3moe10topkGatingILi8ELi16ELi4ELi16ELi64Ei6__halfLNS0_11ScoringFuncE0EEEvPKT5_PKbPfiPT4_PiiiibPKf
    .private_segment_fixed_size: 0
    .sgpr_count:     30
    .sgpr_spill_count: 0
    .symbol:         _ZN4vllm3moe10topkGatingILi8ELi16ELi4ELi16ELi64Ei6__halfLNS0_11ScoringFuncE0EEEvPKT5_PKbPfiPT4_PiiiibPKf.kd
    .uniform_work_group_size: 1
    .uses_dynamic_stack: false
    .vgpr_count:     31
    .vgpr_spill_count: 0
    .wavefront_size: 64
  - .agpr_count:     0
    .args:
      - .address_space:  global
        .offset:         0
        .size:           8
        .value_kind:     global_buffer
      - .address_space:  global
        .offset:         8
        .size:           8
        .value_kind:     global_buffer
      - .address_space:  global
        .offset:         16
        .size:           8
        .value_kind:     global_buffer
      - .offset:         24
        .size:           4
        .value_kind:     by_value
      - .address_space:  global
        .offset:         32
        .size:           8
        .value_kind:     global_buffer
      - .address_space:  global
        .offset:         40
        .size:           8
        .value_kind:     global_buffer
      - .offset:         48
        .size:           4
        .value_kind:     by_value
      - .offset:         52
        .size:           4
        .value_kind:     by_value
      - .offset:         56
        .size:           4
        .value_kind:     by_value
      - .offset:         60
        .size:           1
        .value_kind:     by_value
      - .address_space:  global
        .offset:         64
        .size:           8
        .value_kind:     global_buffer
    .group_segment_fixed_size: 0
    .kernarg_segment_align: 8
    .kernarg_segment_size: 72
    .language:       OpenCL C
    .language_version:
      - 2
      - 0
    .max_flat_workgroup_size: 128
    .name:           _ZN4vllm3moe10topkGatingILi8ELi16ELi4ELi16ELi32Ei6__halfLNS0_11ScoringFuncE0EEEvPKT5_PKbPfiPT4_PiiiibPKf
    .private_segment_fixed_size: 0
    .sgpr_count:     30
    .sgpr_spill_count: 0
    .symbol:         _ZN4vllm3moe10topkGatingILi8ELi16ELi4ELi16ELi32Ei6__halfLNS0_11ScoringFuncE0EEEvPKT5_PKbPfiPT4_PiiiibPKf.kd
    .uniform_work_group_size: 1
    .uses_dynamic_stack: false
    .vgpr_count:     31
    .vgpr_spill_count: 0
    .wavefront_size: 64
  - .agpr_count:     0
    .args:
      - .address_space:  global
        .offset:         0
        .size:           8
        .value_kind:     global_buffer
      - .address_space:  global
        .offset:         8
        .size:           8
        .value_kind:     global_buffer
      - .address_space:  global
        .offset:         16
        .size:           8
        .value_kind:     global_buffer
      - .offset:         24
        .size:           4
        .value_kind:     by_value
      - .address_space:  global
        .offset:         32
        .size:           8
        .value_kind:     global_buffer
      - .address_space:  global
        .offset:         40
        .size:           8
        .value_kind:     global_buffer
      - .offset:         48
        .size:           4
        .value_kind:     by_value
      - .offset:         52
        .size:           4
        .value_kind:     by_value
      - .offset:         56
        .size:           4
        .value_kind:     by_value
      - .offset:         60
        .size:           1
        .value_kind:     by_value
      - .address_space:  global
        .offset:         64
        .size:           8
        .value_kind:     global_buffer
    .group_segment_fixed_size: 0
    .kernarg_segment_align: 8
    .kernarg_segment_size: 72
    .language:       OpenCL C
    .language_version:
      - 2
      - 0
    .max_flat_workgroup_size: 256
    .name:           _ZN4vllm3moe10topkGatingILi8ELi32ELi4ELi16ELi64Ei6__halfLNS0_11ScoringFuncE0EEEvPKT5_PKbPfiPT4_PiiiibPKf
    .private_segment_fixed_size: 0
    .sgpr_count:     28
    .sgpr_spill_count: 0
    .symbol:         _ZN4vllm3moe10topkGatingILi8ELi32ELi4ELi16ELi64Ei6__halfLNS0_11ScoringFuncE0EEEvPKT5_PKbPfiPT4_PiiiibPKf.kd
    .uniform_work_group_size: 1
    .uses_dynamic_stack: false
    .vgpr_count:     32
    .vgpr_spill_count: 0
    .wavefront_size: 64
  - .agpr_count:     0
    .args:
      - .address_space:  global
        .offset:         0
        .size:           8
        .value_kind:     global_buffer
      - .address_space:  global
        .offset:         8
        .size:           8
        .value_kind:     global_buffer
      - .address_space:  global
        .offset:         16
        .size:           8
        .value_kind:     global_buffer
      - .offset:         24
        .size:           4
        .value_kind:     by_value
      - .address_space:  global
        .offset:         32
        .size:           8
        .value_kind:     global_buffer
      - .address_space:  global
        .offset:         40
        .size:           8
        .value_kind:     global_buffer
      - .offset:         48
        .size:           4
        .value_kind:     by_value
      - .offset:         52
        .size:           4
        .value_kind:     by_value
      - .offset:         56
        .size:           4
        .value_kind:     by_value
      - .offset:         60
        .size:           1
        .value_kind:     by_value
      - .address_space:  global
        .offset:         64
        .size:           8
        .value_kind:     global_buffer
    .group_segment_fixed_size: 0
    .kernarg_segment_align: 8
    .kernarg_segment_size: 72
    .language:       OpenCL C
    .language_version:
      - 2
      - 0
    .max_flat_workgroup_size: 128
    .name:           _ZN4vllm3moe10topkGatingILi8ELi32ELi4ELi16ELi32Ei6__halfLNS0_11ScoringFuncE0EEEvPKT5_PKbPfiPT4_PiiiibPKf
    .private_segment_fixed_size: 0
    .sgpr_count:     28
    .sgpr_spill_count: 0
    .symbol:         _ZN4vllm3moe10topkGatingILi8ELi32ELi4ELi16ELi32Ei6__halfLNS0_11ScoringFuncE0EEEvPKT5_PKbPfiPT4_PiiiibPKf.kd
    .uniform_work_group_size: 1
    .uses_dynamic_stack: false
    .vgpr_count:     32
    .vgpr_spill_count: 0
    .wavefront_size: 64
  - .agpr_count:     0
    .args:
      - .address_space:  global
        .offset:         0
        .size:           8
        .value_kind:     global_buffer
      - .address_space:  global
        .offset:         8
        .size:           8
        .value_kind:     global_buffer
      - .address_space:  global
        .offset:         16
        .size:           8
        .value_kind:     global_buffer
      - .offset:         24
        .size:           4
        .value_kind:     by_value
      - .address_space:  global
        .offset:         32
        .size:           8
        .value_kind:     global_buffer
      - .address_space:  global
        .offset:         40
        .size:           8
        .value_kind:     global_buffer
      - .offset:         48
        .size:           4
        .value_kind:     by_value
      - .offset:         52
        .size:           4
        .value_kind:     by_value
      - .offset:         56
        .size:           4
        .value_kind:     by_value
      - .offset:         60
        .size:           1
        .value_kind:     by_value
      - .address_space:  global
        .offset:         64
        .size:           8
        .value_kind:     global_buffer
    .group_segment_fixed_size: 0
    .kernarg_segment_align: 8
    .kernarg_segment_size: 72
    .language:       OpenCL C
    .language_version:
      - 2
      - 0
    .max_flat_workgroup_size: 256
    .name:           _ZN4vllm3moe10topkGatingILi8ELi64ELi4ELi16ELi64Ei6__halfLNS0_11ScoringFuncE0EEEvPKT5_PKbPfiPT4_PiiiibPKf
    .private_segment_fixed_size: 0
    .sgpr_count:     30
    .sgpr_spill_count: 0
    .symbol:         _ZN4vllm3moe10topkGatingILi8ELi64ELi4ELi16ELi64Ei6__halfLNS0_11ScoringFuncE0EEEvPKT5_PKbPfiPT4_PiiiibPKf.kd
    .uniform_work_group_size: 1
    .uses_dynamic_stack: false
    .vgpr_count:     34
    .vgpr_spill_count: 0
    .wavefront_size: 64
  - .agpr_count:     0
    .args:
      - .address_space:  global
        .offset:         0
        .size:           8
        .value_kind:     global_buffer
      - .address_space:  global
        .offset:         8
        .size:           8
        .value_kind:     global_buffer
      - .address_space:  global
        .offset:         16
        .size:           8
        .value_kind:     global_buffer
      - .offset:         24
        .size:           4
        .value_kind:     by_value
      - .address_space:  global
        .offset:         32
        .size:           8
        .value_kind:     global_buffer
      - .address_space:  global
        .offset:         40
        .size:           8
        .value_kind:     global_buffer
      - .offset:         48
        .size:           4
        .value_kind:     by_value
      - .offset:         52
        .size:           4
        .value_kind:     by_value
      - .offset:         56
        .size:           4
        .value_kind:     by_value
      - .offset:         60
        .size:           1
        .value_kind:     by_value
      - .address_space:  global
        .offset:         64
        .size:           8
        .value_kind:     global_buffer
    .group_segment_fixed_size: 0
    .kernarg_segment_align: 8
    .kernarg_segment_size: 72
    .language:       OpenCL C
    .language_version:
      - 2
      - 0
    .max_flat_workgroup_size: 128
    .name:           _ZN4vllm3moe10topkGatingILi8ELi64ELi4ELi16ELi32Ei6__halfLNS0_11ScoringFuncE0EEEvPKT5_PKbPfiPT4_PiiiibPKf
    .private_segment_fixed_size: 0
    .sgpr_count:     30
    .sgpr_spill_count: 0
    .symbol:         _ZN4vllm3moe10topkGatingILi8ELi64ELi4ELi16ELi32Ei6__halfLNS0_11ScoringFuncE0EEEvPKT5_PKbPfiPT4_PiiiibPKf.kd
    .uniform_work_group_size: 1
    .uses_dynamic_stack: false
    .vgpr_count:     34
    .vgpr_spill_count: 0
    .wavefront_size: 64
  - .agpr_count:     0
    .args:
      - .address_space:  global
        .offset:         0
        .size:           8
        .value_kind:     global_buffer
      - .address_space:  global
        .offset:         8
        .size:           8
        .value_kind:     global_buffer
      - .address_space:  global
        .offset:         16
        .size:           8
        .value_kind:     global_buffer
      - .offset:         24
        .size:           4
        .value_kind:     by_value
      - .address_space:  global
        .offset:         32
        .size:           8
        .value_kind:     global_buffer
      - .address_space:  global
        .offset:         40
        .size:           8
        .value_kind:     global_buffer
      - .offset:         48
        .size:           4
        .value_kind:     by_value
      - .offset:         52
        .size:           4
        .value_kind:     by_value
      - .offset:         56
        .size:           4
        .value_kind:     by_value
      - .offset:         60
        .size:           1
        .value_kind:     by_value
      - .address_space:  global
        .offset:         64
        .size:           8
        .value_kind:     global_buffer
    .group_segment_fixed_size: 0
    .kernarg_segment_align: 8
    .kernarg_segment_size: 72
    .language:       OpenCL C
    .language_version:
      - 2
      - 0
    .max_flat_workgroup_size: 256
    .name:           _ZN4vllm3moe10topkGatingILi8ELi128ELi4ELi16ELi64Ei6__halfLNS0_11ScoringFuncE0EEEvPKT5_PKbPfiPT4_PiiiibPKf
    .private_segment_fixed_size: 0
    .sgpr_count:     30
    .sgpr_spill_count: 0
    .symbol:         _ZN4vllm3moe10topkGatingILi8ELi128ELi4ELi16ELi64Ei6__halfLNS0_11ScoringFuncE0EEEvPKT5_PKbPfiPT4_PiiiibPKf.kd
    .uniform_work_group_size: 1
    .uses_dynamic_stack: false
    .vgpr_count:     36
    .vgpr_spill_count: 0
    .wavefront_size: 64
  - .agpr_count:     0
    .args:
      - .address_space:  global
        .offset:         0
        .size:           8
        .value_kind:     global_buffer
      - .address_space:  global
        .offset:         8
        .size:           8
        .value_kind:     global_buffer
      - .address_space:  global
        .offset:         16
        .size:           8
        .value_kind:     global_buffer
      - .offset:         24
        .size:           4
        .value_kind:     by_value
      - .address_space:  global
        .offset:         32
        .size:           8
        .value_kind:     global_buffer
      - .address_space:  global
        .offset:         40
        .size:           8
        .value_kind:     global_buffer
      - .offset:         48
        .size:           4
        .value_kind:     by_value
      - .offset:         52
        .size:           4
        .value_kind:     by_value
      - .offset:         56
        .size:           4
        .value_kind:     by_value
      - .offset:         60
        .size:           1
        .value_kind:     by_value
      - .address_space:  global
        .offset:         64
        .size:           8
        .value_kind:     global_buffer
    .group_segment_fixed_size: 0
    .kernarg_segment_align: 8
    .kernarg_segment_size: 72
    .language:       OpenCL C
    .language_version:
      - 2
      - 0
    .max_flat_workgroup_size: 128
    .name:           _ZN4vllm3moe10topkGatingILi8ELi128ELi4ELi16ELi32Ei6__halfLNS0_11ScoringFuncE0EEEvPKT5_PKbPfiPT4_PiiiibPKf
    .private_segment_fixed_size: 0
    .sgpr_count:     30
    .sgpr_spill_count: 0
    .symbol:         _ZN4vllm3moe10topkGatingILi8ELi128ELi4ELi16ELi32Ei6__halfLNS0_11ScoringFuncE0EEEvPKT5_PKbPfiPT4_PiiiibPKf.kd
    .uniform_work_group_size: 1
    .uses_dynamic_stack: false
    .vgpr_count:     36
    .vgpr_spill_count: 0
    .wavefront_size: 64
  - .agpr_count:     0
    .args:
      - .address_space:  global
        .offset:         0
        .size:           8
        .value_kind:     global_buffer
      - .address_space:  global
        .offset:         8
        .size:           8
        .value_kind:     global_buffer
      - .address_space:  global
        .offset:         16
        .size:           8
        .value_kind:     global_buffer
      - .offset:         24
        .size:           4
        .value_kind:     by_value
      - .address_space:  global
        .offset:         32
        .size:           8
        .value_kind:     global_buffer
      - .address_space:  global
        .offset:         40
        .size:           8
        .value_kind:     global_buffer
      - .offset:         48
        .size:           4
        .value_kind:     by_value
      - .offset:         52
        .size:           4
        .value_kind:     by_value
      - .offset:         56
        .size:           4
        .value_kind:     by_value
      - .offset:         60
        .size:           1
        .value_kind:     by_value
      - .address_space:  global
        .offset:         64
        .size:           8
        .value_kind:     global_buffer
    .group_segment_fixed_size: 0
    .kernarg_segment_align: 8
    .kernarg_segment_size: 72
    .language:       OpenCL C
    .language_version:
      - 2
      - 0
    .max_flat_workgroup_size: 256
    .name:           _ZN4vllm3moe10topkGatingILi8ELi256ELi4ELi16ELi64Ei6__halfLNS0_11ScoringFuncE0EEEvPKT5_PKbPfiPT4_PiiiibPKf
    .private_segment_fixed_size: 0
    .sgpr_count:     30
    .sgpr_spill_count: 0
    .symbol:         _ZN4vllm3moe10topkGatingILi8ELi256ELi4ELi16ELi64Ei6__halfLNS0_11ScoringFuncE0EEEvPKT5_PKbPfiPT4_PiiiibPKf.kd
    .uniform_work_group_size: 1
    .uses_dynamic_stack: false
    .vgpr_count:     37
    .vgpr_spill_count: 0
    .wavefront_size: 64
  - .agpr_count:     0
    .args:
      - .address_space:  global
        .offset:         0
        .size:           8
        .value_kind:     global_buffer
      - .address_space:  global
        .offset:         8
        .size:           8
        .value_kind:     global_buffer
      - .address_space:  global
        .offset:         16
        .size:           8
        .value_kind:     global_buffer
      - .offset:         24
        .size:           4
        .value_kind:     by_value
      - .address_space:  global
        .offset:         32
        .size:           8
        .value_kind:     global_buffer
      - .address_space:  global
        .offset:         40
        .size:           8
        .value_kind:     global_buffer
      - .offset:         48
        .size:           4
        .value_kind:     by_value
      - .offset:         52
        .size:           4
        .value_kind:     by_value
      - .offset:         56
        .size:           4
        .value_kind:     by_value
      - .offset:         60
        .size:           1
        .value_kind:     by_value
      - .address_space:  global
        .offset:         64
        .size:           8
        .value_kind:     global_buffer
    .group_segment_fixed_size: 0
    .kernarg_segment_align: 8
    .kernarg_segment_size: 72
    .language:       OpenCL C
    .language_version:
      - 2
      - 0
    .max_flat_workgroup_size: 128
    .name:           _ZN4vllm3moe10topkGatingILi8ELi256ELi4ELi16ELi32Ei6__halfLNS0_11ScoringFuncE0EEEvPKT5_PKbPfiPT4_PiiiibPKf
    .private_segment_fixed_size: 0
    .sgpr_count:     30
    .sgpr_spill_count: 0
    .symbol:         _ZN4vllm3moe10topkGatingILi8ELi256ELi4ELi16ELi32Ei6__halfLNS0_11ScoringFuncE0EEEvPKT5_PKbPfiPT4_PiiiibPKf.kd
    .uniform_work_group_size: 1
    .uses_dynamic_stack: false
    .vgpr_count:     37
    .vgpr_spill_count: 0
    .wavefront_size: 64
  - .agpr_count:     0
    .args:
      - .address_space:  global
        .offset:         0
        .size:           8
        .value_kind:     global_buffer
      - .address_space:  global
        .offset:         8
        .size:           8
        .value_kind:     global_buffer
      - .address_space:  global
        .offset:         16
        .size:           8
        .value_kind:     global_buffer
      - .offset:         24
        .size:           4
        .value_kind:     by_value
      - .address_space:  global
        .offset:         32
        .size:           8
        .value_kind:     global_buffer
      - .address_space:  global
        .offset:         40
        .size:           8
        .value_kind:     global_buffer
      - .offset:         48
        .size:           4
        .value_kind:     by_value
      - .offset:         52
        .size:           4
        .value_kind:     by_value
      - .offset:         56
        .size:           4
        .value_kind:     by_value
      - .offset:         60
        .size:           1
        .value_kind:     by_value
      - .address_space:  global
        .offset:         64
        .size:           8
        .value_kind:     global_buffer
    .group_segment_fixed_size: 0
    .kernarg_segment_align: 8
    .kernarg_segment_size: 72
    .language:       OpenCL C
    .language_version:
      - 2
      - 0
    .max_flat_workgroup_size: 256
    .name:           _ZN4vllm3moe10topkGatingILi8ELi512ELi4ELi16ELi64Ei6__halfLNS0_11ScoringFuncE0EEEvPKT5_PKbPfiPT4_PiiiibPKf
    .private_segment_fixed_size: 0
    .sgpr_count:     30
    .sgpr_spill_count: 0
    .symbol:         _ZN4vllm3moe10topkGatingILi8ELi512ELi4ELi16ELi64Ei6__halfLNS0_11ScoringFuncE0EEEvPKT5_PKbPfiPT4_PiiiibPKf.kd
    .uniform_work_group_size: 1
    .uses_dynamic_stack: false
    .vgpr_count:     38
    .vgpr_spill_count: 0
    .wavefront_size: 64
  - .agpr_count:     0
    .args:
      - .address_space:  global
        .offset:         0
        .size:           8
        .value_kind:     global_buffer
      - .address_space:  global
        .offset:         8
        .size:           8
        .value_kind:     global_buffer
      - .address_space:  global
        .offset:         16
        .size:           8
        .value_kind:     global_buffer
      - .offset:         24
        .size:           4
        .value_kind:     by_value
      - .address_space:  global
        .offset:         32
        .size:           8
        .value_kind:     global_buffer
      - .address_space:  global
        .offset:         40
        .size:           8
        .value_kind:     global_buffer
      - .offset:         48
        .size:           4
        .value_kind:     by_value
      - .offset:         52
        .size:           4
        .value_kind:     by_value
      - .offset:         56
        .size:           4
        .value_kind:     by_value
      - .offset:         60
        .size:           1
        .value_kind:     by_value
      - .address_space:  global
        .offset:         64
        .size:           8
        .value_kind:     global_buffer
    .group_segment_fixed_size: 0
    .kernarg_segment_align: 8
    .kernarg_segment_size: 72
    .language:       OpenCL C
    .language_version:
      - 2
      - 0
    .max_flat_workgroup_size: 128
    .name:           _ZN4vllm3moe10topkGatingILi16ELi512ELi4ELi16ELi32Ei6__halfLNS0_11ScoringFuncE0EEEvPKT5_PKbPfiPT4_PiiiibPKf
    .private_segment_fixed_size: 0
    .sgpr_count:     30
    .sgpr_spill_count: 0
    .symbol:         _ZN4vllm3moe10topkGatingILi16ELi512ELi4ELi16ELi32Ei6__halfLNS0_11ScoringFuncE0EEEvPKT5_PKbPfiPT4_PiiiibPKf.kd
    .uniform_work_group_size: 1
    .uses_dynamic_stack: false
    .vgpr_count:     61
    .vgpr_spill_count: 0
    .wavefront_size: 64
  - .agpr_count:     0
    .args:
      - .address_space:  global
        .offset:         0
        .size:           8
        .value_kind:     global_buffer
      - .address_space:  global
        .offset:         8
        .size:           8
        .value_kind:     global_buffer
      - .address_space:  global
        .offset:         16
        .size:           8
        .value_kind:     global_buffer
      - .offset:         24
        .size:           4
        .value_kind:     by_value
    .group_segment_fixed_size: 24
    .kernarg_segment_align: 8
    .kernarg_segment_size: 28
    .language:       OpenCL C
    .language_version:
      - 2
      - 0
    .max_flat_workgroup_size: 256
    .name:           _ZN4vllm3moe10moeSoftmaxILi256E6__halfEEvPKT0_PKbPfi
    .private_segment_fixed_size: 0
    .sgpr_count:     24
    .sgpr_spill_count: 0
    .symbol:         _ZN4vllm3moe10moeSoftmaxILi256E6__halfEEvPKT0_PKbPfi.kd
    .uniform_work_group_size: 1
    .uses_dynamic_stack: false
    .vgpr_count:     17
    .vgpr_spill_count: 0
    .wavefront_size: 64
  - .agpr_count:     0
    .args:
      - .address_space:  global
        .offset:         0
        .size:           8
        .value_kind:     global_buffer
      - .address_space:  global
        .offset:         8
        .size:           8
        .value_kind:     global_buffer
      - .address_space:  global
        .offset:         16
        .size:           8
        .value_kind:     global_buffer
      - .offset:         24
        .size:           4
        .value_kind:     by_value
      - .address_space:  global
        .offset:         32
        .size:           8
        .value_kind:     global_buffer
      - .address_space:  global
        .offset:         40
        .size:           8
        .value_kind:     global_buffer
      - .offset:         48
        .size:           4
        .value_kind:     by_value
      - .offset:         52
        .size:           4
        .value_kind:     by_value
      - .offset:         56
        .size:           4
        .value_kind:     by_value
      - .offset:         60
        .size:           1
        .value_kind:     by_value
      - .address_space:  global
        .offset:         64
        .size:           8
        .value_kind:     global_buffer
    .group_segment_fixed_size: 0
    .kernarg_segment_align: 8
    .kernarg_segment_size: 72
    .language:       OpenCL C
    .language_version:
      - 2
      - 0
    .max_flat_workgroup_size: 256
    .name:           _ZN4vllm3moe10topkGatingILi1ELi1ELi4ELi2ELi64Ej6__halfLNS0_11ScoringFuncE0EEEvPKT5_PKbPfiPT4_PiiiibPKf
    .private_segment_fixed_size: 0
    .sgpr_count:     27
    .sgpr_spill_count: 0
    .symbol:         _ZN4vllm3moe10topkGatingILi1ELi1ELi4ELi2ELi64Ej6__halfLNS0_11ScoringFuncE0EEEvPKT5_PKbPfiPT4_PiiiibPKf.kd
    .uniform_work_group_size: 1
    .uses_dynamic_stack: false
    .vgpr_count:     19
    .vgpr_spill_count: 0
    .wavefront_size: 64
  - .agpr_count:     0
    .args:
      - .address_space:  global
        .offset:         0
        .size:           8
        .value_kind:     global_buffer
      - .address_space:  global
        .offset:         8
        .size:           8
        .value_kind:     global_buffer
      - .address_space:  global
        .offset:         16
        .size:           8
        .value_kind:     global_buffer
      - .offset:         24
        .size:           4
        .value_kind:     by_value
      - .address_space:  global
        .offset:         32
        .size:           8
        .value_kind:     global_buffer
      - .address_space:  global
        .offset:         40
        .size:           8
        .value_kind:     global_buffer
      - .offset:         48
        .size:           4
        .value_kind:     by_value
      - .offset:         52
        .size:           4
        .value_kind:     by_value
      - .offset:         56
        .size:           4
        .value_kind:     by_value
      - .offset:         60
        .size:           1
        .value_kind:     by_value
      - .address_space:  global
        .offset:         64
        .size:           8
        .value_kind:     global_buffer
    .group_segment_fixed_size: 0
    .kernarg_segment_align: 8
    .kernarg_segment_size: 72
    .language:       OpenCL C
    .language_version:
      - 2
      - 0
    .max_flat_workgroup_size: 128
    .name:           _ZN4vllm3moe10topkGatingILi1ELi1ELi4ELi2ELi32Ej6__halfLNS0_11ScoringFuncE0EEEvPKT5_PKbPfiPT4_PiiiibPKf
    .private_segment_fixed_size: 0
    .sgpr_count:     27
    .sgpr_spill_count: 0
    .symbol:         _ZN4vllm3moe10topkGatingILi1ELi1ELi4ELi2ELi32Ej6__halfLNS0_11ScoringFuncE0EEEvPKT5_PKbPfiPT4_PiiiibPKf.kd
    .uniform_work_group_size: 1
    .uses_dynamic_stack: false
    .vgpr_count:     19
    .vgpr_spill_count: 0
    .wavefront_size: 64
  - .agpr_count:     0
    .args:
      - .address_space:  global
        .offset:         0
        .size:           8
        .value_kind:     global_buffer
      - .address_space:  global
        .offset:         8
        .size:           8
        .value_kind:     global_buffer
      - .address_space:  global
        .offset:         16
        .size:           8
        .value_kind:     global_buffer
      - .offset:         24
        .size:           4
        .value_kind:     by_value
      - .address_space:  global
        .offset:         32
        .size:           8
        .value_kind:     global_buffer
      - .address_space:  global
        .offset:         40
        .size:           8
        .value_kind:     global_buffer
      - .offset:         48
        .size:           4
        .value_kind:     by_value
      - .offset:         52
        .size:           4
        .value_kind:     by_value
      - .offset:         56
        .size:           4
        .value_kind:     by_value
      - .offset:         60
        .size:           1
        .value_kind:     by_value
      - .address_space:  global
        .offset:         64
        .size:           8
        .value_kind:     global_buffer
    .group_segment_fixed_size: 0
    .kernarg_segment_align: 8
    .kernarg_segment_size: 72
    .language:       OpenCL C
    .language_version:
      - 2
      - 0
    .max_flat_workgroup_size: 256
    .name:           _ZN4vllm3moe10topkGatingILi2ELi2ELi4ELi4ELi64Ej6__halfLNS0_11ScoringFuncE0EEEvPKT5_PKbPfiPT4_PiiiibPKf
    .private_segment_fixed_size: 0
    .sgpr_count:     28
    .sgpr_spill_count: 0
    .symbol:         _ZN4vllm3moe10topkGatingILi2ELi2ELi4ELi4ELi64Ej6__halfLNS0_11ScoringFuncE0EEEvPKT5_PKbPfiPT4_PiiiibPKf.kd
    .uniform_work_group_size: 1
    .uses_dynamic_stack: false
    .vgpr_count:     19
    .vgpr_spill_count: 0
    .wavefront_size: 64
  - .agpr_count:     0
    .args:
      - .address_space:  global
        .offset:         0
        .size:           8
        .value_kind:     global_buffer
      - .address_space:  global
        .offset:         8
        .size:           8
        .value_kind:     global_buffer
      - .address_space:  global
        .offset:         16
        .size:           8
        .value_kind:     global_buffer
      - .offset:         24
        .size:           4
        .value_kind:     by_value
      - .address_space:  global
        .offset:         32
        .size:           8
        .value_kind:     global_buffer
      - .address_space:  global
        .offset:         40
        .size:           8
        .value_kind:     global_buffer
      - .offset:         48
        .size:           4
        .value_kind:     by_value
      - .offset:         52
        .size:           4
        .value_kind:     by_value
      - .offset:         56
        .size:           4
        .value_kind:     by_value
      - .offset:         60
        .size:           1
        .value_kind:     by_value
      - .address_space:  global
        .offset:         64
        .size:           8
        .value_kind:     global_buffer
    .group_segment_fixed_size: 0
    .kernarg_segment_align: 8
    .kernarg_segment_size: 72
    .language:       OpenCL C
    .language_version:
      - 2
      - 0
    .max_flat_workgroup_size: 128
    .name:           _ZN4vllm3moe10topkGatingILi2ELi2ELi4ELi4ELi32Ej6__halfLNS0_11ScoringFuncE0EEEvPKT5_PKbPfiPT4_PiiiibPKf
    .private_segment_fixed_size: 0
    .sgpr_count:     28
    .sgpr_spill_count: 0
    .symbol:         _ZN4vllm3moe10topkGatingILi2ELi2ELi4ELi4ELi32Ej6__halfLNS0_11ScoringFuncE0EEEvPKT5_PKbPfiPT4_PiiiibPKf.kd
    .uniform_work_group_size: 1
    .uses_dynamic_stack: false
    .vgpr_count:     19
    .vgpr_spill_count: 0
    .wavefront_size: 64
  - .agpr_count:     0
    .args:
      - .address_space:  global
        .offset:         0
        .size:           8
        .value_kind:     global_buffer
      - .address_space:  global
        .offset:         8
        .size:           8
        .value_kind:     global_buffer
      - .address_space:  global
        .offset:         16
        .size:           8
        .value_kind:     global_buffer
      - .offset:         24
        .size:           4
        .value_kind:     by_value
      - .address_space:  global
        .offset:         32
        .size:           8
        .value_kind:     global_buffer
      - .address_space:  global
        .offset:         40
        .size:           8
        .value_kind:     global_buffer
      - .offset:         48
        .size:           4
        .value_kind:     by_value
      - .offset:         52
        .size:           4
        .value_kind:     by_value
      - .offset:         56
        .size:           4
        .value_kind:     by_value
      - .offset:         60
        .size:           1
        .value_kind:     by_value
      - .address_space:  global
        .offset:         64
        .size:           8
        .value_kind:     global_buffer
    .group_segment_fixed_size: 0
    .kernarg_segment_align: 8
    .kernarg_segment_size: 72
    .language:       OpenCL C
    .language_version:
      - 2
      - 0
    .max_flat_workgroup_size: 256
    .name:           _ZN4vllm3moe10topkGatingILi4ELi4ELi4ELi8ELi64Ej6__halfLNS0_11ScoringFuncE0EEEvPKT5_PKbPfiPT4_PiiiibPKf
    .private_segment_fixed_size: 0
    .sgpr_count:     28
    .sgpr_spill_count: 0
    .symbol:         _ZN4vllm3moe10topkGatingILi4ELi4ELi4ELi8ELi64Ej6__halfLNS0_11ScoringFuncE0EEEvPKT5_PKbPfiPT4_PiiiibPKf.kd
    .uniform_work_group_size: 1
    .uses_dynamic_stack: false
    .vgpr_count:     22
    .vgpr_spill_count: 0
    .wavefront_size: 64
  - .agpr_count:     0
    .args:
      - .address_space:  global
        .offset:         0
        .size:           8
        .value_kind:     global_buffer
      - .address_space:  global
        .offset:         8
        .size:           8
        .value_kind:     global_buffer
      - .address_space:  global
        .offset:         16
        .size:           8
        .value_kind:     global_buffer
      - .offset:         24
        .size:           4
        .value_kind:     by_value
      - .address_space:  global
        .offset:         32
        .size:           8
        .value_kind:     global_buffer
      - .address_space:  global
        .offset:         40
        .size:           8
        .value_kind:     global_buffer
      - .offset:         48
        .size:           4
        .value_kind:     by_value
      - .offset:         52
        .size:           4
        .value_kind:     by_value
      - .offset:         56
        .size:           4
        .value_kind:     by_value
      - .offset:         60
        .size:           1
        .value_kind:     by_value
      - .address_space:  global
        .offset:         64
        .size:           8
        .value_kind:     global_buffer
    .group_segment_fixed_size: 0
    .kernarg_segment_align: 8
    .kernarg_segment_size: 72
    .language:       OpenCL C
    .language_version:
      - 2
      - 0
    .max_flat_workgroup_size: 128
    .name:           _ZN4vllm3moe10topkGatingILi4ELi4ELi4ELi8ELi32Ej6__halfLNS0_11ScoringFuncE0EEEvPKT5_PKbPfiPT4_PiiiibPKf
    .private_segment_fixed_size: 0
    .sgpr_count:     28
    .sgpr_spill_count: 0
    .symbol:         _ZN4vllm3moe10topkGatingILi4ELi4ELi4ELi8ELi32Ej6__halfLNS0_11ScoringFuncE0EEEvPKT5_PKbPfiPT4_PiiiibPKf.kd
    .uniform_work_group_size: 1
    .uses_dynamic_stack: false
    .vgpr_count:     22
    .vgpr_spill_count: 0
    .wavefront_size: 64
  - .agpr_count:     0
    .args:
      - .address_space:  global
        .offset:         0
        .size:           8
        .value_kind:     global_buffer
      - .address_space:  global
        .offset:         8
        .size:           8
        .value_kind:     global_buffer
      - .address_space:  global
        .offset:         16
        .size:           8
        .value_kind:     global_buffer
      - .offset:         24
        .size:           4
        .value_kind:     by_value
      - .address_space:  global
        .offset:         32
        .size:           8
        .value_kind:     global_buffer
      - .address_space:  global
        .offset:         40
        .size:           8
        .value_kind:     global_buffer
      - .offset:         48
        .size:           4
        .value_kind:     by_value
      - .offset:         52
        .size:           4
        .value_kind:     by_value
      - .offset:         56
        .size:           4
        .value_kind:     by_value
      - .offset:         60
        .size:           1
        .value_kind:     by_value
      - .address_space:  global
        .offset:         64
        .size:           8
        .value_kind:     global_buffer
    .group_segment_fixed_size: 0
    .kernarg_segment_align: 8
    .kernarg_segment_size: 72
    .language:       OpenCL C
    .language_version:
      - 2
      - 0
    .max_flat_workgroup_size: 256
    .name:           _ZN4vllm3moe10topkGatingILi8ELi8ELi4ELi16ELi64Ej6__halfLNS0_11ScoringFuncE0EEEvPKT5_PKbPfiPT4_PiiiibPKf
    .private_segment_fixed_size: 0
    .sgpr_count:     32
    .sgpr_spill_count: 0
    .symbol:         _ZN4vllm3moe10topkGatingILi8ELi8ELi4ELi16ELi64Ej6__halfLNS0_11ScoringFuncE0EEEvPKT5_PKbPfiPT4_PiiiibPKf.kd
    .uniform_work_group_size: 1
    .uses_dynamic_stack: false
    .vgpr_count:     32
    .vgpr_spill_count: 0
    .wavefront_size: 64
  - .agpr_count:     0
    .args:
      - .address_space:  global
        .offset:         0
        .size:           8
        .value_kind:     global_buffer
      - .address_space:  global
        .offset:         8
        .size:           8
        .value_kind:     global_buffer
      - .address_space:  global
        .offset:         16
        .size:           8
        .value_kind:     global_buffer
      - .offset:         24
        .size:           4
        .value_kind:     by_value
      - .address_space:  global
        .offset:         32
        .size:           8
        .value_kind:     global_buffer
      - .address_space:  global
        .offset:         40
        .size:           8
        .value_kind:     global_buffer
      - .offset:         48
        .size:           4
        .value_kind:     by_value
      - .offset:         52
        .size:           4
        .value_kind:     by_value
      - .offset:         56
        .size:           4
        .value_kind:     by_value
      - .offset:         60
        .size:           1
        .value_kind:     by_value
      - .address_space:  global
        .offset:         64
        .size:           8
        .value_kind:     global_buffer
    .group_segment_fixed_size: 0
    .kernarg_segment_align: 8
    .kernarg_segment_size: 72
    .language:       OpenCL C
    .language_version:
      - 2
      - 0
    .max_flat_workgroup_size: 128
    .name:           _ZN4vllm3moe10topkGatingILi8ELi8ELi4ELi16ELi32Ej6__halfLNS0_11ScoringFuncE0EEEvPKT5_PKbPfiPT4_PiiiibPKf
    .private_segment_fixed_size: 0
    .sgpr_count:     32
    .sgpr_spill_count: 0
    .symbol:         _ZN4vllm3moe10topkGatingILi8ELi8ELi4ELi16ELi32Ej6__halfLNS0_11ScoringFuncE0EEEvPKT5_PKbPfiPT4_PiiiibPKf.kd
    .uniform_work_group_size: 1
    .uses_dynamic_stack: false
    .vgpr_count:     32
    .vgpr_spill_count: 0
    .wavefront_size: 64
  - .agpr_count:     0
    .args:
      - .address_space:  global
        .offset:         0
        .size:           8
        .value_kind:     global_buffer
      - .address_space:  global
        .offset:         8
        .size:           8
        .value_kind:     global_buffer
      - .address_space:  global
        .offset:         16
        .size:           8
        .value_kind:     global_buffer
      - .offset:         24
        .size:           4
        .value_kind:     by_value
      - .address_space:  global
        .offset:         32
        .size:           8
        .value_kind:     global_buffer
      - .address_space:  global
        .offset:         40
        .size:           8
        .value_kind:     global_buffer
      - .offset:         48
        .size:           4
        .value_kind:     by_value
      - .offset:         52
        .size:           4
        .value_kind:     by_value
      - .offset:         56
        .size:           4
        .value_kind:     by_value
      - .offset:         60
        .size:           1
        .value_kind:     by_value
      - .address_space:  global
        .offset:         64
        .size:           8
        .value_kind:     global_buffer
    .group_segment_fixed_size: 0
    .kernarg_segment_align: 8
    .kernarg_segment_size: 72
    .language:       OpenCL C
    .language_version:
      - 2
      - 0
    .max_flat_workgroup_size: 256
    .name:           _ZN4vllm3moe10topkGatingILi8ELi16ELi4ELi16ELi64Ej6__halfLNS0_11ScoringFuncE0EEEvPKT5_PKbPfiPT4_PiiiibPKf
    .private_segment_fixed_size: 0
    .sgpr_count:     30
    .sgpr_spill_count: 0
    .symbol:         _ZN4vllm3moe10topkGatingILi8ELi16ELi4ELi16ELi64Ej6__halfLNS0_11ScoringFuncE0EEEvPKT5_PKbPfiPT4_PiiiibPKf.kd
    .uniform_work_group_size: 1
    .uses_dynamic_stack: false
    .vgpr_count:     31
    .vgpr_spill_count: 0
    .wavefront_size: 64
  - .agpr_count:     0
    .args:
      - .address_space:  global
        .offset:         0
        .size:           8
        .value_kind:     global_buffer
      - .address_space:  global
        .offset:         8
        .size:           8
        .value_kind:     global_buffer
      - .address_space:  global
        .offset:         16
        .size:           8
        .value_kind:     global_buffer
      - .offset:         24
        .size:           4
        .value_kind:     by_value
      - .address_space:  global
        .offset:         32
        .size:           8
        .value_kind:     global_buffer
      - .address_space:  global
        .offset:         40
        .size:           8
        .value_kind:     global_buffer
      - .offset:         48
        .size:           4
        .value_kind:     by_value
      - .offset:         52
        .size:           4
        .value_kind:     by_value
      - .offset:         56
        .size:           4
        .value_kind:     by_value
      - .offset:         60
        .size:           1
        .value_kind:     by_value
      - .address_space:  global
        .offset:         64
        .size:           8
        .value_kind:     global_buffer
    .group_segment_fixed_size: 0
    .kernarg_segment_align: 8
    .kernarg_segment_size: 72
    .language:       OpenCL C
    .language_version:
      - 2
      - 0
    .max_flat_workgroup_size: 128
    .name:           _ZN4vllm3moe10topkGatingILi8ELi16ELi4ELi16ELi32Ej6__halfLNS0_11ScoringFuncE0EEEvPKT5_PKbPfiPT4_PiiiibPKf
    .private_segment_fixed_size: 0
    .sgpr_count:     30
    .sgpr_spill_count: 0
    .symbol:         _ZN4vllm3moe10topkGatingILi8ELi16ELi4ELi16ELi32Ej6__halfLNS0_11ScoringFuncE0EEEvPKT5_PKbPfiPT4_PiiiibPKf.kd
    .uniform_work_group_size: 1
    .uses_dynamic_stack: false
    .vgpr_count:     31
    .vgpr_spill_count: 0
    .wavefront_size: 64
  - .agpr_count:     0
    .args:
      - .address_space:  global
        .offset:         0
        .size:           8
        .value_kind:     global_buffer
      - .address_space:  global
        .offset:         8
        .size:           8
        .value_kind:     global_buffer
      - .address_space:  global
        .offset:         16
        .size:           8
        .value_kind:     global_buffer
      - .offset:         24
        .size:           4
        .value_kind:     by_value
      - .address_space:  global
        .offset:         32
        .size:           8
        .value_kind:     global_buffer
      - .address_space:  global
        .offset:         40
        .size:           8
        .value_kind:     global_buffer
      - .offset:         48
        .size:           4
        .value_kind:     by_value
      - .offset:         52
        .size:           4
        .value_kind:     by_value
      - .offset:         56
        .size:           4
        .value_kind:     by_value
      - .offset:         60
        .size:           1
        .value_kind:     by_value
      - .address_space:  global
        .offset:         64
        .size:           8
        .value_kind:     global_buffer
    .group_segment_fixed_size: 0
    .kernarg_segment_align: 8
    .kernarg_segment_size: 72
    .language:       OpenCL C
    .language_version:
      - 2
      - 0
    .max_flat_workgroup_size: 256
    .name:           _ZN4vllm3moe10topkGatingILi8ELi32ELi4ELi16ELi64Ej6__halfLNS0_11ScoringFuncE0EEEvPKT5_PKbPfiPT4_PiiiibPKf
    .private_segment_fixed_size: 0
    .sgpr_count:     28
    .sgpr_spill_count: 0
    .symbol:         _ZN4vllm3moe10topkGatingILi8ELi32ELi4ELi16ELi64Ej6__halfLNS0_11ScoringFuncE0EEEvPKT5_PKbPfiPT4_PiiiibPKf.kd
    .uniform_work_group_size: 1
    .uses_dynamic_stack: false
    .vgpr_count:     32
    .vgpr_spill_count: 0
    .wavefront_size: 64
  - .agpr_count:     0
    .args:
      - .address_space:  global
        .offset:         0
        .size:           8
        .value_kind:     global_buffer
      - .address_space:  global
        .offset:         8
        .size:           8
        .value_kind:     global_buffer
      - .address_space:  global
        .offset:         16
        .size:           8
        .value_kind:     global_buffer
      - .offset:         24
        .size:           4
        .value_kind:     by_value
      - .address_space:  global
        .offset:         32
        .size:           8
        .value_kind:     global_buffer
      - .address_space:  global
        .offset:         40
        .size:           8
        .value_kind:     global_buffer
      - .offset:         48
        .size:           4
        .value_kind:     by_value
      - .offset:         52
        .size:           4
        .value_kind:     by_value
      - .offset:         56
        .size:           4
        .value_kind:     by_value
      - .offset:         60
        .size:           1
        .value_kind:     by_value
      - .address_space:  global
        .offset:         64
        .size:           8
        .value_kind:     global_buffer
    .group_segment_fixed_size: 0
    .kernarg_segment_align: 8
    .kernarg_segment_size: 72
    .language:       OpenCL C
    .language_version:
      - 2
      - 0
    .max_flat_workgroup_size: 128
    .name:           _ZN4vllm3moe10topkGatingILi8ELi32ELi4ELi16ELi32Ej6__halfLNS0_11ScoringFuncE0EEEvPKT5_PKbPfiPT4_PiiiibPKf
    .private_segment_fixed_size: 0
    .sgpr_count:     28
    .sgpr_spill_count: 0
    .symbol:         _ZN4vllm3moe10topkGatingILi8ELi32ELi4ELi16ELi32Ej6__halfLNS0_11ScoringFuncE0EEEvPKT5_PKbPfiPT4_PiiiibPKf.kd
    .uniform_work_group_size: 1
    .uses_dynamic_stack: false
    .vgpr_count:     32
    .vgpr_spill_count: 0
    .wavefront_size: 64
  - .agpr_count:     0
    .args:
      - .address_space:  global
        .offset:         0
        .size:           8
        .value_kind:     global_buffer
      - .address_space:  global
        .offset:         8
        .size:           8
        .value_kind:     global_buffer
      - .address_space:  global
        .offset:         16
        .size:           8
        .value_kind:     global_buffer
      - .offset:         24
        .size:           4
        .value_kind:     by_value
      - .address_space:  global
        .offset:         32
        .size:           8
        .value_kind:     global_buffer
      - .address_space:  global
        .offset:         40
        .size:           8
        .value_kind:     global_buffer
      - .offset:         48
        .size:           4
        .value_kind:     by_value
      - .offset:         52
        .size:           4
        .value_kind:     by_value
      - .offset:         56
        .size:           4
        .value_kind:     by_value
      - .offset:         60
        .size:           1
        .value_kind:     by_value
      - .address_space:  global
        .offset:         64
        .size:           8
        .value_kind:     global_buffer
    .group_segment_fixed_size: 0
    .kernarg_segment_align: 8
    .kernarg_segment_size: 72
    .language:       OpenCL C
    .language_version:
      - 2
      - 0
    .max_flat_workgroup_size: 256
    .name:           _ZN4vllm3moe10topkGatingILi8ELi64ELi4ELi16ELi64Ej6__halfLNS0_11ScoringFuncE0EEEvPKT5_PKbPfiPT4_PiiiibPKf
    .private_segment_fixed_size: 0
    .sgpr_count:     30
    .sgpr_spill_count: 0
    .symbol:         _ZN4vllm3moe10topkGatingILi8ELi64ELi4ELi16ELi64Ej6__halfLNS0_11ScoringFuncE0EEEvPKT5_PKbPfiPT4_PiiiibPKf.kd
    .uniform_work_group_size: 1
    .uses_dynamic_stack: false
    .vgpr_count:     34
    .vgpr_spill_count: 0
    .wavefront_size: 64
  - .agpr_count:     0
    .args:
      - .address_space:  global
        .offset:         0
        .size:           8
        .value_kind:     global_buffer
      - .address_space:  global
        .offset:         8
        .size:           8
        .value_kind:     global_buffer
      - .address_space:  global
        .offset:         16
        .size:           8
        .value_kind:     global_buffer
      - .offset:         24
        .size:           4
        .value_kind:     by_value
      - .address_space:  global
        .offset:         32
        .size:           8
        .value_kind:     global_buffer
      - .address_space:  global
        .offset:         40
        .size:           8
        .value_kind:     global_buffer
      - .offset:         48
        .size:           4
        .value_kind:     by_value
      - .offset:         52
        .size:           4
        .value_kind:     by_value
      - .offset:         56
        .size:           4
        .value_kind:     by_value
      - .offset:         60
        .size:           1
        .value_kind:     by_value
      - .address_space:  global
        .offset:         64
        .size:           8
        .value_kind:     global_buffer
    .group_segment_fixed_size: 0
    .kernarg_segment_align: 8
    .kernarg_segment_size: 72
    .language:       OpenCL C
    .language_version:
      - 2
      - 0
    .max_flat_workgroup_size: 128
    .name:           _ZN4vllm3moe10topkGatingILi8ELi64ELi4ELi16ELi32Ej6__halfLNS0_11ScoringFuncE0EEEvPKT5_PKbPfiPT4_PiiiibPKf
    .private_segment_fixed_size: 0
    .sgpr_count:     30
    .sgpr_spill_count: 0
    .symbol:         _ZN4vllm3moe10topkGatingILi8ELi64ELi4ELi16ELi32Ej6__halfLNS0_11ScoringFuncE0EEEvPKT5_PKbPfiPT4_PiiiibPKf.kd
    .uniform_work_group_size: 1
    .uses_dynamic_stack: false
    .vgpr_count:     34
    .vgpr_spill_count: 0
    .wavefront_size: 64
  - .agpr_count:     0
    .args:
      - .address_space:  global
        .offset:         0
        .size:           8
        .value_kind:     global_buffer
      - .address_space:  global
        .offset:         8
        .size:           8
        .value_kind:     global_buffer
      - .address_space:  global
        .offset:         16
        .size:           8
        .value_kind:     global_buffer
      - .offset:         24
        .size:           4
        .value_kind:     by_value
      - .address_space:  global
        .offset:         32
        .size:           8
        .value_kind:     global_buffer
      - .address_space:  global
        .offset:         40
        .size:           8
        .value_kind:     global_buffer
      - .offset:         48
        .size:           4
        .value_kind:     by_value
      - .offset:         52
        .size:           4
        .value_kind:     by_value
      - .offset:         56
        .size:           4
        .value_kind:     by_value
      - .offset:         60
        .size:           1
        .value_kind:     by_value
      - .address_space:  global
        .offset:         64
        .size:           8
        .value_kind:     global_buffer
    .group_segment_fixed_size: 0
    .kernarg_segment_align: 8
    .kernarg_segment_size: 72
    .language:       OpenCL C
    .language_version:
      - 2
      - 0
    .max_flat_workgroup_size: 256
    .name:           _ZN4vllm3moe10topkGatingILi8ELi128ELi4ELi16ELi64Ej6__halfLNS0_11ScoringFuncE0EEEvPKT5_PKbPfiPT4_PiiiibPKf
    .private_segment_fixed_size: 0
    .sgpr_count:     30
    .sgpr_spill_count: 0
    .symbol:         _ZN4vllm3moe10topkGatingILi8ELi128ELi4ELi16ELi64Ej6__halfLNS0_11ScoringFuncE0EEEvPKT5_PKbPfiPT4_PiiiibPKf.kd
    .uniform_work_group_size: 1
    .uses_dynamic_stack: false
    .vgpr_count:     36
    .vgpr_spill_count: 0
    .wavefront_size: 64
  - .agpr_count:     0
    .args:
      - .address_space:  global
        .offset:         0
        .size:           8
        .value_kind:     global_buffer
      - .address_space:  global
        .offset:         8
        .size:           8
        .value_kind:     global_buffer
      - .address_space:  global
        .offset:         16
        .size:           8
        .value_kind:     global_buffer
      - .offset:         24
        .size:           4
        .value_kind:     by_value
      - .address_space:  global
        .offset:         32
        .size:           8
        .value_kind:     global_buffer
      - .address_space:  global
        .offset:         40
        .size:           8
        .value_kind:     global_buffer
      - .offset:         48
        .size:           4
        .value_kind:     by_value
      - .offset:         52
        .size:           4
        .value_kind:     by_value
      - .offset:         56
        .size:           4
        .value_kind:     by_value
      - .offset:         60
        .size:           1
        .value_kind:     by_value
      - .address_space:  global
        .offset:         64
        .size:           8
        .value_kind:     global_buffer
    .group_segment_fixed_size: 0
    .kernarg_segment_align: 8
    .kernarg_segment_size: 72
    .language:       OpenCL C
    .language_version:
      - 2
      - 0
    .max_flat_workgroup_size: 128
    .name:           _ZN4vllm3moe10topkGatingILi8ELi128ELi4ELi16ELi32Ej6__halfLNS0_11ScoringFuncE0EEEvPKT5_PKbPfiPT4_PiiiibPKf
    .private_segment_fixed_size: 0
    .sgpr_count:     30
    .sgpr_spill_count: 0
    .symbol:         _ZN4vllm3moe10topkGatingILi8ELi128ELi4ELi16ELi32Ej6__halfLNS0_11ScoringFuncE0EEEvPKT5_PKbPfiPT4_PiiiibPKf.kd
    .uniform_work_group_size: 1
    .uses_dynamic_stack: false
    .vgpr_count:     36
    .vgpr_spill_count: 0
    .wavefront_size: 64
  - .agpr_count:     0
    .args:
      - .address_space:  global
        .offset:         0
        .size:           8
        .value_kind:     global_buffer
      - .address_space:  global
        .offset:         8
        .size:           8
        .value_kind:     global_buffer
      - .address_space:  global
        .offset:         16
        .size:           8
        .value_kind:     global_buffer
      - .offset:         24
        .size:           4
        .value_kind:     by_value
      - .address_space:  global
        .offset:         32
        .size:           8
        .value_kind:     global_buffer
      - .address_space:  global
        .offset:         40
        .size:           8
        .value_kind:     global_buffer
      - .offset:         48
        .size:           4
        .value_kind:     by_value
      - .offset:         52
        .size:           4
        .value_kind:     by_value
      - .offset:         56
        .size:           4
        .value_kind:     by_value
      - .offset:         60
        .size:           1
        .value_kind:     by_value
      - .address_space:  global
        .offset:         64
        .size:           8
        .value_kind:     global_buffer
    .group_segment_fixed_size: 0
    .kernarg_segment_align: 8
    .kernarg_segment_size: 72
    .language:       OpenCL C
    .language_version:
      - 2
      - 0
    .max_flat_workgroup_size: 256
    .name:           _ZN4vllm3moe10topkGatingILi8ELi256ELi4ELi16ELi64Ej6__halfLNS0_11ScoringFuncE0EEEvPKT5_PKbPfiPT4_PiiiibPKf
    .private_segment_fixed_size: 0
    .sgpr_count:     30
    .sgpr_spill_count: 0
    .symbol:         _ZN4vllm3moe10topkGatingILi8ELi256ELi4ELi16ELi64Ej6__halfLNS0_11ScoringFuncE0EEEvPKT5_PKbPfiPT4_PiiiibPKf.kd
    .uniform_work_group_size: 1
    .uses_dynamic_stack: false
    .vgpr_count:     37
    .vgpr_spill_count: 0
    .wavefront_size: 64
  - .agpr_count:     0
    .args:
      - .address_space:  global
        .offset:         0
        .size:           8
        .value_kind:     global_buffer
      - .address_space:  global
        .offset:         8
        .size:           8
        .value_kind:     global_buffer
      - .address_space:  global
        .offset:         16
        .size:           8
        .value_kind:     global_buffer
      - .offset:         24
        .size:           4
        .value_kind:     by_value
      - .address_space:  global
        .offset:         32
        .size:           8
        .value_kind:     global_buffer
      - .address_space:  global
        .offset:         40
        .size:           8
        .value_kind:     global_buffer
      - .offset:         48
        .size:           4
        .value_kind:     by_value
      - .offset:         52
        .size:           4
        .value_kind:     by_value
      - .offset:         56
        .size:           4
        .value_kind:     by_value
      - .offset:         60
        .size:           1
        .value_kind:     by_value
      - .address_space:  global
        .offset:         64
        .size:           8
        .value_kind:     global_buffer
    .group_segment_fixed_size: 0
    .kernarg_segment_align: 8
    .kernarg_segment_size: 72
    .language:       OpenCL C
    .language_version:
      - 2
      - 0
    .max_flat_workgroup_size: 128
    .name:           _ZN4vllm3moe10topkGatingILi8ELi256ELi4ELi16ELi32Ej6__halfLNS0_11ScoringFuncE0EEEvPKT5_PKbPfiPT4_PiiiibPKf
    .private_segment_fixed_size: 0
    .sgpr_count:     30
    .sgpr_spill_count: 0
    .symbol:         _ZN4vllm3moe10topkGatingILi8ELi256ELi4ELi16ELi32Ej6__halfLNS0_11ScoringFuncE0EEEvPKT5_PKbPfiPT4_PiiiibPKf.kd
    .uniform_work_group_size: 1
    .uses_dynamic_stack: false
    .vgpr_count:     37
    .vgpr_spill_count: 0
    .wavefront_size: 64
  - .agpr_count:     0
    .args:
      - .address_space:  global
        .offset:         0
        .size:           8
        .value_kind:     global_buffer
      - .address_space:  global
        .offset:         8
        .size:           8
        .value_kind:     global_buffer
      - .address_space:  global
        .offset:         16
        .size:           8
        .value_kind:     global_buffer
      - .offset:         24
        .size:           4
        .value_kind:     by_value
      - .address_space:  global
        .offset:         32
        .size:           8
        .value_kind:     global_buffer
      - .address_space:  global
        .offset:         40
        .size:           8
        .value_kind:     global_buffer
      - .offset:         48
        .size:           4
        .value_kind:     by_value
      - .offset:         52
        .size:           4
        .value_kind:     by_value
      - .offset:         56
        .size:           4
        .value_kind:     by_value
      - .offset:         60
        .size:           1
        .value_kind:     by_value
      - .address_space:  global
        .offset:         64
        .size:           8
        .value_kind:     global_buffer
    .group_segment_fixed_size: 0
    .kernarg_segment_align: 8
    .kernarg_segment_size: 72
    .language:       OpenCL C
    .language_version:
      - 2
      - 0
    .max_flat_workgroup_size: 256
    .name:           _ZN4vllm3moe10topkGatingILi8ELi512ELi4ELi16ELi64Ej6__halfLNS0_11ScoringFuncE0EEEvPKT5_PKbPfiPT4_PiiiibPKf
    .private_segment_fixed_size: 0
    .sgpr_count:     30
    .sgpr_spill_count: 0
    .symbol:         _ZN4vllm3moe10topkGatingILi8ELi512ELi4ELi16ELi64Ej6__halfLNS0_11ScoringFuncE0EEEvPKT5_PKbPfiPT4_PiiiibPKf.kd
    .uniform_work_group_size: 1
    .uses_dynamic_stack: false
    .vgpr_count:     38
    .vgpr_spill_count: 0
    .wavefront_size: 64
  - .agpr_count:     0
    .args:
      - .address_space:  global
        .offset:         0
        .size:           8
        .value_kind:     global_buffer
      - .address_space:  global
        .offset:         8
        .size:           8
        .value_kind:     global_buffer
      - .address_space:  global
        .offset:         16
        .size:           8
        .value_kind:     global_buffer
      - .offset:         24
        .size:           4
        .value_kind:     by_value
      - .address_space:  global
        .offset:         32
        .size:           8
        .value_kind:     global_buffer
      - .address_space:  global
        .offset:         40
        .size:           8
        .value_kind:     global_buffer
      - .offset:         48
        .size:           4
        .value_kind:     by_value
      - .offset:         52
        .size:           4
        .value_kind:     by_value
      - .offset:         56
        .size:           4
        .value_kind:     by_value
      - .offset:         60
        .size:           1
        .value_kind:     by_value
      - .address_space:  global
        .offset:         64
        .size:           8
        .value_kind:     global_buffer
    .group_segment_fixed_size: 0
    .kernarg_segment_align: 8
    .kernarg_segment_size: 72
    .language:       OpenCL C
    .language_version:
      - 2
      - 0
    .max_flat_workgroup_size: 128
    .name:           _ZN4vllm3moe10topkGatingILi16ELi512ELi4ELi16ELi32Ej6__halfLNS0_11ScoringFuncE0EEEvPKT5_PKbPfiPT4_PiiiibPKf
    .private_segment_fixed_size: 0
    .sgpr_count:     30
    .sgpr_spill_count: 0
    .symbol:         _ZN4vllm3moe10topkGatingILi16ELi512ELi4ELi16ELi32Ej6__halfLNS0_11ScoringFuncE0EEEvPKT5_PKbPfiPT4_PiiiibPKf.kd
    .uniform_work_group_size: 1
    .uses_dynamic_stack: false
    .vgpr_count:     61
    .vgpr_spill_count: 0
    .wavefront_size: 64
  - .agpr_count:     0
    .args:
      - .address_space:  global
        .offset:         0
        .size:           8
        .value_kind:     global_buffer
      - .address_space:  global
        .offset:         8
        .size:           8
        .value_kind:     global_buffer
      - .address_space:  global
        .offset:         16
        .size:           8
        .value_kind:     global_buffer
      - .offset:         24
        .size:           4
        .value_kind:     by_value
      - .address_space:  global
        .offset:         32
        .size:           8
        .value_kind:     global_buffer
      - .address_space:  global
        .offset:         40
        .size:           8
        .value_kind:     global_buffer
      - .offset:         48
        .size:           4
        .value_kind:     by_value
      - .offset:         52
        .size:           4
        .value_kind:     by_value
      - .offset:         56
        .size:           4
        .value_kind:     by_value
      - .offset:         60
        .size:           1
        .value_kind:     by_value
      - .address_space:  global
        .offset:         64
        .size:           8
        .value_kind:     global_buffer
    .group_segment_fixed_size: 0
    .kernarg_segment_align: 8
    .kernarg_segment_size: 72
    .language:       OpenCL C
    .language_version:
      - 2
      - 0
    .max_flat_workgroup_size: 256
    .name:           _ZN4vllm3moe10topkGatingILi1ELi1ELi4ELi2ELi64El6__halfLNS0_11ScoringFuncE0EEEvPKT5_PKbPfiPT4_PiiiibPKf
    .private_segment_fixed_size: 0
    .sgpr_count:     27
    .sgpr_spill_count: 0
    .symbol:         _ZN4vllm3moe10topkGatingILi1ELi1ELi4ELi2ELi64El6__halfLNS0_11ScoringFuncE0EEEvPKT5_PKbPfiPT4_PiiiibPKf.kd
    .uniform_work_group_size: 1
    .uses_dynamic_stack: false
    .vgpr_count:     19
    .vgpr_spill_count: 0
    .wavefront_size: 64
  - .agpr_count:     0
    .args:
      - .address_space:  global
        .offset:         0
        .size:           8
        .value_kind:     global_buffer
      - .address_space:  global
        .offset:         8
        .size:           8
        .value_kind:     global_buffer
      - .address_space:  global
        .offset:         16
        .size:           8
        .value_kind:     global_buffer
      - .offset:         24
        .size:           4
        .value_kind:     by_value
      - .address_space:  global
        .offset:         32
        .size:           8
        .value_kind:     global_buffer
      - .address_space:  global
        .offset:         40
        .size:           8
        .value_kind:     global_buffer
      - .offset:         48
        .size:           4
        .value_kind:     by_value
      - .offset:         52
        .size:           4
        .value_kind:     by_value
      - .offset:         56
        .size:           4
        .value_kind:     by_value
      - .offset:         60
        .size:           1
        .value_kind:     by_value
      - .address_space:  global
        .offset:         64
        .size:           8
        .value_kind:     global_buffer
    .group_segment_fixed_size: 0
    .kernarg_segment_align: 8
    .kernarg_segment_size: 72
    .language:       OpenCL C
    .language_version:
      - 2
      - 0
    .max_flat_workgroup_size: 128
    .name:           _ZN4vllm3moe10topkGatingILi1ELi1ELi4ELi2ELi32El6__halfLNS0_11ScoringFuncE0EEEvPKT5_PKbPfiPT4_PiiiibPKf
    .private_segment_fixed_size: 0
    .sgpr_count:     27
    .sgpr_spill_count: 0
    .symbol:         _ZN4vllm3moe10topkGatingILi1ELi1ELi4ELi2ELi32El6__halfLNS0_11ScoringFuncE0EEEvPKT5_PKbPfiPT4_PiiiibPKf.kd
    .uniform_work_group_size: 1
    .uses_dynamic_stack: false
    .vgpr_count:     19
    .vgpr_spill_count: 0
    .wavefront_size: 64
  - .agpr_count:     0
    .args:
      - .address_space:  global
        .offset:         0
        .size:           8
        .value_kind:     global_buffer
      - .address_space:  global
        .offset:         8
        .size:           8
        .value_kind:     global_buffer
      - .address_space:  global
        .offset:         16
        .size:           8
        .value_kind:     global_buffer
      - .offset:         24
        .size:           4
        .value_kind:     by_value
      - .address_space:  global
        .offset:         32
        .size:           8
        .value_kind:     global_buffer
      - .address_space:  global
        .offset:         40
        .size:           8
        .value_kind:     global_buffer
      - .offset:         48
        .size:           4
        .value_kind:     by_value
      - .offset:         52
        .size:           4
        .value_kind:     by_value
      - .offset:         56
        .size:           4
        .value_kind:     by_value
      - .offset:         60
        .size:           1
        .value_kind:     by_value
      - .address_space:  global
        .offset:         64
        .size:           8
        .value_kind:     global_buffer
    .group_segment_fixed_size: 0
    .kernarg_segment_align: 8
    .kernarg_segment_size: 72
    .language:       OpenCL C
    .language_version:
      - 2
      - 0
    .max_flat_workgroup_size: 256
    .name:           _ZN4vllm3moe10topkGatingILi2ELi2ELi4ELi4ELi64El6__halfLNS0_11ScoringFuncE0EEEvPKT5_PKbPfiPT4_PiiiibPKf
    .private_segment_fixed_size: 0
    .sgpr_count:     28
    .sgpr_spill_count: 0
    .symbol:         _ZN4vllm3moe10topkGatingILi2ELi2ELi4ELi4ELi64El6__halfLNS0_11ScoringFuncE0EEEvPKT5_PKbPfiPT4_PiiiibPKf.kd
    .uniform_work_group_size: 1
    .uses_dynamic_stack: false
    .vgpr_count:     19
    .vgpr_spill_count: 0
    .wavefront_size: 64
  - .agpr_count:     0
    .args:
      - .address_space:  global
        .offset:         0
        .size:           8
        .value_kind:     global_buffer
      - .address_space:  global
        .offset:         8
        .size:           8
        .value_kind:     global_buffer
      - .address_space:  global
        .offset:         16
        .size:           8
        .value_kind:     global_buffer
      - .offset:         24
        .size:           4
        .value_kind:     by_value
      - .address_space:  global
        .offset:         32
        .size:           8
        .value_kind:     global_buffer
      - .address_space:  global
        .offset:         40
        .size:           8
        .value_kind:     global_buffer
      - .offset:         48
        .size:           4
        .value_kind:     by_value
      - .offset:         52
        .size:           4
        .value_kind:     by_value
      - .offset:         56
        .size:           4
        .value_kind:     by_value
      - .offset:         60
        .size:           1
        .value_kind:     by_value
      - .address_space:  global
        .offset:         64
        .size:           8
        .value_kind:     global_buffer
    .group_segment_fixed_size: 0
    .kernarg_segment_align: 8
    .kernarg_segment_size: 72
    .language:       OpenCL C
    .language_version:
      - 2
      - 0
    .max_flat_workgroup_size: 128
    .name:           _ZN4vllm3moe10topkGatingILi2ELi2ELi4ELi4ELi32El6__halfLNS0_11ScoringFuncE0EEEvPKT5_PKbPfiPT4_PiiiibPKf
    .private_segment_fixed_size: 0
    .sgpr_count:     28
    .sgpr_spill_count: 0
    .symbol:         _ZN4vllm3moe10topkGatingILi2ELi2ELi4ELi4ELi32El6__halfLNS0_11ScoringFuncE0EEEvPKT5_PKbPfiPT4_PiiiibPKf.kd
    .uniform_work_group_size: 1
    .uses_dynamic_stack: false
    .vgpr_count:     19
    .vgpr_spill_count: 0
    .wavefront_size: 64
  - .agpr_count:     0
    .args:
      - .address_space:  global
        .offset:         0
        .size:           8
        .value_kind:     global_buffer
      - .address_space:  global
        .offset:         8
        .size:           8
        .value_kind:     global_buffer
      - .address_space:  global
        .offset:         16
        .size:           8
        .value_kind:     global_buffer
      - .offset:         24
        .size:           4
        .value_kind:     by_value
      - .address_space:  global
        .offset:         32
        .size:           8
        .value_kind:     global_buffer
      - .address_space:  global
        .offset:         40
        .size:           8
        .value_kind:     global_buffer
      - .offset:         48
        .size:           4
        .value_kind:     by_value
      - .offset:         52
        .size:           4
        .value_kind:     by_value
      - .offset:         56
        .size:           4
        .value_kind:     by_value
      - .offset:         60
        .size:           1
        .value_kind:     by_value
      - .address_space:  global
        .offset:         64
        .size:           8
        .value_kind:     global_buffer
    .group_segment_fixed_size: 0
    .kernarg_segment_align: 8
    .kernarg_segment_size: 72
    .language:       OpenCL C
    .language_version:
      - 2
      - 0
    .max_flat_workgroup_size: 256
    .name:           _ZN4vllm3moe10topkGatingILi4ELi4ELi4ELi8ELi64El6__halfLNS0_11ScoringFuncE0EEEvPKT5_PKbPfiPT4_PiiiibPKf
    .private_segment_fixed_size: 0
    .sgpr_count:     28
    .sgpr_spill_count: 0
    .symbol:         _ZN4vllm3moe10topkGatingILi4ELi4ELi4ELi8ELi64El6__halfLNS0_11ScoringFuncE0EEEvPKT5_PKbPfiPT4_PiiiibPKf.kd
    .uniform_work_group_size: 1
    .uses_dynamic_stack: false
    .vgpr_count:     22
    .vgpr_spill_count: 0
    .wavefront_size: 64
  - .agpr_count:     0
    .args:
      - .address_space:  global
        .offset:         0
        .size:           8
        .value_kind:     global_buffer
      - .address_space:  global
        .offset:         8
        .size:           8
        .value_kind:     global_buffer
      - .address_space:  global
        .offset:         16
        .size:           8
        .value_kind:     global_buffer
      - .offset:         24
        .size:           4
        .value_kind:     by_value
      - .address_space:  global
        .offset:         32
        .size:           8
        .value_kind:     global_buffer
      - .address_space:  global
        .offset:         40
        .size:           8
        .value_kind:     global_buffer
      - .offset:         48
        .size:           4
        .value_kind:     by_value
      - .offset:         52
        .size:           4
        .value_kind:     by_value
      - .offset:         56
        .size:           4
        .value_kind:     by_value
      - .offset:         60
        .size:           1
        .value_kind:     by_value
      - .address_space:  global
        .offset:         64
        .size:           8
        .value_kind:     global_buffer
    .group_segment_fixed_size: 0
    .kernarg_segment_align: 8
    .kernarg_segment_size: 72
    .language:       OpenCL C
    .language_version:
      - 2
      - 0
    .max_flat_workgroup_size: 128
    .name:           _ZN4vllm3moe10topkGatingILi4ELi4ELi4ELi8ELi32El6__halfLNS0_11ScoringFuncE0EEEvPKT5_PKbPfiPT4_PiiiibPKf
    .private_segment_fixed_size: 0
    .sgpr_count:     28
    .sgpr_spill_count: 0
    .symbol:         _ZN4vllm3moe10topkGatingILi4ELi4ELi4ELi8ELi32El6__halfLNS0_11ScoringFuncE0EEEvPKT5_PKbPfiPT4_PiiiibPKf.kd
    .uniform_work_group_size: 1
    .uses_dynamic_stack: false
    .vgpr_count:     22
    .vgpr_spill_count: 0
    .wavefront_size: 64
  - .agpr_count:     0
    .args:
      - .address_space:  global
        .offset:         0
        .size:           8
        .value_kind:     global_buffer
      - .address_space:  global
        .offset:         8
        .size:           8
        .value_kind:     global_buffer
      - .address_space:  global
        .offset:         16
        .size:           8
        .value_kind:     global_buffer
      - .offset:         24
        .size:           4
        .value_kind:     by_value
      - .address_space:  global
        .offset:         32
        .size:           8
        .value_kind:     global_buffer
      - .address_space:  global
        .offset:         40
        .size:           8
        .value_kind:     global_buffer
      - .offset:         48
        .size:           4
        .value_kind:     by_value
      - .offset:         52
        .size:           4
        .value_kind:     by_value
      - .offset:         56
        .size:           4
        .value_kind:     by_value
      - .offset:         60
        .size:           1
        .value_kind:     by_value
      - .address_space:  global
        .offset:         64
        .size:           8
        .value_kind:     global_buffer
    .group_segment_fixed_size: 0
    .kernarg_segment_align: 8
    .kernarg_segment_size: 72
    .language:       OpenCL C
    .language_version:
      - 2
      - 0
    .max_flat_workgroup_size: 256
    .name:           _ZN4vllm3moe10topkGatingILi8ELi8ELi4ELi16ELi64El6__halfLNS0_11ScoringFuncE0EEEvPKT5_PKbPfiPT4_PiiiibPKf
    .private_segment_fixed_size: 0
    .sgpr_count:     32
    .sgpr_spill_count: 0
    .symbol:         _ZN4vllm3moe10topkGatingILi8ELi8ELi4ELi16ELi64El6__halfLNS0_11ScoringFuncE0EEEvPKT5_PKbPfiPT4_PiiiibPKf.kd
    .uniform_work_group_size: 1
    .uses_dynamic_stack: false
    .vgpr_count:     32
    .vgpr_spill_count: 0
    .wavefront_size: 64
  - .agpr_count:     0
    .args:
      - .address_space:  global
        .offset:         0
        .size:           8
        .value_kind:     global_buffer
      - .address_space:  global
        .offset:         8
        .size:           8
        .value_kind:     global_buffer
      - .address_space:  global
        .offset:         16
        .size:           8
        .value_kind:     global_buffer
      - .offset:         24
        .size:           4
        .value_kind:     by_value
      - .address_space:  global
        .offset:         32
        .size:           8
        .value_kind:     global_buffer
      - .address_space:  global
        .offset:         40
        .size:           8
        .value_kind:     global_buffer
      - .offset:         48
        .size:           4
        .value_kind:     by_value
      - .offset:         52
        .size:           4
        .value_kind:     by_value
      - .offset:         56
        .size:           4
        .value_kind:     by_value
      - .offset:         60
        .size:           1
        .value_kind:     by_value
      - .address_space:  global
        .offset:         64
        .size:           8
        .value_kind:     global_buffer
    .group_segment_fixed_size: 0
    .kernarg_segment_align: 8
    .kernarg_segment_size: 72
    .language:       OpenCL C
    .language_version:
      - 2
      - 0
    .max_flat_workgroup_size: 128
    .name:           _ZN4vllm3moe10topkGatingILi8ELi8ELi4ELi16ELi32El6__halfLNS0_11ScoringFuncE0EEEvPKT5_PKbPfiPT4_PiiiibPKf
    .private_segment_fixed_size: 0
    .sgpr_count:     32
    .sgpr_spill_count: 0
    .symbol:         _ZN4vllm3moe10topkGatingILi8ELi8ELi4ELi16ELi32El6__halfLNS0_11ScoringFuncE0EEEvPKT5_PKbPfiPT4_PiiiibPKf.kd
    .uniform_work_group_size: 1
    .uses_dynamic_stack: false
    .vgpr_count:     32
    .vgpr_spill_count: 0
    .wavefront_size: 64
  - .agpr_count:     0
    .args:
      - .address_space:  global
        .offset:         0
        .size:           8
        .value_kind:     global_buffer
      - .address_space:  global
        .offset:         8
        .size:           8
        .value_kind:     global_buffer
      - .address_space:  global
        .offset:         16
        .size:           8
        .value_kind:     global_buffer
      - .offset:         24
        .size:           4
        .value_kind:     by_value
      - .address_space:  global
        .offset:         32
        .size:           8
        .value_kind:     global_buffer
      - .address_space:  global
        .offset:         40
        .size:           8
        .value_kind:     global_buffer
      - .offset:         48
        .size:           4
        .value_kind:     by_value
      - .offset:         52
        .size:           4
        .value_kind:     by_value
      - .offset:         56
        .size:           4
        .value_kind:     by_value
      - .offset:         60
        .size:           1
        .value_kind:     by_value
      - .address_space:  global
        .offset:         64
        .size:           8
        .value_kind:     global_buffer
    .group_segment_fixed_size: 0
    .kernarg_segment_align: 8
    .kernarg_segment_size: 72
    .language:       OpenCL C
    .language_version:
      - 2
      - 0
    .max_flat_workgroup_size: 256
    .name:           _ZN4vllm3moe10topkGatingILi8ELi16ELi4ELi16ELi64El6__halfLNS0_11ScoringFuncE0EEEvPKT5_PKbPfiPT4_PiiiibPKf
    .private_segment_fixed_size: 0
    .sgpr_count:     30
    .sgpr_spill_count: 0
    .symbol:         _ZN4vllm3moe10topkGatingILi8ELi16ELi4ELi16ELi64El6__halfLNS0_11ScoringFuncE0EEEvPKT5_PKbPfiPT4_PiiiibPKf.kd
    .uniform_work_group_size: 1
    .uses_dynamic_stack: false
    .vgpr_count:     33
    .vgpr_spill_count: 0
    .wavefront_size: 64
  - .agpr_count:     0
    .args:
      - .address_space:  global
        .offset:         0
        .size:           8
        .value_kind:     global_buffer
      - .address_space:  global
        .offset:         8
        .size:           8
        .value_kind:     global_buffer
      - .address_space:  global
        .offset:         16
        .size:           8
        .value_kind:     global_buffer
      - .offset:         24
        .size:           4
        .value_kind:     by_value
      - .address_space:  global
        .offset:         32
        .size:           8
        .value_kind:     global_buffer
      - .address_space:  global
        .offset:         40
        .size:           8
        .value_kind:     global_buffer
      - .offset:         48
        .size:           4
        .value_kind:     by_value
      - .offset:         52
        .size:           4
        .value_kind:     by_value
      - .offset:         56
        .size:           4
        .value_kind:     by_value
      - .offset:         60
        .size:           1
        .value_kind:     by_value
      - .address_space:  global
        .offset:         64
        .size:           8
        .value_kind:     global_buffer
    .group_segment_fixed_size: 0
    .kernarg_segment_align: 8
    .kernarg_segment_size: 72
    .language:       OpenCL C
    .language_version:
      - 2
      - 0
    .max_flat_workgroup_size: 128
    .name:           _ZN4vllm3moe10topkGatingILi8ELi16ELi4ELi16ELi32El6__halfLNS0_11ScoringFuncE0EEEvPKT5_PKbPfiPT4_PiiiibPKf
    .private_segment_fixed_size: 0
    .sgpr_count:     30
    .sgpr_spill_count: 0
    .symbol:         _ZN4vllm3moe10topkGatingILi8ELi16ELi4ELi16ELi32El6__halfLNS0_11ScoringFuncE0EEEvPKT5_PKbPfiPT4_PiiiibPKf.kd
    .uniform_work_group_size: 1
    .uses_dynamic_stack: false
    .vgpr_count:     33
    .vgpr_spill_count: 0
    .wavefront_size: 64
  - .agpr_count:     0
    .args:
      - .address_space:  global
        .offset:         0
        .size:           8
        .value_kind:     global_buffer
      - .address_space:  global
        .offset:         8
        .size:           8
        .value_kind:     global_buffer
      - .address_space:  global
        .offset:         16
        .size:           8
        .value_kind:     global_buffer
      - .offset:         24
        .size:           4
        .value_kind:     by_value
      - .address_space:  global
        .offset:         32
        .size:           8
        .value_kind:     global_buffer
      - .address_space:  global
        .offset:         40
        .size:           8
        .value_kind:     global_buffer
      - .offset:         48
        .size:           4
        .value_kind:     by_value
      - .offset:         52
        .size:           4
        .value_kind:     by_value
      - .offset:         56
        .size:           4
        .value_kind:     by_value
      - .offset:         60
        .size:           1
        .value_kind:     by_value
      - .address_space:  global
        .offset:         64
        .size:           8
        .value_kind:     global_buffer
    .group_segment_fixed_size: 0
    .kernarg_segment_align: 8
    .kernarg_segment_size: 72
    .language:       OpenCL C
    .language_version:
      - 2
      - 0
    .max_flat_workgroup_size: 256
    .name:           _ZN4vllm3moe10topkGatingILi8ELi32ELi4ELi16ELi64El6__halfLNS0_11ScoringFuncE0EEEvPKT5_PKbPfiPT4_PiiiibPKf
    .private_segment_fixed_size: 0
    .sgpr_count:     28
    .sgpr_spill_count: 0
    .symbol:         _ZN4vllm3moe10topkGatingILi8ELi32ELi4ELi16ELi64El6__halfLNS0_11ScoringFuncE0EEEvPKT5_PKbPfiPT4_PiiiibPKf.kd
    .uniform_work_group_size: 1
    .uses_dynamic_stack: false
    .vgpr_count:     34
    .vgpr_spill_count: 0
    .wavefront_size: 64
  - .agpr_count:     0
    .args:
      - .address_space:  global
        .offset:         0
        .size:           8
        .value_kind:     global_buffer
      - .address_space:  global
        .offset:         8
        .size:           8
        .value_kind:     global_buffer
      - .address_space:  global
        .offset:         16
        .size:           8
        .value_kind:     global_buffer
      - .offset:         24
        .size:           4
        .value_kind:     by_value
      - .address_space:  global
        .offset:         32
        .size:           8
        .value_kind:     global_buffer
      - .address_space:  global
        .offset:         40
        .size:           8
        .value_kind:     global_buffer
      - .offset:         48
        .size:           4
        .value_kind:     by_value
      - .offset:         52
        .size:           4
        .value_kind:     by_value
      - .offset:         56
        .size:           4
        .value_kind:     by_value
      - .offset:         60
        .size:           1
        .value_kind:     by_value
      - .address_space:  global
        .offset:         64
        .size:           8
        .value_kind:     global_buffer
    .group_segment_fixed_size: 0
    .kernarg_segment_align: 8
    .kernarg_segment_size: 72
    .language:       OpenCL C
    .language_version:
      - 2
      - 0
    .max_flat_workgroup_size: 128
    .name:           _ZN4vllm3moe10topkGatingILi8ELi32ELi4ELi16ELi32El6__halfLNS0_11ScoringFuncE0EEEvPKT5_PKbPfiPT4_PiiiibPKf
    .private_segment_fixed_size: 0
    .sgpr_count:     28
    .sgpr_spill_count: 0
    .symbol:         _ZN4vllm3moe10topkGatingILi8ELi32ELi4ELi16ELi32El6__halfLNS0_11ScoringFuncE0EEEvPKT5_PKbPfiPT4_PiiiibPKf.kd
    .uniform_work_group_size: 1
    .uses_dynamic_stack: false
    .vgpr_count:     34
    .vgpr_spill_count: 0
    .wavefront_size: 64
  - .agpr_count:     0
    .args:
      - .address_space:  global
        .offset:         0
        .size:           8
        .value_kind:     global_buffer
      - .address_space:  global
        .offset:         8
        .size:           8
        .value_kind:     global_buffer
      - .address_space:  global
        .offset:         16
        .size:           8
        .value_kind:     global_buffer
      - .offset:         24
        .size:           4
        .value_kind:     by_value
      - .address_space:  global
        .offset:         32
        .size:           8
        .value_kind:     global_buffer
      - .address_space:  global
        .offset:         40
        .size:           8
        .value_kind:     global_buffer
      - .offset:         48
        .size:           4
        .value_kind:     by_value
      - .offset:         52
        .size:           4
        .value_kind:     by_value
      - .offset:         56
        .size:           4
        .value_kind:     by_value
      - .offset:         60
        .size:           1
        .value_kind:     by_value
      - .address_space:  global
        .offset:         64
        .size:           8
        .value_kind:     global_buffer
    .group_segment_fixed_size: 0
    .kernarg_segment_align: 8
    .kernarg_segment_size: 72
    .language:       OpenCL C
    .language_version:
      - 2
      - 0
    .max_flat_workgroup_size: 256
    .name:           _ZN4vllm3moe10topkGatingILi8ELi64ELi4ELi16ELi64El6__halfLNS0_11ScoringFuncE0EEEvPKT5_PKbPfiPT4_PiiiibPKf
    .private_segment_fixed_size: 0
    .sgpr_count:     30
    .sgpr_spill_count: 0
    .symbol:         _ZN4vllm3moe10topkGatingILi8ELi64ELi4ELi16ELi64El6__halfLNS0_11ScoringFuncE0EEEvPKT5_PKbPfiPT4_PiiiibPKf.kd
    .uniform_work_group_size: 1
    .uses_dynamic_stack: false
    .vgpr_count:     35
    .vgpr_spill_count: 0
    .wavefront_size: 64
  - .agpr_count:     0
    .args:
      - .address_space:  global
        .offset:         0
        .size:           8
        .value_kind:     global_buffer
      - .address_space:  global
        .offset:         8
        .size:           8
        .value_kind:     global_buffer
      - .address_space:  global
        .offset:         16
        .size:           8
        .value_kind:     global_buffer
      - .offset:         24
        .size:           4
        .value_kind:     by_value
      - .address_space:  global
        .offset:         32
        .size:           8
        .value_kind:     global_buffer
      - .address_space:  global
        .offset:         40
        .size:           8
        .value_kind:     global_buffer
      - .offset:         48
        .size:           4
        .value_kind:     by_value
      - .offset:         52
        .size:           4
        .value_kind:     by_value
      - .offset:         56
        .size:           4
        .value_kind:     by_value
      - .offset:         60
        .size:           1
        .value_kind:     by_value
      - .address_space:  global
        .offset:         64
        .size:           8
        .value_kind:     global_buffer
    .group_segment_fixed_size: 0
    .kernarg_segment_align: 8
    .kernarg_segment_size: 72
    .language:       OpenCL C
    .language_version:
      - 2
      - 0
    .max_flat_workgroup_size: 128
    .name:           _ZN4vllm3moe10topkGatingILi8ELi64ELi4ELi16ELi32El6__halfLNS0_11ScoringFuncE0EEEvPKT5_PKbPfiPT4_PiiiibPKf
    .private_segment_fixed_size: 0
    .sgpr_count:     30
    .sgpr_spill_count: 0
    .symbol:         _ZN4vllm3moe10topkGatingILi8ELi64ELi4ELi16ELi32El6__halfLNS0_11ScoringFuncE0EEEvPKT5_PKbPfiPT4_PiiiibPKf.kd
    .uniform_work_group_size: 1
    .uses_dynamic_stack: false
    .vgpr_count:     35
    .vgpr_spill_count: 0
    .wavefront_size: 64
  - .agpr_count:     0
    .args:
      - .address_space:  global
        .offset:         0
        .size:           8
        .value_kind:     global_buffer
      - .address_space:  global
        .offset:         8
        .size:           8
        .value_kind:     global_buffer
      - .address_space:  global
        .offset:         16
        .size:           8
        .value_kind:     global_buffer
      - .offset:         24
        .size:           4
        .value_kind:     by_value
      - .address_space:  global
        .offset:         32
        .size:           8
        .value_kind:     global_buffer
      - .address_space:  global
        .offset:         40
        .size:           8
        .value_kind:     global_buffer
      - .offset:         48
        .size:           4
        .value_kind:     by_value
      - .offset:         52
        .size:           4
        .value_kind:     by_value
      - .offset:         56
        .size:           4
        .value_kind:     by_value
      - .offset:         60
        .size:           1
        .value_kind:     by_value
      - .address_space:  global
        .offset:         64
        .size:           8
        .value_kind:     global_buffer
    .group_segment_fixed_size: 0
    .kernarg_segment_align: 8
    .kernarg_segment_size: 72
    .language:       OpenCL C
    .language_version:
      - 2
      - 0
    .max_flat_workgroup_size: 256
    .name:           _ZN4vllm3moe10topkGatingILi8ELi128ELi4ELi16ELi64El6__halfLNS0_11ScoringFuncE0EEEvPKT5_PKbPfiPT4_PiiiibPKf
    .private_segment_fixed_size: 0
    .sgpr_count:     30
    .sgpr_spill_count: 0
    .symbol:         _ZN4vllm3moe10topkGatingILi8ELi128ELi4ELi16ELi64El6__halfLNS0_11ScoringFuncE0EEEvPKT5_PKbPfiPT4_PiiiibPKf.kd
    .uniform_work_group_size: 1
    .uses_dynamic_stack: false
    .vgpr_count:     37
    .vgpr_spill_count: 0
    .wavefront_size: 64
  - .agpr_count:     0
    .args:
      - .address_space:  global
        .offset:         0
        .size:           8
        .value_kind:     global_buffer
      - .address_space:  global
        .offset:         8
        .size:           8
        .value_kind:     global_buffer
      - .address_space:  global
        .offset:         16
        .size:           8
        .value_kind:     global_buffer
      - .offset:         24
        .size:           4
        .value_kind:     by_value
      - .address_space:  global
        .offset:         32
        .size:           8
        .value_kind:     global_buffer
      - .address_space:  global
        .offset:         40
        .size:           8
        .value_kind:     global_buffer
      - .offset:         48
        .size:           4
        .value_kind:     by_value
      - .offset:         52
        .size:           4
        .value_kind:     by_value
      - .offset:         56
        .size:           4
        .value_kind:     by_value
      - .offset:         60
        .size:           1
        .value_kind:     by_value
      - .address_space:  global
        .offset:         64
        .size:           8
        .value_kind:     global_buffer
    .group_segment_fixed_size: 0
    .kernarg_segment_align: 8
    .kernarg_segment_size: 72
    .language:       OpenCL C
    .language_version:
      - 2
      - 0
    .max_flat_workgroup_size: 128
    .name:           _ZN4vllm3moe10topkGatingILi8ELi128ELi4ELi16ELi32El6__halfLNS0_11ScoringFuncE0EEEvPKT5_PKbPfiPT4_PiiiibPKf
    .private_segment_fixed_size: 0
    .sgpr_count:     30
    .sgpr_spill_count: 0
    .symbol:         _ZN4vllm3moe10topkGatingILi8ELi128ELi4ELi16ELi32El6__halfLNS0_11ScoringFuncE0EEEvPKT5_PKbPfiPT4_PiiiibPKf.kd
    .uniform_work_group_size: 1
    .uses_dynamic_stack: false
    .vgpr_count:     37
    .vgpr_spill_count: 0
    .wavefront_size: 64
  - .agpr_count:     0
    .args:
      - .address_space:  global
        .offset:         0
        .size:           8
        .value_kind:     global_buffer
      - .address_space:  global
        .offset:         8
        .size:           8
        .value_kind:     global_buffer
      - .address_space:  global
        .offset:         16
        .size:           8
        .value_kind:     global_buffer
      - .offset:         24
        .size:           4
        .value_kind:     by_value
      - .address_space:  global
        .offset:         32
        .size:           8
        .value_kind:     global_buffer
      - .address_space:  global
        .offset:         40
        .size:           8
        .value_kind:     global_buffer
      - .offset:         48
        .size:           4
        .value_kind:     by_value
      - .offset:         52
        .size:           4
        .value_kind:     by_value
      - .offset:         56
        .size:           4
        .value_kind:     by_value
      - .offset:         60
        .size:           1
        .value_kind:     by_value
      - .address_space:  global
        .offset:         64
        .size:           8
        .value_kind:     global_buffer
    .group_segment_fixed_size: 0
    .kernarg_segment_align: 8
    .kernarg_segment_size: 72
    .language:       OpenCL C
    .language_version:
      - 2
      - 0
    .max_flat_workgroup_size: 256
    .name:           _ZN4vllm3moe10topkGatingILi8ELi256ELi4ELi16ELi64El6__halfLNS0_11ScoringFuncE0EEEvPKT5_PKbPfiPT4_PiiiibPKf
    .private_segment_fixed_size: 0
    .sgpr_count:     30
    .sgpr_spill_count: 0
    .symbol:         _ZN4vllm3moe10topkGatingILi8ELi256ELi4ELi16ELi64El6__halfLNS0_11ScoringFuncE0EEEvPKT5_PKbPfiPT4_PiiiibPKf.kd
    .uniform_work_group_size: 1
    .uses_dynamic_stack: false
    .vgpr_count:     38
    .vgpr_spill_count: 0
    .wavefront_size: 64
  - .agpr_count:     0
    .args:
      - .address_space:  global
        .offset:         0
        .size:           8
        .value_kind:     global_buffer
      - .address_space:  global
        .offset:         8
        .size:           8
        .value_kind:     global_buffer
      - .address_space:  global
        .offset:         16
        .size:           8
        .value_kind:     global_buffer
      - .offset:         24
        .size:           4
        .value_kind:     by_value
      - .address_space:  global
        .offset:         32
        .size:           8
        .value_kind:     global_buffer
      - .address_space:  global
        .offset:         40
        .size:           8
        .value_kind:     global_buffer
      - .offset:         48
        .size:           4
        .value_kind:     by_value
      - .offset:         52
        .size:           4
        .value_kind:     by_value
      - .offset:         56
        .size:           4
        .value_kind:     by_value
      - .offset:         60
        .size:           1
        .value_kind:     by_value
      - .address_space:  global
        .offset:         64
        .size:           8
        .value_kind:     global_buffer
    .group_segment_fixed_size: 0
    .kernarg_segment_align: 8
    .kernarg_segment_size: 72
    .language:       OpenCL C
    .language_version:
      - 2
      - 0
    .max_flat_workgroup_size: 128
    .name:           _ZN4vllm3moe10topkGatingILi8ELi256ELi4ELi16ELi32El6__halfLNS0_11ScoringFuncE0EEEvPKT5_PKbPfiPT4_PiiiibPKf
    .private_segment_fixed_size: 0
    .sgpr_count:     30
    .sgpr_spill_count: 0
    .symbol:         _ZN4vllm3moe10topkGatingILi8ELi256ELi4ELi16ELi32El6__halfLNS0_11ScoringFuncE0EEEvPKT5_PKbPfiPT4_PiiiibPKf.kd
    .uniform_work_group_size: 1
    .uses_dynamic_stack: false
    .vgpr_count:     38
    .vgpr_spill_count: 0
    .wavefront_size: 64
  - .agpr_count:     0
    .args:
      - .address_space:  global
        .offset:         0
        .size:           8
        .value_kind:     global_buffer
      - .address_space:  global
        .offset:         8
        .size:           8
        .value_kind:     global_buffer
      - .address_space:  global
        .offset:         16
        .size:           8
        .value_kind:     global_buffer
      - .offset:         24
        .size:           4
        .value_kind:     by_value
      - .address_space:  global
        .offset:         32
        .size:           8
        .value_kind:     global_buffer
      - .address_space:  global
        .offset:         40
        .size:           8
        .value_kind:     global_buffer
      - .offset:         48
        .size:           4
        .value_kind:     by_value
      - .offset:         52
        .size:           4
        .value_kind:     by_value
      - .offset:         56
        .size:           4
        .value_kind:     by_value
      - .offset:         60
        .size:           1
        .value_kind:     by_value
      - .address_space:  global
        .offset:         64
        .size:           8
        .value_kind:     global_buffer
    .group_segment_fixed_size: 0
    .kernarg_segment_align: 8
    .kernarg_segment_size: 72
    .language:       OpenCL C
    .language_version:
      - 2
      - 0
    .max_flat_workgroup_size: 256
    .name:           _ZN4vllm3moe10topkGatingILi8ELi512ELi4ELi16ELi64El6__halfLNS0_11ScoringFuncE0EEEvPKT5_PKbPfiPT4_PiiiibPKf
    .private_segment_fixed_size: 0
    .sgpr_count:     30
    .sgpr_spill_count: 0
    .symbol:         _ZN4vllm3moe10topkGatingILi8ELi512ELi4ELi16ELi64El6__halfLNS0_11ScoringFuncE0EEEvPKT5_PKbPfiPT4_PiiiibPKf.kd
    .uniform_work_group_size: 1
    .uses_dynamic_stack: false
    .vgpr_count:     39
    .vgpr_spill_count: 0
    .wavefront_size: 64
  - .agpr_count:     0
    .args:
      - .address_space:  global
        .offset:         0
        .size:           8
        .value_kind:     global_buffer
      - .address_space:  global
        .offset:         8
        .size:           8
        .value_kind:     global_buffer
      - .address_space:  global
        .offset:         16
        .size:           8
        .value_kind:     global_buffer
      - .offset:         24
        .size:           4
        .value_kind:     by_value
      - .address_space:  global
        .offset:         32
        .size:           8
        .value_kind:     global_buffer
      - .address_space:  global
        .offset:         40
        .size:           8
        .value_kind:     global_buffer
      - .offset:         48
        .size:           4
        .value_kind:     by_value
      - .offset:         52
        .size:           4
        .value_kind:     by_value
      - .offset:         56
        .size:           4
        .value_kind:     by_value
      - .offset:         60
        .size:           1
        .value_kind:     by_value
      - .address_space:  global
        .offset:         64
        .size:           8
        .value_kind:     global_buffer
    .group_segment_fixed_size: 0
    .kernarg_segment_align: 8
    .kernarg_segment_size: 72
    .language:       OpenCL C
    .language_version:
      - 2
      - 0
    .max_flat_workgroup_size: 128
    .name:           _ZN4vllm3moe10topkGatingILi16ELi512ELi4ELi16ELi32El6__halfLNS0_11ScoringFuncE0EEEvPKT5_PKbPfiPT4_PiiiibPKf
    .private_segment_fixed_size: 0
    .sgpr_count:     30
    .sgpr_spill_count: 0
    .symbol:         _ZN4vllm3moe10topkGatingILi16ELi512ELi4ELi16ELi32El6__halfLNS0_11ScoringFuncE0EEEvPKT5_PKbPfiPT4_PiiiibPKf.kd
    .uniform_work_group_size: 1
    .uses_dynamic_stack: false
    .vgpr_count:     62
    .vgpr_spill_count: 0
    .wavefront_size: 64
  - .agpr_count:     0
    .args:
      - .address_space:  global
        .offset:         0
        .size:           8
        .value_kind:     global_buffer
      - .address_space:  global
        .offset:         8
        .size:           8
        .value_kind:     global_buffer
      - .address_space:  global
        .offset:         16
        .size:           8
        .value_kind:     global_buffer
      - .offset:         24
        .size:           4
        .value_kind:     by_value
      - .address_space:  global
        .offset:         32
        .size:           8
        .value_kind:     global_buffer
      - .address_space:  global
        .offset:         40
        .size:           8
        .value_kind:     global_buffer
      - .offset:         48
        .size:           4
        .value_kind:     by_value
      - .offset:         52
        .size:           4
        .value_kind:     by_value
      - .offset:         56
        .size:           4
        .value_kind:     by_value
      - .offset:         60
        .size:           1
        .value_kind:     by_value
      - .address_space:  global
        .offset:         64
        .size:           8
        .value_kind:     global_buffer
    .group_segment_fixed_size: 0
    .kernarg_segment_align: 8
    .kernarg_segment_size: 72
    .language:       OpenCL C
    .language_version:
      - 2
      - 0
    .max_flat_workgroup_size: 256
    .name:           _ZN4vllm3moe10topkGatingILi1ELi1ELi4ELi2ELi64Ei14__hip_bfloat16LNS0_11ScoringFuncE0EEEvPKT5_PKbPfiPT4_PiiiibPKf
    .private_segment_fixed_size: 0
    .sgpr_count:     27
    .sgpr_spill_count: 0
    .symbol:         _ZN4vllm3moe10topkGatingILi1ELi1ELi4ELi2ELi64Ei14__hip_bfloat16LNS0_11ScoringFuncE0EEEvPKT5_PKbPfiPT4_PiiiibPKf.kd
    .uniform_work_group_size: 1
    .uses_dynamic_stack: false
    .vgpr_count:     19
    .vgpr_spill_count: 0
    .wavefront_size: 64
  - .agpr_count:     0
    .args:
      - .address_space:  global
        .offset:         0
        .size:           8
        .value_kind:     global_buffer
      - .address_space:  global
        .offset:         8
        .size:           8
        .value_kind:     global_buffer
      - .address_space:  global
        .offset:         16
        .size:           8
        .value_kind:     global_buffer
      - .offset:         24
        .size:           4
        .value_kind:     by_value
      - .address_space:  global
        .offset:         32
        .size:           8
        .value_kind:     global_buffer
      - .address_space:  global
        .offset:         40
        .size:           8
        .value_kind:     global_buffer
      - .offset:         48
        .size:           4
        .value_kind:     by_value
      - .offset:         52
        .size:           4
        .value_kind:     by_value
      - .offset:         56
        .size:           4
        .value_kind:     by_value
      - .offset:         60
        .size:           1
        .value_kind:     by_value
      - .address_space:  global
        .offset:         64
        .size:           8
        .value_kind:     global_buffer
    .group_segment_fixed_size: 0
    .kernarg_segment_align: 8
    .kernarg_segment_size: 72
    .language:       OpenCL C
    .language_version:
      - 2
      - 0
    .max_flat_workgroup_size: 128
    .name:           _ZN4vllm3moe10topkGatingILi1ELi1ELi4ELi2ELi32Ei14__hip_bfloat16LNS0_11ScoringFuncE0EEEvPKT5_PKbPfiPT4_PiiiibPKf
    .private_segment_fixed_size: 0
    .sgpr_count:     27
    .sgpr_spill_count: 0
    .symbol:         _ZN4vllm3moe10topkGatingILi1ELi1ELi4ELi2ELi32Ei14__hip_bfloat16LNS0_11ScoringFuncE0EEEvPKT5_PKbPfiPT4_PiiiibPKf.kd
    .uniform_work_group_size: 1
    .uses_dynamic_stack: false
    .vgpr_count:     19
    .vgpr_spill_count: 0
    .wavefront_size: 64
  - .agpr_count:     0
    .args:
      - .address_space:  global
        .offset:         0
        .size:           8
        .value_kind:     global_buffer
      - .address_space:  global
        .offset:         8
        .size:           8
        .value_kind:     global_buffer
      - .address_space:  global
        .offset:         16
        .size:           8
        .value_kind:     global_buffer
      - .offset:         24
        .size:           4
        .value_kind:     by_value
      - .address_space:  global
        .offset:         32
        .size:           8
        .value_kind:     global_buffer
      - .address_space:  global
        .offset:         40
        .size:           8
        .value_kind:     global_buffer
      - .offset:         48
        .size:           4
        .value_kind:     by_value
      - .offset:         52
        .size:           4
        .value_kind:     by_value
      - .offset:         56
        .size:           4
        .value_kind:     by_value
      - .offset:         60
        .size:           1
        .value_kind:     by_value
      - .address_space:  global
        .offset:         64
        .size:           8
        .value_kind:     global_buffer
    .group_segment_fixed_size: 0
    .kernarg_segment_align: 8
    .kernarg_segment_size: 72
    .language:       OpenCL C
    .language_version:
      - 2
      - 0
    .max_flat_workgroup_size: 256
    .name:           _ZN4vllm3moe10topkGatingILi2ELi2ELi4ELi4ELi64Ei14__hip_bfloat16LNS0_11ScoringFuncE0EEEvPKT5_PKbPfiPT4_PiiiibPKf
    .private_segment_fixed_size: 0
    .sgpr_count:     28
    .sgpr_spill_count: 0
    .symbol:         _ZN4vllm3moe10topkGatingILi2ELi2ELi4ELi4ELi64Ei14__hip_bfloat16LNS0_11ScoringFuncE0EEEvPKT5_PKbPfiPT4_PiiiibPKf.kd
    .uniform_work_group_size: 1
    .uses_dynamic_stack: false
    .vgpr_count:     19
    .vgpr_spill_count: 0
    .wavefront_size: 64
  - .agpr_count:     0
    .args:
      - .address_space:  global
        .offset:         0
        .size:           8
        .value_kind:     global_buffer
      - .address_space:  global
        .offset:         8
        .size:           8
        .value_kind:     global_buffer
      - .address_space:  global
        .offset:         16
        .size:           8
        .value_kind:     global_buffer
      - .offset:         24
        .size:           4
        .value_kind:     by_value
      - .address_space:  global
        .offset:         32
        .size:           8
        .value_kind:     global_buffer
      - .address_space:  global
        .offset:         40
        .size:           8
        .value_kind:     global_buffer
      - .offset:         48
        .size:           4
        .value_kind:     by_value
      - .offset:         52
        .size:           4
        .value_kind:     by_value
      - .offset:         56
        .size:           4
        .value_kind:     by_value
      - .offset:         60
        .size:           1
        .value_kind:     by_value
      - .address_space:  global
        .offset:         64
        .size:           8
        .value_kind:     global_buffer
    .group_segment_fixed_size: 0
    .kernarg_segment_align: 8
    .kernarg_segment_size: 72
    .language:       OpenCL C
    .language_version:
      - 2
      - 0
    .max_flat_workgroup_size: 128
    .name:           _ZN4vllm3moe10topkGatingILi2ELi2ELi4ELi4ELi32Ei14__hip_bfloat16LNS0_11ScoringFuncE0EEEvPKT5_PKbPfiPT4_PiiiibPKf
    .private_segment_fixed_size: 0
    .sgpr_count:     28
    .sgpr_spill_count: 0
    .symbol:         _ZN4vllm3moe10topkGatingILi2ELi2ELi4ELi4ELi32Ei14__hip_bfloat16LNS0_11ScoringFuncE0EEEvPKT5_PKbPfiPT4_PiiiibPKf.kd
    .uniform_work_group_size: 1
    .uses_dynamic_stack: false
    .vgpr_count:     19
    .vgpr_spill_count: 0
    .wavefront_size: 64
  - .agpr_count:     0
    .args:
      - .address_space:  global
        .offset:         0
        .size:           8
        .value_kind:     global_buffer
      - .address_space:  global
        .offset:         8
        .size:           8
        .value_kind:     global_buffer
      - .address_space:  global
        .offset:         16
        .size:           8
        .value_kind:     global_buffer
      - .offset:         24
        .size:           4
        .value_kind:     by_value
      - .address_space:  global
        .offset:         32
        .size:           8
        .value_kind:     global_buffer
      - .address_space:  global
        .offset:         40
        .size:           8
        .value_kind:     global_buffer
      - .offset:         48
        .size:           4
        .value_kind:     by_value
      - .offset:         52
        .size:           4
        .value_kind:     by_value
      - .offset:         56
        .size:           4
        .value_kind:     by_value
      - .offset:         60
        .size:           1
        .value_kind:     by_value
      - .address_space:  global
        .offset:         64
        .size:           8
        .value_kind:     global_buffer
    .group_segment_fixed_size: 0
    .kernarg_segment_align: 8
    .kernarg_segment_size: 72
    .language:       OpenCL C
    .language_version:
      - 2
      - 0
    .max_flat_workgroup_size: 256
    .name:           _ZN4vllm3moe10topkGatingILi4ELi4ELi4ELi8ELi64Ei14__hip_bfloat16LNS0_11ScoringFuncE0EEEvPKT5_PKbPfiPT4_PiiiibPKf
    .private_segment_fixed_size: 0
    .sgpr_count:     28
    .sgpr_spill_count: 0
    .symbol:         _ZN4vllm3moe10topkGatingILi4ELi4ELi4ELi8ELi64Ei14__hip_bfloat16LNS0_11ScoringFuncE0EEEvPKT5_PKbPfiPT4_PiiiibPKf.kd
    .uniform_work_group_size: 1
    .uses_dynamic_stack: false
    .vgpr_count:     22
    .vgpr_spill_count: 0
    .wavefront_size: 64
  - .agpr_count:     0
    .args:
      - .address_space:  global
        .offset:         0
        .size:           8
        .value_kind:     global_buffer
      - .address_space:  global
        .offset:         8
        .size:           8
        .value_kind:     global_buffer
      - .address_space:  global
        .offset:         16
        .size:           8
        .value_kind:     global_buffer
      - .offset:         24
        .size:           4
        .value_kind:     by_value
      - .address_space:  global
        .offset:         32
        .size:           8
        .value_kind:     global_buffer
      - .address_space:  global
        .offset:         40
        .size:           8
        .value_kind:     global_buffer
      - .offset:         48
        .size:           4
        .value_kind:     by_value
      - .offset:         52
        .size:           4
        .value_kind:     by_value
      - .offset:         56
        .size:           4
        .value_kind:     by_value
      - .offset:         60
        .size:           1
        .value_kind:     by_value
      - .address_space:  global
        .offset:         64
        .size:           8
        .value_kind:     global_buffer
    .group_segment_fixed_size: 0
    .kernarg_segment_align: 8
    .kernarg_segment_size: 72
    .language:       OpenCL C
    .language_version:
      - 2
      - 0
    .max_flat_workgroup_size: 128
    .name:           _ZN4vllm3moe10topkGatingILi4ELi4ELi4ELi8ELi32Ei14__hip_bfloat16LNS0_11ScoringFuncE0EEEvPKT5_PKbPfiPT4_PiiiibPKf
    .private_segment_fixed_size: 0
    .sgpr_count:     28
    .sgpr_spill_count: 0
    .symbol:         _ZN4vllm3moe10topkGatingILi4ELi4ELi4ELi8ELi32Ei14__hip_bfloat16LNS0_11ScoringFuncE0EEEvPKT5_PKbPfiPT4_PiiiibPKf.kd
    .uniform_work_group_size: 1
    .uses_dynamic_stack: false
    .vgpr_count:     22
    .vgpr_spill_count: 0
    .wavefront_size: 64
  - .agpr_count:     0
    .args:
      - .address_space:  global
        .offset:         0
        .size:           8
        .value_kind:     global_buffer
      - .address_space:  global
        .offset:         8
        .size:           8
        .value_kind:     global_buffer
      - .address_space:  global
        .offset:         16
        .size:           8
        .value_kind:     global_buffer
      - .offset:         24
        .size:           4
        .value_kind:     by_value
      - .address_space:  global
        .offset:         32
        .size:           8
        .value_kind:     global_buffer
      - .address_space:  global
        .offset:         40
        .size:           8
        .value_kind:     global_buffer
      - .offset:         48
        .size:           4
        .value_kind:     by_value
      - .offset:         52
        .size:           4
        .value_kind:     by_value
      - .offset:         56
        .size:           4
        .value_kind:     by_value
      - .offset:         60
        .size:           1
        .value_kind:     by_value
      - .address_space:  global
        .offset:         64
        .size:           8
        .value_kind:     global_buffer
    .group_segment_fixed_size: 0
    .kernarg_segment_align: 8
    .kernarg_segment_size: 72
    .language:       OpenCL C
    .language_version:
      - 2
      - 0
    .max_flat_workgroup_size: 256
    .name:           _ZN4vllm3moe10topkGatingILi8ELi8ELi4ELi16ELi64Ei14__hip_bfloat16LNS0_11ScoringFuncE0EEEvPKT5_PKbPfiPT4_PiiiibPKf
    .private_segment_fixed_size: 0
    .sgpr_count:     32
    .sgpr_spill_count: 0
    .symbol:         _ZN4vllm3moe10topkGatingILi8ELi8ELi4ELi16ELi64Ei14__hip_bfloat16LNS0_11ScoringFuncE0EEEvPKT5_PKbPfiPT4_PiiiibPKf.kd
    .uniform_work_group_size: 1
    .uses_dynamic_stack: false
    .vgpr_count:     32
    .vgpr_spill_count: 0
    .wavefront_size: 64
  - .agpr_count:     0
    .args:
      - .address_space:  global
        .offset:         0
        .size:           8
        .value_kind:     global_buffer
      - .address_space:  global
        .offset:         8
        .size:           8
        .value_kind:     global_buffer
      - .address_space:  global
        .offset:         16
        .size:           8
        .value_kind:     global_buffer
      - .offset:         24
        .size:           4
        .value_kind:     by_value
      - .address_space:  global
        .offset:         32
        .size:           8
        .value_kind:     global_buffer
      - .address_space:  global
        .offset:         40
        .size:           8
        .value_kind:     global_buffer
      - .offset:         48
        .size:           4
        .value_kind:     by_value
      - .offset:         52
        .size:           4
        .value_kind:     by_value
      - .offset:         56
        .size:           4
        .value_kind:     by_value
      - .offset:         60
        .size:           1
        .value_kind:     by_value
      - .address_space:  global
        .offset:         64
        .size:           8
        .value_kind:     global_buffer
    .group_segment_fixed_size: 0
    .kernarg_segment_align: 8
    .kernarg_segment_size: 72
    .language:       OpenCL C
    .language_version:
      - 2
      - 0
    .max_flat_workgroup_size: 128
    .name:           _ZN4vllm3moe10topkGatingILi8ELi8ELi4ELi16ELi32Ei14__hip_bfloat16LNS0_11ScoringFuncE0EEEvPKT5_PKbPfiPT4_PiiiibPKf
    .private_segment_fixed_size: 0
    .sgpr_count:     32
    .sgpr_spill_count: 0
    .symbol:         _ZN4vllm3moe10topkGatingILi8ELi8ELi4ELi16ELi32Ei14__hip_bfloat16LNS0_11ScoringFuncE0EEEvPKT5_PKbPfiPT4_PiiiibPKf.kd
    .uniform_work_group_size: 1
    .uses_dynamic_stack: false
    .vgpr_count:     32
    .vgpr_spill_count: 0
    .wavefront_size: 64
  - .agpr_count:     0
    .args:
      - .address_space:  global
        .offset:         0
        .size:           8
        .value_kind:     global_buffer
      - .address_space:  global
        .offset:         8
        .size:           8
        .value_kind:     global_buffer
      - .address_space:  global
        .offset:         16
        .size:           8
        .value_kind:     global_buffer
      - .offset:         24
        .size:           4
        .value_kind:     by_value
      - .address_space:  global
        .offset:         32
        .size:           8
        .value_kind:     global_buffer
      - .address_space:  global
        .offset:         40
        .size:           8
        .value_kind:     global_buffer
      - .offset:         48
        .size:           4
        .value_kind:     by_value
      - .offset:         52
        .size:           4
        .value_kind:     by_value
      - .offset:         56
        .size:           4
        .value_kind:     by_value
      - .offset:         60
        .size:           1
        .value_kind:     by_value
      - .address_space:  global
        .offset:         64
        .size:           8
        .value_kind:     global_buffer
    .group_segment_fixed_size: 0
    .kernarg_segment_align: 8
    .kernarg_segment_size: 72
    .language:       OpenCL C
    .language_version:
      - 2
      - 0
    .max_flat_workgroup_size: 256
    .name:           _ZN4vllm3moe10topkGatingILi8ELi16ELi4ELi16ELi64Ei14__hip_bfloat16LNS0_11ScoringFuncE0EEEvPKT5_PKbPfiPT4_PiiiibPKf
    .private_segment_fixed_size: 0
    .sgpr_count:     30
    .sgpr_spill_count: 0
    .symbol:         _ZN4vllm3moe10topkGatingILi8ELi16ELi4ELi16ELi64Ei14__hip_bfloat16LNS0_11ScoringFuncE0EEEvPKT5_PKbPfiPT4_PiiiibPKf.kd
    .uniform_work_group_size: 1
    .uses_dynamic_stack: false
    .vgpr_count:     31
    .vgpr_spill_count: 0
    .wavefront_size: 64
  - .agpr_count:     0
    .args:
      - .address_space:  global
        .offset:         0
        .size:           8
        .value_kind:     global_buffer
      - .address_space:  global
        .offset:         8
        .size:           8
        .value_kind:     global_buffer
      - .address_space:  global
        .offset:         16
        .size:           8
        .value_kind:     global_buffer
      - .offset:         24
        .size:           4
        .value_kind:     by_value
      - .address_space:  global
        .offset:         32
        .size:           8
        .value_kind:     global_buffer
      - .address_space:  global
        .offset:         40
        .size:           8
        .value_kind:     global_buffer
      - .offset:         48
        .size:           4
        .value_kind:     by_value
      - .offset:         52
        .size:           4
        .value_kind:     by_value
      - .offset:         56
        .size:           4
        .value_kind:     by_value
      - .offset:         60
        .size:           1
        .value_kind:     by_value
      - .address_space:  global
        .offset:         64
        .size:           8
        .value_kind:     global_buffer
    .group_segment_fixed_size: 0
    .kernarg_segment_align: 8
    .kernarg_segment_size: 72
    .language:       OpenCL C
    .language_version:
      - 2
      - 0
    .max_flat_workgroup_size: 128
    .name:           _ZN4vllm3moe10topkGatingILi8ELi16ELi4ELi16ELi32Ei14__hip_bfloat16LNS0_11ScoringFuncE0EEEvPKT5_PKbPfiPT4_PiiiibPKf
    .private_segment_fixed_size: 0
    .sgpr_count:     30
    .sgpr_spill_count: 0
    .symbol:         _ZN4vllm3moe10topkGatingILi8ELi16ELi4ELi16ELi32Ei14__hip_bfloat16LNS0_11ScoringFuncE0EEEvPKT5_PKbPfiPT4_PiiiibPKf.kd
    .uniform_work_group_size: 1
    .uses_dynamic_stack: false
    .vgpr_count:     31
    .vgpr_spill_count: 0
    .wavefront_size: 64
  - .agpr_count:     0
    .args:
      - .address_space:  global
        .offset:         0
        .size:           8
        .value_kind:     global_buffer
      - .address_space:  global
        .offset:         8
        .size:           8
        .value_kind:     global_buffer
      - .address_space:  global
        .offset:         16
        .size:           8
        .value_kind:     global_buffer
      - .offset:         24
        .size:           4
        .value_kind:     by_value
      - .address_space:  global
        .offset:         32
        .size:           8
        .value_kind:     global_buffer
      - .address_space:  global
        .offset:         40
        .size:           8
        .value_kind:     global_buffer
      - .offset:         48
        .size:           4
        .value_kind:     by_value
      - .offset:         52
        .size:           4
        .value_kind:     by_value
      - .offset:         56
        .size:           4
        .value_kind:     by_value
      - .offset:         60
        .size:           1
        .value_kind:     by_value
      - .address_space:  global
        .offset:         64
        .size:           8
        .value_kind:     global_buffer
    .group_segment_fixed_size: 0
    .kernarg_segment_align: 8
    .kernarg_segment_size: 72
    .language:       OpenCL C
    .language_version:
      - 2
      - 0
    .max_flat_workgroup_size: 256
    .name:           _ZN4vllm3moe10topkGatingILi8ELi32ELi4ELi16ELi64Ei14__hip_bfloat16LNS0_11ScoringFuncE0EEEvPKT5_PKbPfiPT4_PiiiibPKf
    .private_segment_fixed_size: 0
    .sgpr_count:     28
    .sgpr_spill_count: 0
    .symbol:         _ZN4vllm3moe10topkGatingILi8ELi32ELi4ELi16ELi64Ei14__hip_bfloat16LNS0_11ScoringFuncE0EEEvPKT5_PKbPfiPT4_PiiiibPKf.kd
    .uniform_work_group_size: 1
    .uses_dynamic_stack: false
    .vgpr_count:     32
    .vgpr_spill_count: 0
    .wavefront_size: 64
  - .agpr_count:     0
    .args:
      - .address_space:  global
        .offset:         0
        .size:           8
        .value_kind:     global_buffer
      - .address_space:  global
        .offset:         8
        .size:           8
        .value_kind:     global_buffer
      - .address_space:  global
        .offset:         16
        .size:           8
        .value_kind:     global_buffer
      - .offset:         24
        .size:           4
        .value_kind:     by_value
      - .address_space:  global
        .offset:         32
        .size:           8
        .value_kind:     global_buffer
      - .address_space:  global
        .offset:         40
        .size:           8
        .value_kind:     global_buffer
      - .offset:         48
        .size:           4
        .value_kind:     by_value
      - .offset:         52
        .size:           4
        .value_kind:     by_value
      - .offset:         56
        .size:           4
        .value_kind:     by_value
      - .offset:         60
        .size:           1
        .value_kind:     by_value
      - .address_space:  global
        .offset:         64
        .size:           8
        .value_kind:     global_buffer
    .group_segment_fixed_size: 0
    .kernarg_segment_align: 8
    .kernarg_segment_size: 72
    .language:       OpenCL C
    .language_version:
      - 2
      - 0
    .max_flat_workgroup_size: 128
    .name:           _ZN4vllm3moe10topkGatingILi8ELi32ELi4ELi16ELi32Ei14__hip_bfloat16LNS0_11ScoringFuncE0EEEvPKT5_PKbPfiPT4_PiiiibPKf
    .private_segment_fixed_size: 0
    .sgpr_count:     28
    .sgpr_spill_count: 0
    .symbol:         _ZN4vllm3moe10topkGatingILi8ELi32ELi4ELi16ELi32Ei14__hip_bfloat16LNS0_11ScoringFuncE0EEEvPKT5_PKbPfiPT4_PiiiibPKf.kd
    .uniform_work_group_size: 1
    .uses_dynamic_stack: false
    .vgpr_count:     32
    .vgpr_spill_count: 0
    .wavefront_size: 64
  - .agpr_count:     0
    .args:
      - .address_space:  global
        .offset:         0
        .size:           8
        .value_kind:     global_buffer
      - .address_space:  global
        .offset:         8
        .size:           8
        .value_kind:     global_buffer
      - .address_space:  global
        .offset:         16
        .size:           8
        .value_kind:     global_buffer
      - .offset:         24
        .size:           4
        .value_kind:     by_value
      - .address_space:  global
        .offset:         32
        .size:           8
        .value_kind:     global_buffer
      - .address_space:  global
        .offset:         40
        .size:           8
        .value_kind:     global_buffer
      - .offset:         48
        .size:           4
        .value_kind:     by_value
      - .offset:         52
        .size:           4
        .value_kind:     by_value
      - .offset:         56
        .size:           4
        .value_kind:     by_value
      - .offset:         60
        .size:           1
        .value_kind:     by_value
      - .address_space:  global
        .offset:         64
        .size:           8
        .value_kind:     global_buffer
    .group_segment_fixed_size: 0
    .kernarg_segment_align: 8
    .kernarg_segment_size: 72
    .language:       OpenCL C
    .language_version:
      - 2
      - 0
    .max_flat_workgroup_size: 256
    .name:           _ZN4vllm3moe10topkGatingILi8ELi64ELi4ELi16ELi64Ei14__hip_bfloat16LNS0_11ScoringFuncE0EEEvPKT5_PKbPfiPT4_PiiiibPKf
    .private_segment_fixed_size: 0
    .sgpr_count:     30
    .sgpr_spill_count: 0
    .symbol:         _ZN4vllm3moe10topkGatingILi8ELi64ELi4ELi16ELi64Ei14__hip_bfloat16LNS0_11ScoringFuncE0EEEvPKT5_PKbPfiPT4_PiiiibPKf.kd
    .uniform_work_group_size: 1
    .uses_dynamic_stack: false
    .vgpr_count:     34
    .vgpr_spill_count: 0
    .wavefront_size: 64
  - .agpr_count:     0
    .args:
      - .address_space:  global
        .offset:         0
        .size:           8
        .value_kind:     global_buffer
      - .address_space:  global
        .offset:         8
        .size:           8
        .value_kind:     global_buffer
      - .address_space:  global
        .offset:         16
        .size:           8
        .value_kind:     global_buffer
      - .offset:         24
        .size:           4
        .value_kind:     by_value
      - .address_space:  global
        .offset:         32
        .size:           8
        .value_kind:     global_buffer
      - .address_space:  global
        .offset:         40
        .size:           8
        .value_kind:     global_buffer
      - .offset:         48
        .size:           4
        .value_kind:     by_value
      - .offset:         52
        .size:           4
        .value_kind:     by_value
      - .offset:         56
        .size:           4
        .value_kind:     by_value
      - .offset:         60
        .size:           1
        .value_kind:     by_value
      - .address_space:  global
        .offset:         64
        .size:           8
        .value_kind:     global_buffer
    .group_segment_fixed_size: 0
    .kernarg_segment_align: 8
    .kernarg_segment_size: 72
    .language:       OpenCL C
    .language_version:
      - 2
      - 0
    .max_flat_workgroup_size: 128
    .name:           _ZN4vllm3moe10topkGatingILi8ELi64ELi4ELi16ELi32Ei14__hip_bfloat16LNS0_11ScoringFuncE0EEEvPKT5_PKbPfiPT4_PiiiibPKf
    .private_segment_fixed_size: 0
    .sgpr_count:     30
    .sgpr_spill_count: 0
    .symbol:         _ZN4vllm3moe10topkGatingILi8ELi64ELi4ELi16ELi32Ei14__hip_bfloat16LNS0_11ScoringFuncE0EEEvPKT5_PKbPfiPT4_PiiiibPKf.kd
    .uniform_work_group_size: 1
    .uses_dynamic_stack: false
    .vgpr_count:     34
    .vgpr_spill_count: 0
    .wavefront_size: 64
  - .agpr_count:     0
    .args:
      - .address_space:  global
        .offset:         0
        .size:           8
        .value_kind:     global_buffer
      - .address_space:  global
        .offset:         8
        .size:           8
        .value_kind:     global_buffer
      - .address_space:  global
        .offset:         16
        .size:           8
        .value_kind:     global_buffer
      - .offset:         24
        .size:           4
        .value_kind:     by_value
      - .address_space:  global
        .offset:         32
        .size:           8
        .value_kind:     global_buffer
      - .address_space:  global
        .offset:         40
        .size:           8
        .value_kind:     global_buffer
      - .offset:         48
        .size:           4
        .value_kind:     by_value
      - .offset:         52
        .size:           4
        .value_kind:     by_value
      - .offset:         56
        .size:           4
        .value_kind:     by_value
      - .offset:         60
        .size:           1
        .value_kind:     by_value
      - .address_space:  global
        .offset:         64
        .size:           8
        .value_kind:     global_buffer
    .group_segment_fixed_size: 0
    .kernarg_segment_align: 8
    .kernarg_segment_size: 72
    .language:       OpenCL C
    .language_version:
      - 2
      - 0
    .max_flat_workgroup_size: 256
    .name:           _ZN4vllm3moe10topkGatingILi8ELi128ELi4ELi16ELi64Ei14__hip_bfloat16LNS0_11ScoringFuncE0EEEvPKT5_PKbPfiPT4_PiiiibPKf
    .private_segment_fixed_size: 0
    .sgpr_count:     30
    .sgpr_spill_count: 0
    .symbol:         _ZN4vllm3moe10topkGatingILi8ELi128ELi4ELi16ELi64Ei14__hip_bfloat16LNS0_11ScoringFuncE0EEEvPKT5_PKbPfiPT4_PiiiibPKf.kd
    .uniform_work_group_size: 1
    .uses_dynamic_stack: false
    .vgpr_count:     36
    .vgpr_spill_count: 0
    .wavefront_size: 64
  - .agpr_count:     0
    .args:
      - .address_space:  global
        .offset:         0
        .size:           8
        .value_kind:     global_buffer
      - .address_space:  global
        .offset:         8
        .size:           8
        .value_kind:     global_buffer
      - .address_space:  global
        .offset:         16
        .size:           8
        .value_kind:     global_buffer
      - .offset:         24
        .size:           4
        .value_kind:     by_value
      - .address_space:  global
        .offset:         32
        .size:           8
        .value_kind:     global_buffer
      - .address_space:  global
        .offset:         40
        .size:           8
        .value_kind:     global_buffer
      - .offset:         48
        .size:           4
        .value_kind:     by_value
      - .offset:         52
        .size:           4
        .value_kind:     by_value
      - .offset:         56
        .size:           4
        .value_kind:     by_value
      - .offset:         60
        .size:           1
        .value_kind:     by_value
      - .address_space:  global
        .offset:         64
        .size:           8
        .value_kind:     global_buffer
    .group_segment_fixed_size: 0
    .kernarg_segment_align: 8
    .kernarg_segment_size: 72
    .language:       OpenCL C
    .language_version:
      - 2
      - 0
    .max_flat_workgroup_size: 128
    .name:           _ZN4vllm3moe10topkGatingILi8ELi128ELi4ELi16ELi32Ei14__hip_bfloat16LNS0_11ScoringFuncE0EEEvPKT5_PKbPfiPT4_PiiiibPKf
    .private_segment_fixed_size: 0
    .sgpr_count:     30
    .sgpr_spill_count: 0
    .symbol:         _ZN4vllm3moe10topkGatingILi8ELi128ELi4ELi16ELi32Ei14__hip_bfloat16LNS0_11ScoringFuncE0EEEvPKT5_PKbPfiPT4_PiiiibPKf.kd
    .uniform_work_group_size: 1
    .uses_dynamic_stack: false
    .vgpr_count:     36
    .vgpr_spill_count: 0
    .wavefront_size: 64
  - .agpr_count:     0
    .args:
      - .address_space:  global
        .offset:         0
        .size:           8
        .value_kind:     global_buffer
      - .address_space:  global
        .offset:         8
        .size:           8
        .value_kind:     global_buffer
      - .address_space:  global
        .offset:         16
        .size:           8
        .value_kind:     global_buffer
      - .offset:         24
        .size:           4
        .value_kind:     by_value
      - .address_space:  global
        .offset:         32
        .size:           8
        .value_kind:     global_buffer
      - .address_space:  global
        .offset:         40
        .size:           8
        .value_kind:     global_buffer
      - .offset:         48
        .size:           4
        .value_kind:     by_value
      - .offset:         52
        .size:           4
        .value_kind:     by_value
      - .offset:         56
        .size:           4
        .value_kind:     by_value
      - .offset:         60
        .size:           1
        .value_kind:     by_value
      - .address_space:  global
        .offset:         64
        .size:           8
        .value_kind:     global_buffer
    .group_segment_fixed_size: 0
    .kernarg_segment_align: 8
    .kernarg_segment_size: 72
    .language:       OpenCL C
    .language_version:
      - 2
      - 0
    .max_flat_workgroup_size: 256
    .name:           _ZN4vllm3moe10topkGatingILi8ELi256ELi4ELi16ELi64Ei14__hip_bfloat16LNS0_11ScoringFuncE0EEEvPKT5_PKbPfiPT4_PiiiibPKf
    .private_segment_fixed_size: 0
    .sgpr_count:     30
    .sgpr_spill_count: 0
    .symbol:         _ZN4vllm3moe10topkGatingILi8ELi256ELi4ELi16ELi64Ei14__hip_bfloat16LNS0_11ScoringFuncE0EEEvPKT5_PKbPfiPT4_PiiiibPKf.kd
    .uniform_work_group_size: 1
    .uses_dynamic_stack: false
    .vgpr_count:     37
    .vgpr_spill_count: 0
    .wavefront_size: 64
  - .agpr_count:     0
    .args:
      - .address_space:  global
        .offset:         0
        .size:           8
        .value_kind:     global_buffer
      - .address_space:  global
        .offset:         8
        .size:           8
        .value_kind:     global_buffer
      - .address_space:  global
        .offset:         16
        .size:           8
        .value_kind:     global_buffer
      - .offset:         24
        .size:           4
        .value_kind:     by_value
      - .address_space:  global
        .offset:         32
        .size:           8
        .value_kind:     global_buffer
      - .address_space:  global
        .offset:         40
        .size:           8
        .value_kind:     global_buffer
      - .offset:         48
        .size:           4
        .value_kind:     by_value
      - .offset:         52
        .size:           4
        .value_kind:     by_value
      - .offset:         56
        .size:           4
        .value_kind:     by_value
      - .offset:         60
        .size:           1
        .value_kind:     by_value
      - .address_space:  global
        .offset:         64
        .size:           8
        .value_kind:     global_buffer
    .group_segment_fixed_size: 0
    .kernarg_segment_align: 8
    .kernarg_segment_size: 72
    .language:       OpenCL C
    .language_version:
      - 2
      - 0
    .max_flat_workgroup_size: 128
    .name:           _ZN4vllm3moe10topkGatingILi8ELi256ELi4ELi16ELi32Ei14__hip_bfloat16LNS0_11ScoringFuncE0EEEvPKT5_PKbPfiPT4_PiiiibPKf
    .private_segment_fixed_size: 0
    .sgpr_count:     30
    .sgpr_spill_count: 0
    .symbol:         _ZN4vllm3moe10topkGatingILi8ELi256ELi4ELi16ELi32Ei14__hip_bfloat16LNS0_11ScoringFuncE0EEEvPKT5_PKbPfiPT4_PiiiibPKf.kd
    .uniform_work_group_size: 1
    .uses_dynamic_stack: false
    .vgpr_count:     37
    .vgpr_spill_count: 0
    .wavefront_size: 64
  - .agpr_count:     0
    .args:
      - .address_space:  global
        .offset:         0
        .size:           8
        .value_kind:     global_buffer
      - .address_space:  global
        .offset:         8
        .size:           8
        .value_kind:     global_buffer
      - .address_space:  global
        .offset:         16
        .size:           8
        .value_kind:     global_buffer
      - .offset:         24
        .size:           4
        .value_kind:     by_value
      - .address_space:  global
        .offset:         32
        .size:           8
        .value_kind:     global_buffer
      - .address_space:  global
        .offset:         40
        .size:           8
        .value_kind:     global_buffer
      - .offset:         48
        .size:           4
        .value_kind:     by_value
      - .offset:         52
        .size:           4
        .value_kind:     by_value
      - .offset:         56
        .size:           4
        .value_kind:     by_value
      - .offset:         60
        .size:           1
        .value_kind:     by_value
      - .address_space:  global
        .offset:         64
        .size:           8
        .value_kind:     global_buffer
    .group_segment_fixed_size: 0
    .kernarg_segment_align: 8
    .kernarg_segment_size: 72
    .language:       OpenCL C
    .language_version:
      - 2
      - 0
    .max_flat_workgroup_size: 256
    .name:           _ZN4vllm3moe10topkGatingILi8ELi512ELi4ELi16ELi64Ei14__hip_bfloat16LNS0_11ScoringFuncE0EEEvPKT5_PKbPfiPT4_PiiiibPKf
    .private_segment_fixed_size: 0
    .sgpr_count:     30
    .sgpr_spill_count: 0
    .symbol:         _ZN4vllm3moe10topkGatingILi8ELi512ELi4ELi16ELi64Ei14__hip_bfloat16LNS0_11ScoringFuncE0EEEvPKT5_PKbPfiPT4_PiiiibPKf.kd
    .uniform_work_group_size: 1
    .uses_dynamic_stack: false
    .vgpr_count:     38
    .vgpr_spill_count: 0
    .wavefront_size: 64
  - .agpr_count:     0
    .args:
      - .address_space:  global
        .offset:         0
        .size:           8
        .value_kind:     global_buffer
      - .address_space:  global
        .offset:         8
        .size:           8
        .value_kind:     global_buffer
      - .address_space:  global
        .offset:         16
        .size:           8
        .value_kind:     global_buffer
      - .offset:         24
        .size:           4
        .value_kind:     by_value
      - .address_space:  global
        .offset:         32
        .size:           8
        .value_kind:     global_buffer
      - .address_space:  global
        .offset:         40
        .size:           8
        .value_kind:     global_buffer
      - .offset:         48
        .size:           4
        .value_kind:     by_value
      - .offset:         52
        .size:           4
        .value_kind:     by_value
      - .offset:         56
        .size:           4
        .value_kind:     by_value
      - .offset:         60
        .size:           1
        .value_kind:     by_value
      - .address_space:  global
        .offset:         64
        .size:           8
        .value_kind:     global_buffer
    .group_segment_fixed_size: 0
    .kernarg_segment_align: 8
    .kernarg_segment_size: 72
    .language:       OpenCL C
    .language_version:
      - 2
      - 0
    .max_flat_workgroup_size: 128
    .name:           _ZN4vllm3moe10topkGatingILi16ELi512ELi4ELi16ELi32Ei14__hip_bfloat16LNS0_11ScoringFuncE0EEEvPKT5_PKbPfiPT4_PiiiibPKf
    .private_segment_fixed_size: 0
    .sgpr_count:     30
    .sgpr_spill_count: 0
    .symbol:         _ZN4vllm3moe10topkGatingILi16ELi512ELi4ELi16ELi32Ei14__hip_bfloat16LNS0_11ScoringFuncE0EEEvPKT5_PKbPfiPT4_PiiiibPKf.kd
    .uniform_work_group_size: 1
    .uses_dynamic_stack: false
    .vgpr_count:     61
    .vgpr_spill_count: 0
    .wavefront_size: 64
  - .agpr_count:     0
    .args:
      - .address_space:  global
        .offset:         0
        .size:           8
        .value_kind:     global_buffer
      - .address_space:  global
        .offset:         8
        .size:           8
        .value_kind:     global_buffer
      - .address_space:  global
        .offset:         16
        .size:           8
        .value_kind:     global_buffer
      - .offset:         24
        .size:           4
        .value_kind:     by_value
    .group_segment_fixed_size: 24
    .kernarg_segment_align: 8
    .kernarg_segment_size: 28
    .language:       OpenCL C
    .language_version:
      - 2
      - 0
    .max_flat_workgroup_size: 256
    .name:           _ZN4vllm3moe10moeSoftmaxILi256E14__hip_bfloat16EEvPKT0_PKbPfi
    .private_segment_fixed_size: 0
    .sgpr_count:     25
    .sgpr_spill_count: 0
    .symbol:         _ZN4vllm3moe10moeSoftmaxILi256E14__hip_bfloat16EEvPKT0_PKbPfi.kd
    .uniform_work_group_size: 1
    .uses_dynamic_stack: false
    .vgpr_count:     28
    .vgpr_spill_count: 0
    .wavefront_size: 64
  - .agpr_count:     0
    .args:
      - .address_space:  global
        .offset:         0
        .size:           8
        .value_kind:     global_buffer
      - .address_space:  global
        .offset:         8
        .size:           8
        .value_kind:     global_buffer
      - .address_space:  global
        .offset:         16
        .size:           8
        .value_kind:     global_buffer
      - .offset:         24
        .size:           4
        .value_kind:     by_value
      - .address_space:  global
        .offset:         32
        .size:           8
        .value_kind:     global_buffer
      - .address_space:  global
        .offset:         40
        .size:           8
        .value_kind:     global_buffer
      - .offset:         48
        .size:           4
        .value_kind:     by_value
      - .offset:         52
        .size:           4
        .value_kind:     by_value
      - .offset:         56
        .size:           4
        .value_kind:     by_value
      - .offset:         60
        .size:           1
        .value_kind:     by_value
      - .address_space:  global
        .offset:         64
        .size:           8
        .value_kind:     global_buffer
    .group_segment_fixed_size: 0
    .kernarg_segment_align: 8
    .kernarg_segment_size: 72
    .language:       OpenCL C
    .language_version:
      - 2
      - 0
    .max_flat_workgroup_size: 256
    .name:           _ZN4vllm3moe10topkGatingILi1ELi1ELi4ELi2ELi64Ej14__hip_bfloat16LNS0_11ScoringFuncE0EEEvPKT5_PKbPfiPT4_PiiiibPKf
    .private_segment_fixed_size: 0
    .sgpr_count:     27
    .sgpr_spill_count: 0
    .symbol:         _ZN4vllm3moe10topkGatingILi1ELi1ELi4ELi2ELi64Ej14__hip_bfloat16LNS0_11ScoringFuncE0EEEvPKT5_PKbPfiPT4_PiiiibPKf.kd
    .uniform_work_group_size: 1
    .uses_dynamic_stack: false
    .vgpr_count:     19
    .vgpr_spill_count: 0
    .wavefront_size: 64
  - .agpr_count:     0
    .args:
      - .address_space:  global
        .offset:         0
        .size:           8
        .value_kind:     global_buffer
      - .address_space:  global
        .offset:         8
        .size:           8
        .value_kind:     global_buffer
      - .address_space:  global
        .offset:         16
        .size:           8
        .value_kind:     global_buffer
      - .offset:         24
        .size:           4
        .value_kind:     by_value
      - .address_space:  global
        .offset:         32
        .size:           8
        .value_kind:     global_buffer
      - .address_space:  global
        .offset:         40
        .size:           8
        .value_kind:     global_buffer
      - .offset:         48
        .size:           4
        .value_kind:     by_value
      - .offset:         52
        .size:           4
        .value_kind:     by_value
      - .offset:         56
        .size:           4
        .value_kind:     by_value
      - .offset:         60
        .size:           1
        .value_kind:     by_value
      - .address_space:  global
        .offset:         64
        .size:           8
        .value_kind:     global_buffer
    .group_segment_fixed_size: 0
    .kernarg_segment_align: 8
    .kernarg_segment_size: 72
    .language:       OpenCL C
    .language_version:
      - 2
      - 0
    .max_flat_workgroup_size: 128
    .name:           _ZN4vllm3moe10topkGatingILi1ELi1ELi4ELi2ELi32Ej14__hip_bfloat16LNS0_11ScoringFuncE0EEEvPKT5_PKbPfiPT4_PiiiibPKf
    .private_segment_fixed_size: 0
    .sgpr_count:     27
    .sgpr_spill_count: 0
    .symbol:         _ZN4vllm3moe10topkGatingILi1ELi1ELi4ELi2ELi32Ej14__hip_bfloat16LNS0_11ScoringFuncE0EEEvPKT5_PKbPfiPT4_PiiiibPKf.kd
    .uniform_work_group_size: 1
    .uses_dynamic_stack: false
    .vgpr_count:     19
    .vgpr_spill_count: 0
    .wavefront_size: 64
  - .agpr_count:     0
    .args:
      - .address_space:  global
        .offset:         0
        .size:           8
        .value_kind:     global_buffer
      - .address_space:  global
        .offset:         8
        .size:           8
        .value_kind:     global_buffer
      - .address_space:  global
        .offset:         16
        .size:           8
        .value_kind:     global_buffer
      - .offset:         24
        .size:           4
        .value_kind:     by_value
      - .address_space:  global
        .offset:         32
        .size:           8
        .value_kind:     global_buffer
      - .address_space:  global
        .offset:         40
        .size:           8
        .value_kind:     global_buffer
      - .offset:         48
        .size:           4
        .value_kind:     by_value
      - .offset:         52
        .size:           4
        .value_kind:     by_value
      - .offset:         56
        .size:           4
        .value_kind:     by_value
      - .offset:         60
        .size:           1
        .value_kind:     by_value
      - .address_space:  global
        .offset:         64
        .size:           8
        .value_kind:     global_buffer
    .group_segment_fixed_size: 0
    .kernarg_segment_align: 8
    .kernarg_segment_size: 72
    .language:       OpenCL C
    .language_version:
      - 2
      - 0
    .max_flat_workgroup_size: 256
    .name:           _ZN4vllm3moe10topkGatingILi2ELi2ELi4ELi4ELi64Ej14__hip_bfloat16LNS0_11ScoringFuncE0EEEvPKT5_PKbPfiPT4_PiiiibPKf
    .private_segment_fixed_size: 0
    .sgpr_count:     28
    .sgpr_spill_count: 0
    .symbol:         _ZN4vllm3moe10topkGatingILi2ELi2ELi4ELi4ELi64Ej14__hip_bfloat16LNS0_11ScoringFuncE0EEEvPKT5_PKbPfiPT4_PiiiibPKf.kd
    .uniform_work_group_size: 1
    .uses_dynamic_stack: false
    .vgpr_count:     19
    .vgpr_spill_count: 0
    .wavefront_size: 64
  - .agpr_count:     0
    .args:
      - .address_space:  global
        .offset:         0
        .size:           8
        .value_kind:     global_buffer
      - .address_space:  global
        .offset:         8
        .size:           8
        .value_kind:     global_buffer
      - .address_space:  global
        .offset:         16
        .size:           8
        .value_kind:     global_buffer
      - .offset:         24
        .size:           4
        .value_kind:     by_value
      - .address_space:  global
        .offset:         32
        .size:           8
        .value_kind:     global_buffer
      - .address_space:  global
        .offset:         40
        .size:           8
        .value_kind:     global_buffer
      - .offset:         48
        .size:           4
        .value_kind:     by_value
      - .offset:         52
        .size:           4
        .value_kind:     by_value
      - .offset:         56
        .size:           4
        .value_kind:     by_value
      - .offset:         60
        .size:           1
        .value_kind:     by_value
      - .address_space:  global
        .offset:         64
        .size:           8
        .value_kind:     global_buffer
    .group_segment_fixed_size: 0
    .kernarg_segment_align: 8
    .kernarg_segment_size: 72
    .language:       OpenCL C
    .language_version:
      - 2
      - 0
    .max_flat_workgroup_size: 128
    .name:           _ZN4vllm3moe10topkGatingILi2ELi2ELi4ELi4ELi32Ej14__hip_bfloat16LNS0_11ScoringFuncE0EEEvPKT5_PKbPfiPT4_PiiiibPKf
    .private_segment_fixed_size: 0
    .sgpr_count:     28
    .sgpr_spill_count: 0
    .symbol:         _ZN4vllm3moe10topkGatingILi2ELi2ELi4ELi4ELi32Ej14__hip_bfloat16LNS0_11ScoringFuncE0EEEvPKT5_PKbPfiPT4_PiiiibPKf.kd
    .uniform_work_group_size: 1
    .uses_dynamic_stack: false
    .vgpr_count:     19
    .vgpr_spill_count: 0
    .wavefront_size: 64
  - .agpr_count:     0
    .args:
      - .address_space:  global
        .offset:         0
        .size:           8
        .value_kind:     global_buffer
      - .address_space:  global
        .offset:         8
        .size:           8
        .value_kind:     global_buffer
      - .address_space:  global
        .offset:         16
        .size:           8
        .value_kind:     global_buffer
      - .offset:         24
        .size:           4
        .value_kind:     by_value
      - .address_space:  global
        .offset:         32
        .size:           8
        .value_kind:     global_buffer
      - .address_space:  global
        .offset:         40
        .size:           8
        .value_kind:     global_buffer
      - .offset:         48
        .size:           4
        .value_kind:     by_value
      - .offset:         52
        .size:           4
        .value_kind:     by_value
      - .offset:         56
        .size:           4
        .value_kind:     by_value
      - .offset:         60
        .size:           1
        .value_kind:     by_value
      - .address_space:  global
        .offset:         64
        .size:           8
        .value_kind:     global_buffer
    .group_segment_fixed_size: 0
    .kernarg_segment_align: 8
    .kernarg_segment_size: 72
    .language:       OpenCL C
    .language_version:
      - 2
      - 0
    .max_flat_workgroup_size: 256
    .name:           _ZN4vllm3moe10topkGatingILi4ELi4ELi4ELi8ELi64Ej14__hip_bfloat16LNS0_11ScoringFuncE0EEEvPKT5_PKbPfiPT4_PiiiibPKf
    .private_segment_fixed_size: 0
    .sgpr_count:     28
    .sgpr_spill_count: 0
    .symbol:         _ZN4vllm3moe10topkGatingILi4ELi4ELi4ELi8ELi64Ej14__hip_bfloat16LNS0_11ScoringFuncE0EEEvPKT5_PKbPfiPT4_PiiiibPKf.kd
    .uniform_work_group_size: 1
    .uses_dynamic_stack: false
    .vgpr_count:     22
    .vgpr_spill_count: 0
    .wavefront_size: 64
  - .agpr_count:     0
    .args:
      - .address_space:  global
        .offset:         0
        .size:           8
        .value_kind:     global_buffer
      - .address_space:  global
        .offset:         8
        .size:           8
        .value_kind:     global_buffer
      - .address_space:  global
        .offset:         16
        .size:           8
        .value_kind:     global_buffer
      - .offset:         24
        .size:           4
        .value_kind:     by_value
      - .address_space:  global
        .offset:         32
        .size:           8
        .value_kind:     global_buffer
      - .address_space:  global
        .offset:         40
        .size:           8
        .value_kind:     global_buffer
      - .offset:         48
        .size:           4
        .value_kind:     by_value
      - .offset:         52
        .size:           4
        .value_kind:     by_value
      - .offset:         56
        .size:           4
        .value_kind:     by_value
      - .offset:         60
        .size:           1
        .value_kind:     by_value
      - .address_space:  global
        .offset:         64
        .size:           8
        .value_kind:     global_buffer
    .group_segment_fixed_size: 0
    .kernarg_segment_align: 8
    .kernarg_segment_size: 72
    .language:       OpenCL C
    .language_version:
      - 2
      - 0
    .max_flat_workgroup_size: 128
    .name:           _ZN4vllm3moe10topkGatingILi4ELi4ELi4ELi8ELi32Ej14__hip_bfloat16LNS0_11ScoringFuncE0EEEvPKT5_PKbPfiPT4_PiiiibPKf
    .private_segment_fixed_size: 0
    .sgpr_count:     28
    .sgpr_spill_count: 0
    .symbol:         _ZN4vllm3moe10topkGatingILi4ELi4ELi4ELi8ELi32Ej14__hip_bfloat16LNS0_11ScoringFuncE0EEEvPKT5_PKbPfiPT4_PiiiibPKf.kd
    .uniform_work_group_size: 1
    .uses_dynamic_stack: false
    .vgpr_count:     22
    .vgpr_spill_count: 0
    .wavefront_size: 64
  - .agpr_count:     0
    .args:
      - .address_space:  global
        .offset:         0
        .size:           8
        .value_kind:     global_buffer
      - .address_space:  global
        .offset:         8
        .size:           8
        .value_kind:     global_buffer
      - .address_space:  global
        .offset:         16
        .size:           8
        .value_kind:     global_buffer
      - .offset:         24
        .size:           4
        .value_kind:     by_value
      - .address_space:  global
        .offset:         32
        .size:           8
        .value_kind:     global_buffer
      - .address_space:  global
        .offset:         40
        .size:           8
        .value_kind:     global_buffer
      - .offset:         48
        .size:           4
        .value_kind:     by_value
      - .offset:         52
        .size:           4
        .value_kind:     by_value
      - .offset:         56
        .size:           4
        .value_kind:     by_value
      - .offset:         60
        .size:           1
        .value_kind:     by_value
      - .address_space:  global
        .offset:         64
        .size:           8
        .value_kind:     global_buffer
    .group_segment_fixed_size: 0
    .kernarg_segment_align: 8
    .kernarg_segment_size: 72
    .language:       OpenCL C
    .language_version:
      - 2
      - 0
    .max_flat_workgroup_size: 256
    .name:           _ZN4vllm3moe10topkGatingILi8ELi8ELi4ELi16ELi64Ej14__hip_bfloat16LNS0_11ScoringFuncE0EEEvPKT5_PKbPfiPT4_PiiiibPKf
    .private_segment_fixed_size: 0
    .sgpr_count:     32
    .sgpr_spill_count: 0
    .symbol:         _ZN4vllm3moe10topkGatingILi8ELi8ELi4ELi16ELi64Ej14__hip_bfloat16LNS0_11ScoringFuncE0EEEvPKT5_PKbPfiPT4_PiiiibPKf.kd
    .uniform_work_group_size: 1
    .uses_dynamic_stack: false
    .vgpr_count:     32
    .vgpr_spill_count: 0
    .wavefront_size: 64
  - .agpr_count:     0
    .args:
      - .address_space:  global
        .offset:         0
        .size:           8
        .value_kind:     global_buffer
      - .address_space:  global
        .offset:         8
        .size:           8
        .value_kind:     global_buffer
      - .address_space:  global
        .offset:         16
        .size:           8
        .value_kind:     global_buffer
      - .offset:         24
        .size:           4
        .value_kind:     by_value
      - .address_space:  global
        .offset:         32
        .size:           8
        .value_kind:     global_buffer
      - .address_space:  global
        .offset:         40
        .size:           8
        .value_kind:     global_buffer
      - .offset:         48
        .size:           4
        .value_kind:     by_value
      - .offset:         52
        .size:           4
        .value_kind:     by_value
      - .offset:         56
        .size:           4
        .value_kind:     by_value
      - .offset:         60
        .size:           1
        .value_kind:     by_value
      - .address_space:  global
        .offset:         64
        .size:           8
        .value_kind:     global_buffer
    .group_segment_fixed_size: 0
    .kernarg_segment_align: 8
    .kernarg_segment_size: 72
    .language:       OpenCL C
    .language_version:
      - 2
      - 0
    .max_flat_workgroup_size: 128
    .name:           _ZN4vllm3moe10topkGatingILi8ELi8ELi4ELi16ELi32Ej14__hip_bfloat16LNS0_11ScoringFuncE0EEEvPKT5_PKbPfiPT4_PiiiibPKf
    .private_segment_fixed_size: 0
    .sgpr_count:     32
    .sgpr_spill_count: 0
    .symbol:         _ZN4vllm3moe10topkGatingILi8ELi8ELi4ELi16ELi32Ej14__hip_bfloat16LNS0_11ScoringFuncE0EEEvPKT5_PKbPfiPT4_PiiiibPKf.kd
    .uniform_work_group_size: 1
    .uses_dynamic_stack: false
    .vgpr_count:     32
    .vgpr_spill_count: 0
    .wavefront_size: 64
  - .agpr_count:     0
    .args:
      - .address_space:  global
        .offset:         0
        .size:           8
        .value_kind:     global_buffer
      - .address_space:  global
        .offset:         8
        .size:           8
        .value_kind:     global_buffer
      - .address_space:  global
        .offset:         16
        .size:           8
        .value_kind:     global_buffer
      - .offset:         24
        .size:           4
        .value_kind:     by_value
      - .address_space:  global
        .offset:         32
        .size:           8
        .value_kind:     global_buffer
      - .address_space:  global
        .offset:         40
        .size:           8
        .value_kind:     global_buffer
      - .offset:         48
        .size:           4
        .value_kind:     by_value
      - .offset:         52
        .size:           4
        .value_kind:     by_value
      - .offset:         56
        .size:           4
        .value_kind:     by_value
      - .offset:         60
        .size:           1
        .value_kind:     by_value
      - .address_space:  global
        .offset:         64
        .size:           8
        .value_kind:     global_buffer
    .group_segment_fixed_size: 0
    .kernarg_segment_align: 8
    .kernarg_segment_size: 72
    .language:       OpenCL C
    .language_version:
      - 2
      - 0
    .max_flat_workgroup_size: 256
    .name:           _ZN4vllm3moe10topkGatingILi8ELi16ELi4ELi16ELi64Ej14__hip_bfloat16LNS0_11ScoringFuncE0EEEvPKT5_PKbPfiPT4_PiiiibPKf
    .private_segment_fixed_size: 0
    .sgpr_count:     30
    .sgpr_spill_count: 0
    .symbol:         _ZN4vllm3moe10topkGatingILi8ELi16ELi4ELi16ELi64Ej14__hip_bfloat16LNS0_11ScoringFuncE0EEEvPKT5_PKbPfiPT4_PiiiibPKf.kd
    .uniform_work_group_size: 1
    .uses_dynamic_stack: false
    .vgpr_count:     31
    .vgpr_spill_count: 0
    .wavefront_size: 64
  - .agpr_count:     0
    .args:
      - .address_space:  global
        .offset:         0
        .size:           8
        .value_kind:     global_buffer
      - .address_space:  global
        .offset:         8
        .size:           8
        .value_kind:     global_buffer
      - .address_space:  global
        .offset:         16
        .size:           8
        .value_kind:     global_buffer
      - .offset:         24
        .size:           4
        .value_kind:     by_value
      - .address_space:  global
        .offset:         32
        .size:           8
        .value_kind:     global_buffer
      - .address_space:  global
        .offset:         40
        .size:           8
        .value_kind:     global_buffer
      - .offset:         48
        .size:           4
        .value_kind:     by_value
      - .offset:         52
        .size:           4
        .value_kind:     by_value
      - .offset:         56
        .size:           4
        .value_kind:     by_value
      - .offset:         60
        .size:           1
        .value_kind:     by_value
      - .address_space:  global
        .offset:         64
        .size:           8
        .value_kind:     global_buffer
    .group_segment_fixed_size: 0
    .kernarg_segment_align: 8
    .kernarg_segment_size: 72
    .language:       OpenCL C
    .language_version:
      - 2
      - 0
    .max_flat_workgroup_size: 128
    .name:           _ZN4vllm3moe10topkGatingILi8ELi16ELi4ELi16ELi32Ej14__hip_bfloat16LNS0_11ScoringFuncE0EEEvPKT5_PKbPfiPT4_PiiiibPKf
    .private_segment_fixed_size: 0
    .sgpr_count:     30
    .sgpr_spill_count: 0
    .symbol:         _ZN4vllm3moe10topkGatingILi8ELi16ELi4ELi16ELi32Ej14__hip_bfloat16LNS0_11ScoringFuncE0EEEvPKT5_PKbPfiPT4_PiiiibPKf.kd
    .uniform_work_group_size: 1
    .uses_dynamic_stack: false
    .vgpr_count:     31
    .vgpr_spill_count: 0
    .wavefront_size: 64
  - .agpr_count:     0
    .args:
      - .address_space:  global
        .offset:         0
        .size:           8
        .value_kind:     global_buffer
      - .address_space:  global
        .offset:         8
        .size:           8
        .value_kind:     global_buffer
      - .address_space:  global
        .offset:         16
        .size:           8
        .value_kind:     global_buffer
      - .offset:         24
        .size:           4
        .value_kind:     by_value
      - .address_space:  global
        .offset:         32
        .size:           8
        .value_kind:     global_buffer
      - .address_space:  global
        .offset:         40
        .size:           8
        .value_kind:     global_buffer
      - .offset:         48
        .size:           4
        .value_kind:     by_value
      - .offset:         52
        .size:           4
        .value_kind:     by_value
      - .offset:         56
        .size:           4
        .value_kind:     by_value
      - .offset:         60
        .size:           1
        .value_kind:     by_value
      - .address_space:  global
        .offset:         64
        .size:           8
        .value_kind:     global_buffer
    .group_segment_fixed_size: 0
    .kernarg_segment_align: 8
    .kernarg_segment_size: 72
    .language:       OpenCL C
    .language_version:
      - 2
      - 0
    .max_flat_workgroup_size: 256
    .name:           _ZN4vllm3moe10topkGatingILi8ELi32ELi4ELi16ELi64Ej14__hip_bfloat16LNS0_11ScoringFuncE0EEEvPKT5_PKbPfiPT4_PiiiibPKf
    .private_segment_fixed_size: 0
    .sgpr_count:     28
    .sgpr_spill_count: 0
    .symbol:         _ZN4vllm3moe10topkGatingILi8ELi32ELi4ELi16ELi64Ej14__hip_bfloat16LNS0_11ScoringFuncE0EEEvPKT5_PKbPfiPT4_PiiiibPKf.kd
    .uniform_work_group_size: 1
    .uses_dynamic_stack: false
    .vgpr_count:     32
    .vgpr_spill_count: 0
    .wavefront_size: 64
  - .agpr_count:     0
    .args:
      - .address_space:  global
        .offset:         0
        .size:           8
        .value_kind:     global_buffer
      - .address_space:  global
        .offset:         8
        .size:           8
        .value_kind:     global_buffer
      - .address_space:  global
        .offset:         16
        .size:           8
        .value_kind:     global_buffer
      - .offset:         24
        .size:           4
        .value_kind:     by_value
      - .address_space:  global
        .offset:         32
        .size:           8
        .value_kind:     global_buffer
      - .address_space:  global
        .offset:         40
        .size:           8
        .value_kind:     global_buffer
      - .offset:         48
        .size:           4
        .value_kind:     by_value
      - .offset:         52
        .size:           4
        .value_kind:     by_value
      - .offset:         56
        .size:           4
        .value_kind:     by_value
      - .offset:         60
        .size:           1
        .value_kind:     by_value
      - .address_space:  global
        .offset:         64
        .size:           8
        .value_kind:     global_buffer
    .group_segment_fixed_size: 0
    .kernarg_segment_align: 8
    .kernarg_segment_size: 72
    .language:       OpenCL C
    .language_version:
      - 2
      - 0
    .max_flat_workgroup_size: 128
    .name:           _ZN4vllm3moe10topkGatingILi8ELi32ELi4ELi16ELi32Ej14__hip_bfloat16LNS0_11ScoringFuncE0EEEvPKT5_PKbPfiPT4_PiiiibPKf
    .private_segment_fixed_size: 0
    .sgpr_count:     28
    .sgpr_spill_count: 0
    .symbol:         _ZN4vllm3moe10topkGatingILi8ELi32ELi4ELi16ELi32Ej14__hip_bfloat16LNS0_11ScoringFuncE0EEEvPKT5_PKbPfiPT4_PiiiibPKf.kd
    .uniform_work_group_size: 1
    .uses_dynamic_stack: false
    .vgpr_count:     32
    .vgpr_spill_count: 0
    .wavefront_size: 64
  - .agpr_count:     0
    .args:
      - .address_space:  global
        .offset:         0
        .size:           8
        .value_kind:     global_buffer
      - .address_space:  global
        .offset:         8
        .size:           8
        .value_kind:     global_buffer
      - .address_space:  global
        .offset:         16
        .size:           8
        .value_kind:     global_buffer
      - .offset:         24
        .size:           4
        .value_kind:     by_value
      - .address_space:  global
        .offset:         32
        .size:           8
        .value_kind:     global_buffer
      - .address_space:  global
        .offset:         40
        .size:           8
        .value_kind:     global_buffer
      - .offset:         48
        .size:           4
        .value_kind:     by_value
      - .offset:         52
        .size:           4
        .value_kind:     by_value
      - .offset:         56
        .size:           4
        .value_kind:     by_value
      - .offset:         60
        .size:           1
        .value_kind:     by_value
      - .address_space:  global
        .offset:         64
        .size:           8
        .value_kind:     global_buffer
    .group_segment_fixed_size: 0
    .kernarg_segment_align: 8
    .kernarg_segment_size: 72
    .language:       OpenCL C
    .language_version:
      - 2
      - 0
    .max_flat_workgroup_size: 256
    .name:           _ZN4vllm3moe10topkGatingILi8ELi64ELi4ELi16ELi64Ej14__hip_bfloat16LNS0_11ScoringFuncE0EEEvPKT5_PKbPfiPT4_PiiiibPKf
    .private_segment_fixed_size: 0
    .sgpr_count:     30
    .sgpr_spill_count: 0
    .symbol:         _ZN4vllm3moe10topkGatingILi8ELi64ELi4ELi16ELi64Ej14__hip_bfloat16LNS0_11ScoringFuncE0EEEvPKT5_PKbPfiPT4_PiiiibPKf.kd
    .uniform_work_group_size: 1
    .uses_dynamic_stack: false
    .vgpr_count:     34
    .vgpr_spill_count: 0
    .wavefront_size: 64
  - .agpr_count:     0
    .args:
      - .address_space:  global
        .offset:         0
        .size:           8
        .value_kind:     global_buffer
      - .address_space:  global
        .offset:         8
        .size:           8
        .value_kind:     global_buffer
      - .address_space:  global
        .offset:         16
        .size:           8
        .value_kind:     global_buffer
      - .offset:         24
        .size:           4
        .value_kind:     by_value
      - .address_space:  global
        .offset:         32
        .size:           8
        .value_kind:     global_buffer
      - .address_space:  global
        .offset:         40
        .size:           8
        .value_kind:     global_buffer
      - .offset:         48
        .size:           4
        .value_kind:     by_value
      - .offset:         52
        .size:           4
        .value_kind:     by_value
      - .offset:         56
        .size:           4
        .value_kind:     by_value
      - .offset:         60
        .size:           1
        .value_kind:     by_value
      - .address_space:  global
        .offset:         64
        .size:           8
        .value_kind:     global_buffer
    .group_segment_fixed_size: 0
    .kernarg_segment_align: 8
    .kernarg_segment_size: 72
    .language:       OpenCL C
    .language_version:
      - 2
      - 0
    .max_flat_workgroup_size: 128
    .name:           _ZN4vllm3moe10topkGatingILi8ELi64ELi4ELi16ELi32Ej14__hip_bfloat16LNS0_11ScoringFuncE0EEEvPKT5_PKbPfiPT4_PiiiibPKf
    .private_segment_fixed_size: 0
    .sgpr_count:     30
    .sgpr_spill_count: 0
    .symbol:         _ZN4vllm3moe10topkGatingILi8ELi64ELi4ELi16ELi32Ej14__hip_bfloat16LNS0_11ScoringFuncE0EEEvPKT5_PKbPfiPT4_PiiiibPKf.kd
    .uniform_work_group_size: 1
    .uses_dynamic_stack: false
    .vgpr_count:     34
    .vgpr_spill_count: 0
    .wavefront_size: 64
  - .agpr_count:     0
    .args:
      - .address_space:  global
        .offset:         0
        .size:           8
        .value_kind:     global_buffer
      - .address_space:  global
        .offset:         8
        .size:           8
        .value_kind:     global_buffer
      - .address_space:  global
        .offset:         16
        .size:           8
        .value_kind:     global_buffer
      - .offset:         24
        .size:           4
        .value_kind:     by_value
      - .address_space:  global
        .offset:         32
        .size:           8
        .value_kind:     global_buffer
      - .address_space:  global
        .offset:         40
        .size:           8
        .value_kind:     global_buffer
      - .offset:         48
        .size:           4
        .value_kind:     by_value
      - .offset:         52
        .size:           4
        .value_kind:     by_value
      - .offset:         56
        .size:           4
        .value_kind:     by_value
      - .offset:         60
        .size:           1
        .value_kind:     by_value
      - .address_space:  global
        .offset:         64
        .size:           8
        .value_kind:     global_buffer
    .group_segment_fixed_size: 0
    .kernarg_segment_align: 8
    .kernarg_segment_size: 72
    .language:       OpenCL C
    .language_version:
      - 2
      - 0
    .max_flat_workgroup_size: 256
    .name:           _ZN4vllm3moe10topkGatingILi8ELi128ELi4ELi16ELi64Ej14__hip_bfloat16LNS0_11ScoringFuncE0EEEvPKT5_PKbPfiPT4_PiiiibPKf
    .private_segment_fixed_size: 0
    .sgpr_count:     30
    .sgpr_spill_count: 0
    .symbol:         _ZN4vllm3moe10topkGatingILi8ELi128ELi4ELi16ELi64Ej14__hip_bfloat16LNS0_11ScoringFuncE0EEEvPKT5_PKbPfiPT4_PiiiibPKf.kd
    .uniform_work_group_size: 1
    .uses_dynamic_stack: false
    .vgpr_count:     36
    .vgpr_spill_count: 0
    .wavefront_size: 64
  - .agpr_count:     0
    .args:
      - .address_space:  global
        .offset:         0
        .size:           8
        .value_kind:     global_buffer
      - .address_space:  global
        .offset:         8
        .size:           8
        .value_kind:     global_buffer
      - .address_space:  global
        .offset:         16
        .size:           8
        .value_kind:     global_buffer
      - .offset:         24
        .size:           4
        .value_kind:     by_value
      - .address_space:  global
        .offset:         32
        .size:           8
        .value_kind:     global_buffer
      - .address_space:  global
        .offset:         40
        .size:           8
        .value_kind:     global_buffer
      - .offset:         48
        .size:           4
        .value_kind:     by_value
      - .offset:         52
        .size:           4
        .value_kind:     by_value
      - .offset:         56
        .size:           4
        .value_kind:     by_value
      - .offset:         60
        .size:           1
        .value_kind:     by_value
      - .address_space:  global
        .offset:         64
        .size:           8
        .value_kind:     global_buffer
    .group_segment_fixed_size: 0
    .kernarg_segment_align: 8
    .kernarg_segment_size: 72
    .language:       OpenCL C
    .language_version:
      - 2
      - 0
    .max_flat_workgroup_size: 128
    .name:           _ZN4vllm3moe10topkGatingILi8ELi128ELi4ELi16ELi32Ej14__hip_bfloat16LNS0_11ScoringFuncE0EEEvPKT5_PKbPfiPT4_PiiiibPKf
    .private_segment_fixed_size: 0
    .sgpr_count:     30
    .sgpr_spill_count: 0
    .symbol:         _ZN4vllm3moe10topkGatingILi8ELi128ELi4ELi16ELi32Ej14__hip_bfloat16LNS0_11ScoringFuncE0EEEvPKT5_PKbPfiPT4_PiiiibPKf.kd
    .uniform_work_group_size: 1
    .uses_dynamic_stack: false
    .vgpr_count:     36
    .vgpr_spill_count: 0
    .wavefront_size: 64
  - .agpr_count:     0
    .args:
      - .address_space:  global
        .offset:         0
        .size:           8
        .value_kind:     global_buffer
      - .address_space:  global
        .offset:         8
        .size:           8
        .value_kind:     global_buffer
      - .address_space:  global
        .offset:         16
        .size:           8
        .value_kind:     global_buffer
      - .offset:         24
        .size:           4
        .value_kind:     by_value
      - .address_space:  global
        .offset:         32
        .size:           8
        .value_kind:     global_buffer
      - .address_space:  global
        .offset:         40
        .size:           8
        .value_kind:     global_buffer
      - .offset:         48
        .size:           4
        .value_kind:     by_value
      - .offset:         52
        .size:           4
        .value_kind:     by_value
      - .offset:         56
        .size:           4
        .value_kind:     by_value
      - .offset:         60
        .size:           1
        .value_kind:     by_value
      - .address_space:  global
        .offset:         64
        .size:           8
        .value_kind:     global_buffer
    .group_segment_fixed_size: 0
    .kernarg_segment_align: 8
    .kernarg_segment_size: 72
    .language:       OpenCL C
    .language_version:
      - 2
      - 0
    .max_flat_workgroup_size: 256
    .name:           _ZN4vllm3moe10topkGatingILi8ELi256ELi4ELi16ELi64Ej14__hip_bfloat16LNS0_11ScoringFuncE0EEEvPKT5_PKbPfiPT4_PiiiibPKf
    .private_segment_fixed_size: 0
    .sgpr_count:     30
    .sgpr_spill_count: 0
    .symbol:         _ZN4vllm3moe10topkGatingILi8ELi256ELi4ELi16ELi64Ej14__hip_bfloat16LNS0_11ScoringFuncE0EEEvPKT5_PKbPfiPT4_PiiiibPKf.kd
    .uniform_work_group_size: 1
    .uses_dynamic_stack: false
    .vgpr_count:     37
    .vgpr_spill_count: 0
    .wavefront_size: 64
  - .agpr_count:     0
    .args:
      - .address_space:  global
        .offset:         0
        .size:           8
        .value_kind:     global_buffer
      - .address_space:  global
        .offset:         8
        .size:           8
        .value_kind:     global_buffer
      - .address_space:  global
        .offset:         16
        .size:           8
        .value_kind:     global_buffer
      - .offset:         24
        .size:           4
        .value_kind:     by_value
      - .address_space:  global
        .offset:         32
        .size:           8
        .value_kind:     global_buffer
      - .address_space:  global
        .offset:         40
        .size:           8
        .value_kind:     global_buffer
      - .offset:         48
        .size:           4
        .value_kind:     by_value
      - .offset:         52
        .size:           4
        .value_kind:     by_value
      - .offset:         56
        .size:           4
        .value_kind:     by_value
      - .offset:         60
        .size:           1
        .value_kind:     by_value
      - .address_space:  global
        .offset:         64
        .size:           8
        .value_kind:     global_buffer
    .group_segment_fixed_size: 0
    .kernarg_segment_align: 8
    .kernarg_segment_size: 72
    .language:       OpenCL C
    .language_version:
      - 2
      - 0
    .max_flat_workgroup_size: 128
    .name:           _ZN4vllm3moe10topkGatingILi8ELi256ELi4ELi16ELi32Ej14__hip_bfloat16LNS0_11ScoringFuncE0EEEvPKT5_PKbPfiPT4_PiiiibPKf
    .private_segment_fixed_size: 0
    .sgpr_count:     30
    .sgpr_spill_count: 0
    .symbol:         _ZN4vllm3moe10topkGatingILi8ELi256ELi4ELi16ELi32Ej14__hip_bfloat16LNS0_11ScoringFuncE0EEEvPKT5_PKbPfiPT4_PiiiibPKf.kd
    .uniform_work_group_size: 1
    .uses_dynamic_stack: false
    .vgpr_count:     37
    .vgpr_spill_count: 0
    .wavefront_size: 64
  - .agpr_count:     0
    .args:
      - .address_space:  global
        .offset:         0
        .size:           8
        .value_kind:     global_buffer
      - .address_space:  global
        .offset:         8
        .size:           8
        .value_kind:     global_buffer
      - .address_space:  global
        .offset:         16
        .size:           8
        .value_kind:     global_buffer
      - .offset:         24
        .size:           4
        .value_kind:     by_value
      - .address_space:  global
        .offset:         32
        .size:           8
        .value_kind:     global_buffer
      - .address_space:  global
        .offset:         40
        .size:           8
        .value_kind:     global_buffer
      - .offset:         48
        .size:           4
        .value_kind:     by_value
      - .offset:         52
        .size:           4
        .value_kind:     by_value
      - .offset:         56
        .size:           4
        .value_kind:     by_value
      - .offset:         60
        .size:           1
        .value_kind:     by_value
      - .address_space:  global
        .offset:         64
        .size:           8
        .value_kind:     global_buffer
    .group_segment_fixed_size: 0
    .kernarg_segment_align: 8
    .kernarg_segment_size: 72
    .language:       OpenCL C
    .language_version:
      - 2
      - 0
    .max_flat_workgroup_size: 256
    .name:           _ZN4vllm3moe10topkGatingILi8ELi512ELi4ELi16ELi64Ej14__hip_bfloat16LNS0_11ScoringFuncE0EEEvPKT5_PKbPfiPT4_PiiiibPKf
    .private_segment_fixed_size: 0
    .sgpr_count:     30
    .sgpr_spill_count: 0
    .symbol:         _ZN4vllm3moe10topkGatingILi8ELi512ELi4ELi16ELi64Ej14__hip_bfloat16LNS0_11ScoringFuncE0EEEvPKT5_PKbPfiPT4_PiiiibPKf.kd
    .uniform_work_group_size: 1
    .uses_dynamic_stack: false
    .vgpr_count:     38
    .vgpr_spill_count: 0
    .wavefront_size: 64
  - .agpr_count:     0
    .args:
      - .address_space:  global
        .offset:         0
        .size:           8
        .value_kind:     global_buffer
      - .address_space:  global
        .offset:         8
        .size:           8
        .value_kind:     global_buffer
      - .address_space:  global
        .offset:         16
        .size:           8
        .value_kind:     global_buffer
      - .offset:         24
        .size:           4
        .value_kind:     by_value
      - .address_space:  global
        .offset:         32
        .size:           8
        .value_kind:     global_buffer
      - .address_space:  global
        .offset:         40
        .size:           8
        .value_kind:     global_buffer
      - .offset:         48
        .size:           4
        .value_kind:     by_value
      - .offset:         52
        .size:           4
        .value_kind:     by_value
      - .offset:         56
        .size:           4
        .value_kind:     by_value
      - .offset:         60
        .size:           1
        .value_kind:     by_value
      - .address_space:  global
        .offset:         64
        .size:           8
        .value_kind:     global_buffer
    .group_segment_fixed_size: 0
    .kernarg_segment_align: 8
    .kernarg_segment_size: 72
    .language:       OpenCL C
    .language_version:
      - 2
      - 0
    .max_flat_workgroup_size: 128
    .name:           _ZN4vllm3moe10topkGatingILi16ELi512ELi4ELi16ELi32Ej14__hip_bfloat16LNS0_11ScoringFuncE0EEEvPKT5_PKbPfiPT4_PiiiibPKf
    .private_segment_fixed_size: 0
    .sgpr_count:     30
    .sgpr_spill_count: 0
    .symbol:         _ZN4vllm3moe10topkGatingILi16ELi512ELi4ELi16ELi32Ej14__hip_bfloat16LNS0_11ScoringFuncE0EEEvPKT5_PKbPfiPT4_PiiiibPKf.kd
    .uniform_work_group_size: 1
    .uses_dynamic_stack: false
    .vgpr_count:     61
    .vgpr_spill_count: 0
    .wavefront_size: 64
  - .agpr_count:     0
    .args:
      - .address_space:  global
        .offset:         0
        .size:           8
        .value_kind:     global_buffer
      - .address_space:  global
        .offset:         8
        .size:           8
        .value_kind:     global_buffer
      - .address_space:  global
        .offset:         16
        .size:           8
        .value_kind:     global_buffer
      - .offset:         24
        .size:           4
        .value_kind:     by_value
      - .address_space:  global
        .offset:         32
        .size:           8
        .value_kind:     global_buffer
      - .address_space:  global
        .offset:         40
        .size:           8
        .value_kind:     global_buffer
      - .offset:         48
        .size:           4
        .value_kind:     by_value
      - .offset:         52
        .size:           4
        .value_kind:     by_value
      - .offset:         56
        .size:           4
        .value_kind:     by_value
      - .offset:         60
        .size:           1
        .value_kind:     by_value
      - .address_space:  global
        .offset:         64
        .size:           8
        .value_kind:     global_buffer
    .group_segment_fixed_size: 0
    .kernarg_segment_align: 8
    .kernarg_segment_size: 72
    .language:       OpenCL C
    .language_version:
      - 2
      - 0
    .max_flat_workgroup_size: 256
    .name:           _ZN4vllm3moe10topkGatingILi1ELi1ELi4ELi2ELi64El14__hip_bfloat16LNS0_11ScoringFuncE0EEEvPKT5_PKbPfiPT4_PiiiibPKf
    .private_segment_fixed_size: 0
    .sgpr_count:     27
    .sgpr_spill_count: 0
    .symbol:         _ZN4vllm3moe10topkGatingILi1ELi1ELi4ELi2ELi64El14__hip_bfloat16LNS0_11ScoringFuncE0EEEvPKT5_PKbPfiPT4_PiiiibPKf.kd
    .uniform_work_group_size: 1
    .uses_dynamic_stack: false
    .vgpr_count:     19
    .vgpr_spill_count: 0
    .wavefront_size: 64
  - .agpr_count:     0
    .args:
      - .address_space:  global
        .offset:         0
        .size:           8
        .value_kind:     global_buffer
      - .address_space:  global
        .offset:         8
        .size:           8
        .value_kind:     global_buffer
      - .address_space:  global
        .offset:         16
        .size:           8
        .value_kind:     global_buffer
      - .offset:         24
        .size:           4
        .value_kind:     by_value
      - .address_space:  global
        .offset:         32
        .size:           8
        .value_kind:     global_buffer
      - .address_space:  global
        .offset:         40
        .size:           8
        .value_kind:     global_buffer
      - .offset:         48
        .size:           4
        .value_kind:     by_value
      - .offset:         52
        .size:           4
        .value_kind:     by_value
      - .offset:         56
        .size:           4
        .value_kind:     by_value
      - .offset:         60
        .size:           1
        .value_kind:     by_value
      - .address_space:  global
        .offset:         64
        .size:           8
        .value_kind:     global_buffer
    .group_segment_fixed_size: 0
    .kernarg_segment_align: 8
    .kernarg_segment_size: 72
    .language:       OpenCL C
    .language_version:
      - 2
      - 0
    .max_flat_workgroup_size: 128
    .name:           _ZN4vllm3moe10topkGatingILi1ELi1ELi4ELi2ELi32El14__hip_bfloat16LNS0_11ScoringFuncE0EEEvPKT5_PKbPfiPT4_PiiiibPKf
    .private_segment_fixed_size: 0
    .sgpr_count:     27
    .sgpr_spill_count: 0
    .symbol:         _ZN4vllm3moe10topkGatingILi1ELi1ELi4ELi2ELi32El14__hip_bfloat16LNS0_11ScoringFuncE0EEEvPKT5_PKbPfiPT4_PiiiibPKf.kd
    .uniform_work_group_size: 1
    .uses_dynamic_stack: false
    .vgpr_count:     19
    .vgpr_spill_count: 0
    .wavefront_size: 64
  - .agpr_count:     0
    .args:
      - .address_space:  global
        .offset:         0
        .size:           8
        .value_kind:     global_buffer
      - .address_space:  global
        .offset:         8
        .size:           8
        .value_kind:     global_buffer
      - .address_space:  global
        .offset:         16
        .size:           8
        .value_kind:     global_buffer
      - .offset:         24
        .size:           4
        .value_kind:     by_value
      - .address_space:  global
        .offset:         32
        .size:           8
        .value_kind:     global_buffer
      - .address_space:  global
        .offset:         40
        .size:           8
        .value_kind:     global_buffer
      - .offset:         48
        .size:           4
        .value_kind:     by_value
      - .offset:         52
        .size:           4
        .value_kind:     by_value
      - .offset:         56
        .size:           4
        .value_kind:     by_value
      - .offset:         60
        .size:           1
        .value_kind:     by_value
      - .address_space:  global
        .offset:         64
        .size:           8
        .value_kind:     global_buffer
    .group_segment_fixed_size: 0
    .kernarg_segment_align: 8
    .kernarg_segment_size: 72
    .language:       OpenCL C
    .language_version:
      - 2
      - 0
    .max_flat_workgroup_size: 256
    .name:           _ZN4vllm3moe10topkGatingILi2ELi2ELi4ELi4ELi64El14__hip_bfloat16LNS0_11ScoringFuncE0EEEvPKT5_PKbPfiPT4_PiiiibPKf
    .private_segment_fixed_size: 0
    .sgpr_count:     28
    .sgpr_spill_count: 0
    .symbol:         _ZN4vllm3moe10topkGatingILi2ELi2ELi4ELi4ELi64El14__hip_bfloat16LNS0_11ScoringFuncE0EEEvPKT5_PKbPfiPT4_PiiiibPKf.kd
    .uniform_work_group_size: 1
    .uses_dynamic_stack: false
    .vgpr_count:     19
    .vgpr_spill_count: 0
    .wavefront_size: 64
  - .agpr_count:     0
    .args:
      - .address_space:  global
        .offset:         0
        .size:           8
        .value_kind:     global_buffer
      - .address_space:  global
        .offset:         8
        .size:           8
        .value_kind:     global_buffer
      - .address_space:  global
        .offset:         16
        .size:           8
        .value_kind:     global_buffer
      - .offset:         24
        .size:           4
        .value_kind:     by_value
      - .address_space:  global
        .offset:         32
        .size:           8
        .value_kind:     global_buffer
      - .address_space:  global
        .offset:         40
        .size:           8
        .value_kind:     global_buffer
      - .offset:         48
        .size:           4
        .value_kind:     by_value
      - .offset:         52
        .size:           4
        .value_kind:     by_value
      - .offset:         56
        .size:           4
        .value_kind:     by_value
      - .offset:         60
        .size:           1
        .value_kind:     by_value
      - .address_space:  global
        .offset:         64
        .size:           8
        .value_kind:     global_buffer
    .group_segment_fixed_size: 0
    .kernarg_segment_align: 8
    .kernarg_segment_size: 72
    .language:       OpenCL C
    .language_version:
      - 2
      - 0
    .max_flat_workgroup_size: 128
    .name:           _ZN4vllm3moe10topkGatingILi2ELi2ELi4ELi4ELi32El14__hip_bfloat16LNS0_11ScoringFuncE0EEEvPKT5_PKbPfiPT4_PiiiibPKf
    .private_segment_fixed_size: 0
    .sgpr_count:     28
    .sgpr_spill_count: 0
    .symbol:         _ZN4vllm3moe10topkGatingILi2ELi2ELi4ELi4ELi32El14__hip_bfloat16LNS0_11ScoringFuncE0EEEvPKT5_PKbPfiPT4_PiiiibPKf.kd
    .uniform_work_group_size: 1
    .uses_dynamic_stack: false
    .vgpr_count:     19
    .vgpr_spill_count: 0
    .wavefront_size: 64
  - .agpr_count:     0
    .args:
      - .address_space:  global
        .offset:         0
        .size:           8
        .value_kind:     global_buffer
      - .address_space:  global
        .offset:         8
        .size:           8
        .value_kind:     global_buffer
      - .address_space:  global
        .offset:         16
        .size:           8
        .value_kind:     global_buffer
      - .offset:         24
        .size:           4
        .value_kind:     by_value
      - .address_space:  global
        .offset:         32
        .size:           8
        .value_kind:     global_buffer
      - .address_space:  global
        .offset:         40
        .size:           8
        .value_kind:     global_buffer
      - .offset:         48
        .size:           4
        .value_kind:     by_value
      - .offset:         52
        .size:           4
        .value_kind:     by_value
      - .offset:         56
        .size:           4
        .value_kind:     by_value
      - .offset:         60
        .size:           1
        .value_kind:     by_value
      - .address_space:  global
        .offset:         64
        .size:           8
        .value_kind:     global_buffer
    .group_segment_fixed_size: 0
    .kernarg_segment_align: 8
    .kernarg_segment_size: 72
    .language:       OpenCL C
    .language_version:
      - 2
      - 0
    .max_flat_workgroup_size: 256
    .name:           _ZN4vllm3moe10topkGatingILi4ELi4ELi4ELi8ELi64El14__hip_bfloat16LNS0_11ScoringFuncE0EEEvPKT5_PKbPfiPT4_PiiiibPKf
    .private_segment_fixed_size: 0
    .sgpr_count:     28
    .sgpr_spill_count: 0
    .symbol:         _ZN4vllm3moe10topkGatingILi4ELi4ELi4ELi8ELi64El14__hip_bfloat16LNS0_11ScoringFuncE0EEEvPKT5_PKbPfiPT4_PiiiibPKf.kd
    .uniform_work_group_size: 1
    .uses_dynamic_stack: false
    .vgpr_count:     22
    .vgpr_spill_count: 0
    .wavefront_size: 64
  - .agpr_count:     0
    .args:
      - .address_space:  global
        .offset:         0
        .size:           8
        .value_kind:     global_buffer
      - .address_space:  global
        .offset:         8
        .size:           8
        .value_kind:     global_buffer
      - .address_space:  global
        .offset:         16
        .size:           8
        .value_kind:     global_buffer
      - .offset:         24
        .size:           4
        .value_kind:     by_value
      - .address_space:  global
        .offset:         32
        .size:           8
        .value_kind:     global_buffer
      - .address_space:  global
        .offset:         40
        .size:           8
        .value_kind:     global_buffer
      - .offset:         48
        .size:           4
        .value_kind:     by_value
      - .offset:         52
        .size:           4
        .value_kind:     by_value
      - .offset:         56
        .size:           4
        .value_kind:     by_value
      - .offset:         60
        .size:           1
        .value_kind:     by_value
      - .address_space:  global
        .offset:         64
        .size:           8
        .value_kind:     global_buffer
    .group_segment_fixed_size: 0
    .kernarg_segment_align: 8
    .kernarg_segment_size: 72
    .language:       OpenCL C
    .language_version:
      - 2
      - 0
    .max_flat_workgroup_size: 128
    .name:           _ZN4vllm3moe10topkGatingILi4ELi4ELi4ELi8ELi32El14__hip_bfloat16LNS0_11ScoringFuncE0EEEvPKT5_PKbPfiPT4_PiiiibPKf
    .private_segment_fixed_size: 0
    .sgpr_count:     28
    .sgpr_spill_count: 0
    .symbol:         _ZN4vllm3moe10topkGatingILi4ELi4ELi4ELi8ELi32El14__hip_bfloat16LNS0_11ScoringFuncE0EEEvPKT5_PKbPfiPT4_PiiiibPKf.kd
    .uniform_work_group_size: 1
    .uses_dynamic_stack: false
    .vgpr_count:     22
    .vgpr_spill_count: 0
    .wavefront_size: 64
  - .agpr_count:     0
    .args:
      - .address_space:  global
        .offset:         0
        .size:           8
        .value_kind:     global_buffer
      - .address_space:  global
        .offset:         8
        .size:           8
        .value_kind:     global_buffer
      - .address_space:  global
        .offset:         16
        .size:           8
        .value_kind:     global_buffer
      - .offset:         24
        .size:           4
        .value_kind:     by_value
      - .address_space:  global
        .offset:         32
        .size:           8
        .value_kind:     global_buffer
      - .address_space:  global
        .offset:         40
        .size:           8
        .value_kind:     global_buffer
      - .offset:         48
        .size:           4
        .value_kind:     by_value
      - .offset:         52
        .size:           4
        .value_kind:     by_value
      - .offset:         56
        .size:           4
        .value_kind:     by_value
      - .offset:         60
        .size:           1
        .value_kind:     by_value
      - .address_space:  global
        .offset:         64
        .size:           8
        .value_kind:     global_buffer
    .group_segment_fixed_size: 0
    .kernarg_segment_align: 8
    .kernarg_segment_size: 72
    .language:       OpenCL C
    .language_version:
      - 2
      - 0
    .max_flat_workgroup_size: 256
    .name:           _ZN4vllm3moe10topkGatingILi8ELi8ELi4ELi16ELi64El14__hip_bfloat16LNS0_11ScoringFuncE0EEEvPKT5_PKbPfiPT4_PiiiibPKf
    .private_segment_fixed_size: 0
    .sgpr_count:     32
    .sgpr_spill_count: 0
    .symbol:         _ZN4vllm3moe10topkGatingILi8ELi8ELi4ELi16ELi64El14__hip_bfloat16LNS0_11ScoringFuncE0EEEvPKT5_PKbPfiPT4_PiiiibPKf.kd
    .uniform_work_group_size: 1
    .uses_dynamic_stack: false
    .vgpr_count:     32
    .vgpr_spill_count: 0
    .wavefront_size: 64
  - .agpr_count:     0
    .args:
      - .address_space:  global
        .offset:         0
        .size:           8
        .value_kind:     global_buffer
      - .address_space:  global
        .offset:         8
        .size:           8
        .value_kind:     global_buffer
      - .address_space:  global
        .offset:         16
        .size:           8
        .value_kind:     global_buffer
      - .offset:         24
        .size:           4
        .value_kind:     by_value
      - .address_space:  global
        .offset:         32
        .size:           8
        .value_kind:     global_buffer
      - .address_space:  global
        .offset:         40
        .size:           8
        .value_kind:     global_buffer
      - .offset:         48
        .size:           4
        .value_kind:     by_value
      - .offset:         52
        .size:           4
        .value_kind:     by_value
      - .offset:         56
        .size:           4
        .value_kind:     by_value
      - .offset:         60
        .size:           1
        .value_kind:     by_value
      - .address_space:  global
        .offset:         64
        .size:           8
        .value_kind:     global_buffer
    .group_segment_fixed_size: 0
    .kernarg_segment_align: 8
    .kernarg_segment_size: 72
    .language:       OpenCL C
    .language_version:
      - 2
      - 0
    .max_flat_workgroup_size: 128
    .name:           _ZN4vllm3moe10topkGatingILi8ELi8ELi4ELi16ELi32El14__hip_bfloat16LNS0_11ScoringFuncE0EEEvPKT5_PKbPfiPT4_PiiiibPKf
    .private_segment_fixed_size: 0
    .sgpr_count:     32
    .sgpr_spill_count: 0
    .symbol:         _ZN4vllm3moe10topkGatingILi8ELi8ELi4ELi16ELi32El14__hip_bfloat16LNS0_11ScoringFuncE0EEEvPKT5_PKbPfiPT4_PiiiibPKf.kd
    .uniform_work_group_size: 1
    .uses_dynamic_stack: false
    .vgpr_count:     32
    .vgpr_spill_count: 0
    .wavefront_size: 64
  - .agpr_count:     0
    .args:
      - .address_space:  global
        .offset:         0
        .size:           8
        .value_kind:     global_buffer
      - .address_space:  global
        .offset:         8
        .size:           8
        .value_kind:     global_buffer
      - .address_space:  global
        .offset:         16
        .size:           8
        .value_kind:     global_buffer
      - .offset:         24
        .size:           4
        .value_kind:     by_value
      - .address_space:  global
        .offset:         32
        .size:           8
        .value_kind:     global_buffer
      - .address_space:  global
        .offset:         40
        .size:           8
        .value_kind:     global_buffer
      - .offset:         48
        .size:           4
        .value_kind:     by_value
      - .offset:         52
        .size:           4
        .value_kind:     by_value
      - .offset:         56
        .size:           4
        .value_kind:     by_value
      - .offset:         60
        .size:           1
        .value_kind:     by_value
      - .address_space:  global
        .offset:         64
        .size:           8
        .value_kind:     global_buffer
    .group_segment_fixed_size: 0
    .kernarg_segment_align: 8
    .kernarg_segment_size: 72
    .language:       OpenCL C
    .language_version:
      - 2
      - 0
    .max_flat_workgroup_size: 256
    .name:           _ZN4vllm3moe10topkGatingILi8ELi16ELi4ELi16ELi64El14__hip_bfloat16LNS0_11ScoringFuncE0EEEvPKT5_PKbPfiPT4_PiiiibPKf
    .private_segment_fixed_size: 0
    .sgpr_count:     30
    .sgpr_spill_count: 0
    .symbol:         _ZN4vllm3moe10topkGatingILi8ELi16ELi4ELi16ELi64El14__hip_bfloat16LNS0_11ScoringFuncE0EEEvPKT5_PKbPfiPT4_PiiiibPKf.kd
    .uniform_work_group_size: 1
    .uses_dynamic_stack: false
    .vgpr_count:     33
    .vgpr_spill_count: 0
    .wavefront_size: 64
  - .agpr_count:     0
    .args:
      - .address_space:  global
        .offset:         0
        .size:           8
        .value_kind:     global_buffer
      - .address_space:  global
        .offset:         8
        .size:           8
        .value_kind:     global_buffer
      - .address_space:  global
        .offset:         16
        .size:           8
        .value_kind:     global_buffer
      - .offset:         24
        .size:           4
        .value_kind:     by_value
      - .address_space:  global
        .offset:         32
        .size:           8
        .value_kind:     global_buffer
      - .address_space:  global
        .offset:         40
        .size:           8
        .value_kind:     global_buffer
      - .offset:         48
        .size:           4
        .value_kind:     by_value
      - .offset:         52
        .size:           4
        .value_kind:     by_value
      - .offset:         56
        .size:           4
        .value_kind:     by_value
      - .offset:         60
        .size:           1
        .value_kind:     by_value
      - .address_space:  global
        .offset:         64
        .size:           8
        .value_kind:     global_buffer
    .group_segment_fixed_size: 0
    .kernarg_segment_align: 8
    .kernarg_segment_size: 72
    .language:       OpenCL C
    .language_version:
      - 2
      - 0
    .max_flat_workgroup_size: 128
    .name:           _ZN4vllm3moe10topkGatingILi8ELi16ELi4ELi16ELi32El14__hip_bfloat16LNS0_11ScoringFuncE0EEEvPKT5_PKbPfiPT4_PiiiibPKf
    .private_segment_fixed_size: 0
    .sgpr_count:     30
    .sgpr_spill_count: 0
    .symbol:         _ZN4vllm3moe10topkGatingILi8ELi16ELi4ELi16ELi32El14__hip_bfloat16LNS0_11ScoringFuncE0EEEvPKT5_PKbPfiPT4_PiiiibPKf.kd
    .uniform_work_group_size: 1
    .uses_dynamic_stack: false
    .vgpr_count:     33
    .vgpr_spill_count: 0
    .wavefront_size: 64
  - .agpr_count:     0
    .args:
      - .address_space:  global
        .offset:         0
        .size:           8
        .value_kind:     global_buffer
      - .address_space:  global
        .offset:         8
        .size:           8
        .value_kind:     global_buffer
      - .address_space:  global
        .offset:         16
        .size:           8
        .value_kind:     global_buffer
      - .offset:         24
        .size:           4
        .value_kind:     by_value
      - .address_space:  global
        .offset:         32
        .size:           8
        .value_kind:     global_buffer
      - .address_space:  global
        .offset:         40
        .size:           8
        .value_kind:     global_buffer
      - .offset:         48
        .size:           4
        .value_kind:     by_value
      - .offset:         52
        .size:           4
        .value_kind:     by_value
      - .offset:         56
        .size:           4
        .value_kind:     by_value
      - .offset:         60
        .size:           1
        .value_kind:     by_value
      - .address_space:  global
        .offset:         64
        .size:           8
        .value_kind:     global_buffer
    .group_segment_fixed_size: 0
    .kernarg_segment_align: 8
    .kernarg_segment_size: 72
    .language:       OpenCL C
    .language_version:
      - 2
      - 0
    .max_flat_workgroup_size: 256
    .name:           _ZN4vllm3moe10topkGatingILi8ELi32ELi4ELi16ELi64El14__hip_bfloat16LNS0_11ScoringFuncE0EEEvPKT5_PKbPfiPT4_PiiiibPKf
    .private_segment_fixed_size: 0
    .sgpr_count:     28
    .sgpr_spill_count: 0
    .symbol:         _ZN4vllm3moe10topkGatingILi8ELi32ELi4ELi16ELi64El14__hip_bfloat16LNS0_11ScoringFuncE0EEEvPKT5_PKbPfiPT4_PiiiibPKf.kd
    .uniform_work_group_size: 1
    .uses_dynamic_stack: false
    .vgpr_count:     34
    .vgpr_spill_count: 0
    .wavefront_size: 64
  - .agpr_count:     0
    .args:
      - .address_space:  global
        .offset:         0
        .size:           8
        .value_kind:     global_buffer
      - .address_space:  global
        .offset:         8
        .size:           8
        .value_kind:     global_buffer
      - .address_space:  global
        .offset:         16
        .size:           8
        .value_kind:     global_buffer
      - .offset:         24
        .size:           4
        .value_kind:     by_value
      - .address_space:  global
        .offset:         32
        .size:           8
        .value_kind:     global_buffer
      - .address_space:  global
        .offset:         40
        .size:           8
        .value_kind:     global_buffer
      - .offset:         48
        .size:           4
        .value_kind:     by_value
      - .offset:         52
        .size:           4
        .value_kind:     by_value
      - .offset:         56
        .size:           4
        .value_kind:     by_value
      - .offset:         60
        .size:           1
        .value_kind:     by_value
      - .address_space:  global
        .offset:         64
        .size:           8
        .value_kind:     global_buffer
    .group_segment_fixed_size: 0
    .kernarg_segment_align: 8
    .kernarg_segment_size: 72
    .language:       OpenCL C
    .language_version:
      - 2
      - 0
    .max_flat_workgroup_size: 128
    .name:           _ZN4vllm3moe10topkGatingILi8ELi32ELi4ELi16ELi32El14__hip_bfloat16LNS0_11ScoringFuncE0EEEvPKT5_PKbPfiPT4_PiiiibPKf
    .private_segment_fixed_size: 0
    .sgpr_count:     28
    .sgpr_spill_count: 0
    .symbol:         _ZN4vllm3moe10topkGatingILi8ELi32ELi4ELi16ELi32El14__hip_bfloat16LNS0_11ScoringFuncE0EEEvPKT5_PKbPfiPT4_PiiiibPKf.kd
    .uniform_work_group_size: 1
    .uses_dynamic_stack: false
    .vgpr_count:     34
    .vgpr_spill_count: 0
    .wavefront_size: 64
  - .agpr_count:     0
    .args:
      - .address_space:  global
        .offset:         0
        .size:           8
        .value_kind:     global_buffer
      - .address_space:  global
        .offset:         8
        .size:           8
        .value_kind:     global_buffer
      - .address_space:  global
        .offset:         16
        .size:           8
        .value_kind:     global_buffer
      - .offset:         24
        .size:           4
        .value_kind:     by_value
      - .address_space:  global
        .offset:         32
        .size:           8
        .value_kind:     global_buffer
      - .address_space:  global
        .offset:         40
        .size:           8
        .value_kind:     global_buffer
      - .offset:         48
        .size:           4
        .value_kind:     by_value
      - .offset:         52
        .size:           4
        .value_kind:     by_value
      - .offset:         56
        .size:           4
        .value_kind:     by_value
      - .offset:         60
        .size:           1
        .value_kind:     by_value
      - .address_space:  global
        .offset:         64
        .size:           8
        .value_kind:     global_buffer
    .group_segment_fixed_size: 0
    .kernarg_segment_align: 8
    .kernarg_segment_size: 72
    .language:       OpenCL C
    .language_version:
      - 2
      - 0
    .max_flat_workgroup_size: 256
    .name:           _ZN4vllm3moe10topkGatingILi8ELi64ELi4ELi16ELi64El14__hip_bfloat16LNS0_11ScoringFuncE0EEEvPKT5_PKbPfiPT4_PiiiibPKf
    .private_segment_fixed_size: 0
    .sgpr_count:     30
    .sgpr_spill_count: 0
    .symbol:         _ZN4vllm3moe10topkGatingILi8ELi64ELi4ELi16ELi64El14__hip_bfloat16LNS0_11ScoringFuncE0EEEvPKT5_PKbPfiPT4_PiiiibPKf.kd
    .uniform_work_group_size: 1
    .uses_dynamic_stack: false
    .vgpr_count:     35
    .vgpr_spill_count: 0
    .wavefront_size: 64
  - .agpr_count:     0
    .args:
      - .address_space:  global
        .offset:         0
        .size:           8
        .value_kind:     global_buffer
      - .address_space:  global
        .offset:         8
        .size:           8
        .value_kind:     global_buffer
      - .address_space:  global
        .offset:         16
        .size:           8
        .value_kind:     global_buffer
      - .offset:         24
        .size:           4
        .value_kind:     by_value
      - .address_space:  global
        .offset:         32
        .size:           8
        .value_kind:     global_buffer
      - .address_space:  global
        .offset:         40
        .size:           8
        .value_kind:     global_buffer
      - .offset:         48
        .size:           4
        .value_kind:     by_value
      - .offset:         52
        .size:           4
        .value_kind:     by_value
      - .offset:         56
        .size:           4
        .value_kind:     by_value
      - .offset:         60
        .size:           1
        .value_kind:     by_value
      - .address_space:  global
        .offset:         64
        .size:           8
        .value_kind:     global_buffer
    .group_segment_fixed_size: 0
    .kernarg_segment_align: 8
    .kernarg_segment_size: 72
    .language:       OpenCL C
    .language_version:
      - 2
      - 0
    .max_flat_workgroup_size: 128
    .name:           _ZN4vllm3moe10topkGatingILi8ELi64ELi4ELi16ELi32El14__hip_bfloat16LNS0_11ScoringFuncE0EEEvPKT5_PKbPfiPT4_PiiiibPKf
    .private_segment_fixed_size: 0
    .sgpr_count:     30
    .sgpr_spill_count: 0
    .symbol:         _ZN4vllm3moe10topkGatingILi8ELi64ELi4ELi16ELi32El14__hip_bfloat16LNS0_11ScoringFuncE0EEEvPKT5_PKbPfiPT4_PiiiibPKf.kd
    .uniform_work_group_size: 1
    .uses_dynamic_stack: false
    .vgpr_count:     35
    .vgpr_spill_count: 0
    .wavefront_size: 64
  - .agpr_count:     0
    .args:
      - .address_space:  global
        .offset:         0
        .size:           8
        .value_kind:     global_buffer
      - .address_space:  global
        .offset:         8
        .size:           8
        .value_kind:     global_buffer
      - .address_space:  global
        .offset:         16
        .size:           8
        .value_kind:     global_buffer
      - .offset:         24
        .size:           4
        .value_kind:     by_value
      - .address_space:  global
        .offset:         32
        .size:           8
        .value_kind:     global_buffer
      - .address_space:  global
        .offset:         40
        .size:           8
        .value_kind:     global_buffer
      - .offset:         48
        .size:           4
        .value_kind:     by_value
      - .offset:         52
        .size:           4
        .value_kind:     by_value
      - .offset:         56
        .size:           4
        .value_kind:     by_value
      - .offset:         60
        .size:           1
        .value_kind:     by_value
      - .address_space:  global
        .offset:         64
        .size:           8
        .value_kind:     global_buffer
    .group_segment_fixed_size: 0
    .kernarg_segment_align: 8
    .kernarg_segment_size: 72
    .language:       OpenCL C
    .language_version:
      - 2
      - 0
    .max_flat_workgroup_size: 256
    .name:           _ZN4vllm3moe10topkGatingILi8ELi128ELi4ELi16ELi64El14__hip_bfloat16LNS0_11ScoringFuncE0EEEvPKT5_PKbPfiPT4_PiiiibPKf
    .private_segment_fixed_size: 0
    .sgpr_count:     30
    .sgpr_spill_count: 0
    .symbol:         _ZN4vllm3moe10topkGatingILi8ELi128ELi4ELi16ELi64El14__hip_bfloat16LNS0_11ScoringFuncE0EEEvPKT5_PKbPfiPT4_PiiiibPKf.kd
    .uniform_work_group_size: 1
    .uses_dynamic_stack: false
    .vgpr_count:     37
    .vgpr_spill_count: 0
    .wavefront_size: 64
  - .agpr_count:     0
    .args:
      - .address_space:  global
        .offset:         0
        .size:           8
        .value_kind:     global_buffer
      - .address_space:  global
        .offset:         8
        .size:           8
        .value_kind:     global_buffer
      - .address_space:  global
        .offset:         16
        .size:           8
        .value_kind:     global_buffer
      - .offset:         24
        .size:           4
        .value_kind:     by_value
      - .address_space:  global
        .offset:         32
        .size:           8
        .value_kind:     global_buffer
      - .address_space:  global
        .offset:         40
        .size:           8
        .value_kind:     global_buffer
      - .offset:         48
        .size:           4
        .value_kind:     by_value
      - .offset:         52
        .size:           4
        .value_kind:     by_value
      - .offset:         56
        .size:           4
        .value_kind:     by_value
      - .offset:         60
        .size:           1
        .value_kind:     by_value
      - .address_space:  global
        .offset:         64
        .size:           8
        .value_kind:     global_buffer
    .group_segment_fixed_size: 0
    .kernarg_segment_align: 8
    .kernarg_segment_size: 72
    .language:       OpenCL C
    .language_version:
      - 2
      - 0
    .max_flat_workgroup_size: 128
    .name:           _ZN4vllm3moe10topkGatingILi8ELi128ELi4ELi16ELi32El14__hip_bfloat16LNS0_11ScoringFuncE0EEEvPKT5_PKbPfiPT4_PiiiibPKf
    .private_segment_fixed_size: 0
    .sgpr_count:     30
    .sgpr_spill_count: 0
    .symbol:         _ZN4vllm3moe10topkGatingILi8ELi128ELi4ELi16ELi32El14__hip_bfloat16LNS0_11ScoringFuncE0EEEvPKT5_PKbPfiPT4_PiiiibPKf.kd
    .uniform_work_group_size: 1
    .uses_dynamic_stack: false
    .vgpr_count:     37
    .vgpr_spill_count: 0
    .wavefront_size: 64
  - .agpr_count:     0
    .args:
      - .address_space:  global
        .offset:         0
        .size:           8
        .value_kind:     global_buffer
      - .address_space:  global
        .offset:         8
        .size:           8
        .value_kind:     global_buffer
      - .address_space:  global
        .offset:         16
        .size:           8
        .value_kind:     global_buffer
      - .offset:         24
        .size:           4
        .value_kind:     by_value
      - .address_space:  global
        .offset:         32
        .size:           8
        .value_kind:     global_buffer
      - .address_space:  global
        .offset:         40
        .size:           8
        .value_kind:     global_buffer
      - .offset:         48
        .size:           4
        .value_kind:     by_value
      - .offset:         52
        .size:           4
        .value_kind:     by_value
      - .offset:         56
        .size:           4
        .value_kind:     by_value
      - .offset:         60
        .size:           1
        .value_kind:     by_value
      - .address_space:  global
        .offset:         64
        .size:           8
        .value_kind:     global_buffer
    .group_segment_fixed_size: 0
    .kernarg_segment_align: 8
    .kernarg_segment_size: 72
    .language:       OpenCL C
    .language_version:
      - 2
      - 0
    .max_flat_workgroup_size: 256
    .name:           _ZN4vllm3moe10topkGatingILi8ELi256ELi4ELi16ELi64El14__hip_bfloat16LNS0_11ScoringFuncE0EEEvPKT5_PKbPfiPT4_PiiiibPKf
    .private_segment_fixed_size: 0
    .sgpr_count:     30
    .sgpr_spill_count: 0
    .symbol:         _ZN4vllm3moe10topkGatingILi8ELi256ELi4ELi16ELi64El14__hip_bfloat16LNS0_11ScoringFuncE0EEEvPKT5_PKbPfiPT4_PiiiibPKf.kd
    .uniform_work_group_size: 1
    .uses_dynamic_stack: false
    .vgpr_count:     38
    .vgpr_spill_count: 0
    .wavefront_size: 64
  - .agpr_count:     0
    .args:
      - .address_space:  global
        .offset:         0
        .size:           8
        .value_kind:     global_buffer
      - .address_space:  global
        .offset:         8
        .size:           8
        .value_kind:     global_buffer
      - .address_space:  global
        .offset:         16
        .size:           8
        .value_kind:     global_buffer
      - .offset:         24
        .size:           4
        .value_kind:     by_value
      - .address_space:  global
        .offset:         32
        .size:           8
        .value_kind:     global_buffer
      - .address_space:  global
        .offset:         40
        .size:           8
        .value_kind:     global_buffer
      - .offset:         48
        .size:           4
        .value_kind:     by_value
      - .offset:         52
        .size:           4
        .value_kind:     by_value
      - .offset:         56
        .size:           4
        .value_kind:     by_value
      - .offset:         60
        .size:           1
        .value_kind:     by_value
      - .address_space:  global
        .offset:         64
        .size:           8
        .value_kind:     global_buffer
    .group_segment_fixed_size: 0
    .kernarg_segment_align: 8
    .kernarg_segment_size: 72
    .language:       OpenCL C
    .language_version:
      - 2
      - 0
    .max_flat_workgroup_size: 128
    .name:           _ZN4vllm3moe10topkGatingILi8ELi256ELi4ELi16ELi32El14__hip_bfloat16LNS0_11ScoringFuncE0EEEvPKT5_PKbPfiPT4_PiiiibPKf
    .private_segment_fixed_size: 0
    .sgpr_count:     30
    .sgpr_spill_count: 0
    .symbol:         _ZN4vllm3moe10topkGatingILi8ELi256ELi4ELi16ELi32El14__hip_bfloat16LNS0_11ScoringFuncE0EEEvPKT5_PKbPfiPT4_PiiiibPKf.kd
    .uniform_work_group_size: 1
    .uses_dynamic_stack: false
    .vgpr_count:     38
    .vgpr_spill_count: 0
    .wavefront_size: 64
  - .agpr_count:     0
    .args:
      - .address_space:  global
        .offset:         0
        .size:           8
        .value_kind:     global_buffer
      - .address_space:  global
        .offset:         8
        .size:           8
        .value_kind:     global_buffer
      - .address_space:  global
        .offset:         16
        .size:           8
        .value_kind:     global_buffer
      - .offset:         24
        .size:           4
        .value_kind:     by_value
      - .address_space:  global
        .offset:         32
        .size:           8
        .value_kind:     global_buffer
      - .address_space:  global
        .offset:         40
        .size:           8
        .value_kind:     global_buffer
      - .offset:         48
        .size:           4
        .value_kind:     by_value
      - .offset:         52
        .size:           4
        .value_kind:     by_value
      - .offset:         56
        .size:           4
        .value_kind:     by_value
      - .offset:         60
        .size:           1
        .value_kind:     by_value
      - .address_space:  global
        .offset:         64
        .size:           8
        .value_kind:     global_buffer
    .group_segment_fixed_size: 0
    .kernarg_segment_align: 8
    .kernarg_segment_size: 72
    .language:       OpenCL C
    .language_version:
      - 2
      - 0
    .max_flat_workgroup_size: 256
    .name:           _ZN4vllm3moe10topkGatingILi8ELi512ELi4ELi16ELi64El14__hip_bfloat16LNS0_11ScoringFuncE0EEEvPKT5_PKbPfiPT4_PiiiibPKf
    .private_segment_fixed_size: 0
    .sgpr_count:     30
    .sgpr_spill_count: 0
    .symbol:         _ZN4vllm3moe10topkGatingILi8ELi512ELi4ELi16ELi64El14__hip_bfloat16LNS0_11ScoringFuncE0EEEvPKT5_PKbPfiPT4_PiiiibPKf.kd
    .uniform_work_group_size: 1
    .uses_dynamic_stack: false
    .vgpr_count:     39
    .vgpr_spill_count: 0
    .wavefront_size: 64
  - .agpr_count:     0
    .args:
      - .address_space:  global
        .offset:         0
        .size:           8
        .value_kind:     global_buffer
      - .address_space:  global
        .offset:         8
        .size:           8
        .value_kind:     global_buffer
      - .address_space:  global
        .offset:         16
        .size:           8
        .value_kind:     global_buffer
      - .offset:         24
        .size:           4
        .value_kind:     by_value
      - .address_space:  global
        .offset:         32
        .size:           8
        .value_kind:     global_buffer
      - .address_space:  global
        .offset:         40
        .size:           8
        .value_kind:     global_buffer
      - .offset:         48
        .size:           4
        .value_kind:     by_value
      - .offset:         52
        .size:           4
        .value_kind:     by_value
      - .offset:         56
        .size:           4
        .value_kind:     by_value
      - .offset:         60
        .size:           1
        .value_kind:     by_value
      - .address_space:  global
        .offset:         64
        .size:           8
        .value_kind:     global_buffer
    .group_segment_fixed_size: 0
    .kernarg_segment_align: 8
    .kernarg_segment_size: 72
    .language:       OpenCL C
    .language_version:
      - 2
      - 0
    .max_flat_workgroup_size: 128
    .name:           _ZN4vllm3moe10topkGatingILi16ELi512ELi4ELi16ELi32El14__hip_bfloat16LNS0_11ScoringFuncE0EEEvPKT5_PKbPfiPT4_PiiiibPKf
    .private_segment_fixed_size: 0
    .sgpr_count:     30
    .sgpr_spill_count: 0
    .symbol:         _ZN4vllm3moe10topkGatingILi16ELi512ELi4ELi16ELi32El14__hip_bfloat16LNS0_11ScoringFuncE0EEEvPKT5_PKbPfiPT4_PiiiibPKf.kd
    .uniform_work_group_size: 1
    .uses_dynamic_stack: false
    .vgpr_count:     62
    .vgpr_spill_count: 0
    .wavefront_size: 64
  - .agpr_count:     0
    .args:
      - .address_space:  global
        .offset:         0
        .size:           8
        .value_kind:     global_buffer
      - .address_space:  global
        .offset:         8
        .size:           8
        .value_kind:     global_buffer
      - .address_space:  global
        .offset:         16
        .size:           8
        .value_kind:     global_buffer
      - .offset:         24
        .size:           4
        .value_kind:     by_value
      - .address_space:  global
        .offset:         32
        .size:           8
        .value_kind:     global_buffer
      - .address_space:  global
        .offset:         40
        .size:           8
        .value_kind:     global_buffer
      - .offset:         48
        .size:           4
        .value_kind:     by_value
      - .offset:         52
        .size:           4
        .value_kind:     by_value
      - .offset:         56
        .size:           4
        .value_kind:     by_value
      - .offset:         60
        .size:           1
        .value_kind:     by_value
      - .address_space:  global
        .offset:         64
        .size:           8
        .value_kind:     global_buffer
    .group_segment_fixed_size: 0
    .kernarg_segment_align: 8
    .kernarg_segment_size: 72
    .language:       OpenCL C
    .language_version:
      - 2
      - 0
    .max_flat_workgroup_size: 256
    .name:           _ZN4vllm3moe10topkGatingILi1ELi1ELi4ELi4ELi64EifLNS0_11ScoringFuncE1EEEvPKT5_PKbPfiPT4_PiiiibPKf
    .private_segment_fixed_size: 0
    .sgpr_count:     24
    .sgpr_spill_count: 0
    .symbol:         _ZN4vllm3moe10topkGatingILi1ELi1ELi4ELi4ELi64EifLNS0_11ScoringFuncE1EEEvPKT5_PKbPfiPT4_PiiiibPKf.kd
    .uniform_work_group_size: 1
    .uses_dynamic_stack: false
    .vgpr_count:     19
    .vgpr_spill_count: 0
    .wavefront_size: 64
  - .agpr_count:     0
    .args:
      - .address_space:  global
        .offset:         0
        .size:           8
        .value_kind:     global_buffer
      - .address_space:  global
        .offset:         8
        .size:           8
        .value_kind:     global_buffer
      - .address_space:  global
        .offset:         16
        .size:           8
        .value_kind:     global_buffer
      - .offset:         24
        .size:           4
        .value_kind:     by_value
      - .address_space:  global
        .offset:         32
        .size:           8
        .value_kind:     global_buffer
      - .address_space:  global
        .offset:         40
        .size:           8
        .value_kind:     global_buffer
      - .offset:         48
        .size:           4
        .value_kind:     by_value
      - .offset:         52
        .size:           4
        .value_kind:     by_value
      - .offset:         56
        .size:           4
        .value_kind:     by_value
      - .offset:         60
        .size:           1
        .value_kind:     by_value
      - .address_space:  global
        .offset:         64
        .size:           8
        .value_kind:     global_buffer
    .group_segment_fixed_size: 0
    .kernarg_segment_align: 8
    .kernarg_segment_size: 72
    .language:       OpenCL C
    .language_version:
      - 2
      - 0
    .max_flat_workgroup_size: 128
    .name:           _ZN4vllm3moe10topkGatingILi1ELi1ELi4ELi4ELi32EifLNS0_11ScoringFuncE1EEEvPKT5_PKbPfiPT4_PiiiibPKf
    .private_segment_fixed_size: 0
    .sgpr_count:     24
    .sgpr_spill_count: 0
    .symbol:         _ZN4vllm3moe10topkGatingILi1ELi1ELi4ELi4ELi32EifLNS0_11ScoringFuncE1EEEvPKT5_PKbPfiPT4_PiiiibPKf.kd
    .uniform_work_group_size: 1
    .uses_dynamic_stack: false
    .vgpr_count:     19
    .vgpr_spill_count: 0
    .wavefront_size: 64
  - .agpr_count:     0
    .args:
      - .address_space:  global
        .offset:         0
        .size:           8
        .value_kind:     global_buffer
      - .address_space:  global
        .offset:         8
        .size:           8
        .value_kind:     global_buffer
      - .address_space:  global
        .offset:         16
        .size:           8
        .value_kind:     global_buffer
      - .offset:         24
        .size:           4
        .value_kind:     by_value
      - .address_space:  global
        .offset:         32
        .size:           8
        .value_kind:     global_buffer
      - .address_space:  global
        .offset:         40
        .size:           8
        .value_kind:     global_buffer
      - .offset:         48
        .size:           4
        .value_kind:     by_value
      - .offset:         52
        .size:           4
        .value_kind:     by_value
      - .offset:         56
        .size:           4
        .value_kind:     by_value
      - .offset:         60
        .size:           1
        .value_kind:     by_value
      - .address_space:  global
        .offset:         64
        .size:           8
        .value_kind:     global_buffer
    .group_segment_fixed_size: 0
    .kernarg_segment_align: 8
    .kernarg_segment_size: 72
    .language:       OpenCL C
    .language_version:
      - 2
      - 0
    .max_flat_workgroup_size: 256
    .name:           _ZN4vllm3moe10topkGatingILi2ELi2ELi4ELi8ELi64EifLNS0_11ScoringFuncE1EEEvPKT5_PKbPfiPT4_PiiiibPKf
    .private_segment_fixed_size: 0
    .sgpr_count:     28
    .sgpr_spill_count: 0
    .symbol:         _ZN4vllm3moe10topkGatingILi2ELi2ELi4ELi8ELi64EifLNS0_11ScoringFuncE1EEEvPKT5_PKbPfiPT4_PiiiibPKf.kd
    .uniform_work_group_size: 1
    .uses_dynamic_stack: false
    .vgpr_count:     19
    .vgpr_spill_count: 0
    .wavefront_size: 64
  - .agpr_count:     0
    .args:
      - .address_space:  global
        .offset:         0
        .size:           8
        .value_kind:     global_buffer
      - .address_space:  global
        .offset:         8
        .size:           8
        .value_kind:     global_buffer
      - .address_space:  global
        .offset:         16
        .size:           8
        .value_kind:     global_buffer
      - .offset:         24
        .size:           4
        .value_kind:     by_value
      - .address_space:  global
        .offset:         32
        .size:           8
        .value_kind:     global_buffer
      - .address_space:  global
        .offset:         40
        .size:           8
        .value_kind:     global_buffer
      - .offset:         48
        .size:           4
        .value_kind:     by_value
      - .offset:         52
        .size:           4
        .value_kind:     by_value
      - .offset:         56
        .size:           4
        .value_kind:     by_value
      - .offset:         60
        .size:           1
        .value_kind:     by_value
      - .address_space:  global
        .offset:         64
        .size:           8
        .value_kind:     global_buffer
    .group_segment_fixed_size: 0
    .kernarg_segment_align: 8
    .kernarg_segment_size: 72
    .language:       OpenCL C
    .language_version:
      - 2
      - 0
    .max_flat_workgroup_size: 128
    .name:           _ZN4vllm3moe10topkGatingILi2ELi2ELi4ELi8ELi32EifLNS0_11ScoringFuncE1EEEvPKT5_PKbPfiPT4_PiiiibPKf
    .private_segment_fixed_size: 0
    .sgpr_count:     28
    .sgpr_spill_count: 0
    .symbol:         _ZN4vllm3moe10topkGatingILi2ELi2ELi4ELi8ELi32EifLNS0_11ScoringFuncE1EEEvPKT5_PKbPfiPT4_PiiiibPKf.kd
    .uniform_work_group_size: 1
    .uses_dynamic_stack: false
    .vgpr_count:     19
    .vgpr_spill_count: 0
    .wavefront_size: 64
  - .agpr_count:     0
    .args:
      - .address_space:  global
        .offset:         0
        .size:           8
        .value_kind:     global_buffer
      - .address_space:  global
        .offset:         8
        .size:           8
        .value_kind:     global_buffer
      - .address_space:  global
        .offset:         16
        .size:           8
        .value_kind:     global_buffer
      - .offset:         24
        .size:           4
        .value_kind:     by_value
      - .address_space:  global
        .offset:         32
        .size:           8
        .value_kind:     global_buffer
      - .address_space:  global
        .offset:         40
        .size:           8
        .value_kind:     global_buffer
      - .offset:         48
        .size:           4
        .value_kind:     by_value
      - .offset:         52
        .size:           4
        .value_kind:     by_value
      - .offset:         56
        .size:           4
        .value_kind:     by_value
      - .offset:         60
        .size:           1
        .value_kind:     by_value
      - .address_space:  global
        .offset:         64
        .size:           8
        .value_kind:     global_buffer
    .group_segment_fixed_size: 0
    .kernarg_segment_align: 8
    .kernarg_segment_size: 72
    .language:       OpenCL C
    .language_version:
      - 2
      - 0
    .max_flat_workgroup_size: 256
    .name:           _ZN4vllm3moe10topkGatingILi4ELi4ELi4ELi16ELi64EifLNS0_11ScoringFuncE1EEEvPKT5_PKbPfiPT4_PiiiibPKf
    .private_segment_fixed_size: 0
    .sgpr_count:     28
    .sgpr_spill_count: 0
    .symbol:         _ZN4vllm3moe10topkGatingILi4ELi4ELi4ELi16ELi64EifLNS0_11ScoringFuncE1EEEvPKT5_PKbPfiPT4_PiiiibPKf.kd
    .uniform_work_group_size: 1
    .uses_dynamic_stack: false
    .vgpr_count:     26
    .vgpr_spill_count: 0
    .wavefront_size: 64
  - .agpr_count:     0
    .args:
      - .address_space:  global
        .offset:         0
        .size:           8
        .value_kind:     global_buffer
      - .address_space:  global
        .offset:         8
        .size:           8
        .value_kind:     global_buffer
      - .address_space:  global
        .offset:         16
        .size:           8
        .value_kind:     global_buffer
      - .offset:         24
        .size:           4
        .value_kind:     by_value
      - .address_space:  global
        .offset:         32
        .size:           8
        .value_kind:     global_buffer
      - .address_space:  global
        .offset:         40
        .size:           8
        .value_kind:     global_buffer
      - .offset:         48
        .size:           4
        .value_kind:     by_value
      - .offset:         52
        .size:           4
        .value_kind:     by_value
      - .offset:         56
        .size:           4
        .value_kind:     by_value
      - .offset:         60
        .size:           1
        .value_kind:     by_value
      - .address_space:  global
        .offset:         64
        .size:           8
        .value_kind:     global_buffer
    .group_segment_fixed_size: 0
    .kernarg_segment_align: 8
    .kernarg_segment_size: 72
    .language:       OpenCL C
    .language_version:
      - 2
      - 0
    .max_flat_workgroup_size: 128
    .name:           _ZN4vllm3moe10topkGatingILi4ELi4ELi4ELi16ELi32EifLNS0_11ScoringFuncE1EEEvPKT5_PKbPfiPT4_PiiiibPKf
    .private_segment_fixed_size: 0
    .sgpr_count:     28
    .sgpr_spill_count: 0
    .symbol:         _ZN4vllm3moe10topkGatingILi4ELi4ELi4ELi16ELi32EifLNS0_11ScoringFuncE1EEEvPKT5_PKbPfiPT4_PiiiibPKf.kd
    .uniform_work_group_size: 1
    .uses_dynamic_stack: false
    .vgpr_count:     26
    .vgpr_spill_count: 0
    .wavefront_size: 64
  - .agpr_count:     0
    .args:
      - .address_space:  global
        .offset:         0
        .size:           8
        .value_kind:     global_buffer
      - .address_space:  global
        .offset:         8
        .size:           8
        .value_kind:     global_buffer
      - .address_space:  global
        .offset:         16
        .size:           8
        .value_kind:     global_buffer
      - .offset:         24
        .size:           4
        .value_kind:     by_value
      - .address_space:  global
        .offset:         32
        .size:           8
        .value_kind:     global_buffer
      - .address_space:  global
        .offset:         40
        .size:           8
        .value_kind:     global_buffer
      - .offset:         48
        .size:           4
        .value_kind:     by_value
      - .offset:         52
        .size:           4
        .value_kind:     by_value
      - .offset:         56
        .size:           4
        .value_kind:     by_value
      - .offset:         60
        .size:           1
        .value_kind:     by_value
      - .address_space:  global
        .offset:         64
        .size:           8
        .value_kind:     global_buffer
    .group_segment_fixed_size: 0
    .kernarg_segment_align: 8
    .kernarg_segment_size: 72
    .language:       OpenCL C
    .language_version:
      - 2
      - 0
    .max_flat_workgroup_size: 256
    .name:           _ZN4vllm3moe10topkGatingILi4ELi8ELi4ELi16ELi64EifLNS0_11ScoringFuncE1EEEvPKT5_PKbPfiPT4_PiiiibPKf
    .private_segment_fixed_size: 0
    .sgpr_count:     30
    .sgpr_spill_count: 0
    .symbol:         _ZN4vllm3moe10topkGatingILi4ELi8ELi4ELi16ELi64EifLNS0_11ScoringFuncE1EEEvPKT5_PKbPfiPT4_PiiiibPKf.kd
    .uniform_work_group_size: 1
    .uses_dynamic_stack: false
    .vgpr_count:     28
    .vgpr_spill_count: 0
    .wavefront_size: 64
  - .agpr_count:     0
    .args:
      - .address_space:  global
        .offset:         0
        .size:           8
        .value_kind:     global_buffer
      - .address_space:  global
        .offset:         8
        .size:           8
        .value_kind:     global_buffer
      - .address_space:  global
        .offset:         16
        .size:           8
        .value_kind:     global_buffer
      - .offset:         24
        .size:           4
        .value_kind:     by_value
      - .address_space:  global
        .offset:         32
        .size:           8
        .value_kind:     global_buffer
      - .address_space:  global
        .offset:         40
        .size:           8
        .value_kind:     global_buffer
      - .offset:         48
        .size:           4
        .value_kind:     by_value
      - .offset:         52
        .size:           4
        .value_kind:     by_value
      - .offset:         56
        .size:           4
        .value_kind:     by_value
      - .offset:         60
        .size:           1
        .value_kind:     by_value
      - .address_space:  global
        .offset:         64
        .size:           8
        .value_kind:     global_buffer
    .group_segment_fixed_size: 0
    .kernarg_segment_align: 8
    .kernarg_segment_size: 72
    .language:       OpenCL C
    .language_version:
      - 2
      - 0
    .max_flat_workgroup_size: 128
    .name:           _ZN4vllm3moe10topkGatingILi4ELi8ELi4ELi16ELi32EifLNS0_11ScoringFuncE1EEEvPKT5_PKbPfiPT4_PiiiibPKf
    .private_segment_fixed_size: 0
    .sgpr_count:     30
    .sgpr_spill_count: 0
    .symbol:         _ZN4vllm3moe10topkGatingILi4ELi8ELi4ELi16ELi32EifLNS0_11ScoringFuncE1EEEvPKT5_PKbPfiPT4_PiiiibPKf.kd
    .uniform_work_group_size: 1
    .uses_dynamic_stack: false
    .vgpr_count:     28
    .vgpr_spill_count: 0
    .wavefront_size: 64
  - .agpr_count:     0
    .args:
      - .address_space:  global
        .offset:         0
        .size:           8
        .value_kind:     global_buffer
      - .address_space:  global
        .offset:         8
        .size:           8
        .value_kind:     global_buffer
      - .address_space:  global
        .offset:         16
        .size:           8
        .value_kind:     global_buffer
      - .offset:         24
        .size:           4
        .value_kind:     by_value
      - .address_space:  global
        .offset:         32
        .size:           8
        .value_kind:     global_buffer
      - .address_space:  global
        .offset:         40
        .size:           8
        .value_kind:     global_buffer
      - .offset:         48
        .size:           4
        .value_kind:     by_value
      - .offset:         52
        .size:           4
        .value_kind:     by_value
      - .offset:         56
        .size:           4
        .value_kind:     by_value
      - .offset:         60
        .size:           1
        .value_kind:     by_value
      - .address_space:  global
        .offset:         64
        .size:           8
        .value_kind:     global_buffer
    .group_segment_fixed_size: 0
    .kernarg_segment_align: 8
    .kernarg_segment_size: 72
    .language:       OpenCL C
    .language_version:
      - 2
      - 0
    .max_flat_workgroup_size: 256
    .name:           _ZN4vllm3moe10topkGatingILi4ELi16ELi4ELi16ELi64EifLNS0_11ScoringFuncE1EEEvPKT5_PKbPfiPT4_PiiiibPKf
    .private_segment_fixed_size: 0
    .sgpr_count:     30
    .sgpr_spill_count: 0
    .symbol:         _ZN4vllm3moe10topkGatingILi4ELi16ELi4ELi16ELi64EifLNS0_11ScoringFuncE1EEEvPKT5_PKbPfiPT4_PiiiibPKf.kd
    .uniform_work_group_size: 1
    .uses_dynamic_stack: false
    .vgpr_count:     28
    .vgpr_spill_count: 0
    .wavefront_size: 64
  - .agpr_count:     0
    .args:
      - .address_space:  global
        .offset:         0
        .size:           8
        .value_kind:     global_buffer
      - .address_space:  global
        .offset:         8
        .size:           8
        .value_kind:     global_buffer
      - .address_space:  global
        .offset:         16
        .size:           8
        .value_kind:     global_buffer
      - .offset:         24
        .size:           4
        .value_kind:     by_value
      - .address_space:  global
        .offset:         32
        .size:           8
        .value_kind:     global_buffer
      - .address_space:  global
        .offset:         40
        .size:           8
        .value_kind:     global_buffer
      - .offset:         48
        .size:           4
        .value_kind:     by_value
      - .offset:         52
        .size:           4
        .value_kind:     by_value
      - .offset:         56
        .size:           4
        .value_kind:     by_value
      - .offset:         60
        .size:           1
        .value_kind:     by_value
      - .address_space:  global
        .offset:         64
        .size:           8
        .value_kind:     global_buffer
    .group_segment_fixed_size: 0
    .kernarg_segment_align: 8
    .kernarg_segment_size: 72
    .language:       OpenCL C
    .language_version:
      - 2
      - 0
    .max_flat_workgroup_size: 128
    .name:           _ZN4vllm3moe10topkGatingILi4ELi16ELi4ELi16ELi32EifLNS0_11ScoringFuncE1EEEvPKT5_PKbPfiPT4_PiiiibPKf
    .private_segment_fixed_size: 0
    .sgpr_count:     30
    .sgpr_spill_count: 0
    .symbol:         _ZN4vllm3moe10topkGatingILi4ELi16ELi4ELi16ELi32EifLNS0_11ScoringFuncE1EEEvPKT5_PKbPfiPT4_PiiiibPKf.kd
    .uniform_work_group_size: 1
    .uses_dynamic_stack: false
    .vgpr_count:     28
    .vgpr_spill_count: 0
    .wavefront_size: 64
  - .agpr_count:     0
    .args:
      - .address_space:  global
        .offset:         0
        .size:           8
        .value_kind:     global_buffer
      - .address_space:  global
        .offset:         8
        .size:           8
        .value_kind:     global_buffer
      - .address_space:  global
        .offset:         16
        .size:           8
        .value_kind:     global_buffer
      - .offset:         24
        .size:           4
        .value_kind:     by_value
      - .address_space:  global
        .offset:         32
        .size:           8
        .value_kind:     global_buffer
      - .address_space:  global
        .offset:         40
        .size:           8
        .value_kind:     global_buffer
      - .offset:         48
        .size:           4
        .value_kind:     by_value
      - .offset:         52
        .size:           4
        .value_kind:     by_value
      - .offset:         56
        .size:           4
        .value_kind:     by_value
      - .offset:         60
        .size:           1
        .value_kind:     by_value
      - .address_space:  global
        .offset:         64
        .size:           8
        .value_kind:     global_buffer
    .group_segment_fixed_size: 0
    .kernarg_segment_align: 8
    .kernarg_segment_size: 72
    .language:       OpenCL C
    .language_version:
      - 2
      - 0
    .max_flat_workgroup_size: 256
    .name:           _ZN4vllm3moe10topkGatingILi4ELi32ELi4ELi16ELi64EifLNS0_11ScoringFuncE1EEEvPKT5_PKbPfiPT4_PiiiibPKf
    .private_segment_fixed_size: 0
    .sgpr_count:     30
    .sgpr_spill_count: 0
    .symbol:         _ZN4vllm3moe10topkGatingILi4ELi32ELi4ELi16ELi64EifLNS0_11ScoringFuncE1EEEvPKT5_PKbPfiPT4_PiiiibPKf.kd
    .uniform_work_group_size: 1
    .uses_dynamic_stack: false
    .vgpr_count:     28
    .vgpr_spill_count: 0
    .wavefront_size: 64
  - .agpr_count:     0
    .args:
      - .address_space:  global
        .offset:         0
        .size:           8
        .value_kind:     global_buffer
      - .address_space:  global
        .offset:         8
        .size:           8
        .value_kind:     global_buffer
      - .address_space:  global
        .offset:         16
        .size:           8
        .value_kind:     global_buffer
      - .offset:         24
        .size:           4
        .value_kind:     by_value
      - .address_space:  global
        .offset:         32
        .size:           8
        .value_kind:     global_buffer
      - .address_space:  global
        .offset:         40
        .size:           8
        .value_kind:     global_buffer
      - .offset:         48
        .size:           4
        .value_kind:     by_value
      - .offset:         52
        .size:           4
        .value_kind:     by_value
      - .offset:         56
        .size:           4
        .value_kind:     by_value
      - .offset:         60
        .size:           1
        .value_kind:     by_value
      - .address_space:  global
        .offset:         64
        .size:           8
        .value_kind:     global_buffer
    .group_segment_fixed_size: 0
    .kernarg_segment_align: 8
    .kernarg_segment_size: 72
    .language:       OpenCL C
    .language_version:
      - 2
      - 0
    .max_flat_workgroup_size: 128
    .name:           _ZN4vllm3moe10topkGatingILi4ELi32ELi4ELi16ELi32EifLNS0_11ScoringFuncE1EEEvPKT5_PKbPfiPT4_PiiiibPKf
    .private_segment_fixed_size: 0
    .sgpr_count:     30
    .sgpr_spill_count: 0
    .symbol:         _ZN4vllm3moe10topkGatingILi4ELi32ELi4ELi16ELi32EifLNS0_11ScoringFuncE1EEEvPKT5_PKbPfiPT4_PiiiibPKf.kd
    .uniform_work_group_size: 1
    .uses_dynamic_stack: false
    .vgpr_count:     28
    .vgpr_spill_count: 0
    .wavefront_size: 64
  - .agpr_count:     0
    .args:
      - .address_space:  global
        .offset:         0
        .size:           8
        .value_kind:     global_buffer
      - .address_space:  global
        .offset:         8
        .size:           8
        .value_kind:     global_buffer
      - .address_space:  global
        .offset:         16
        .size:           8
        .value_kind:     global_buffer
      - .offset:         24
        .size:           4
        .value_kind:     by_value
      - .address_space:  global
        .offset:         32
        .size:           8
        .value_kind:     global_buffer
      - .address_space:  global
        .offset:         40
        .size:           8
        .value_kind:     global_buffer
      - .offset:         48
        .size:           4
        .value_kind:     by_value
      - .offset:         52
        .size:           4
        .value_kind:     by_value
      - .offset:         56
        .size:           4
        .value_kind:     by_value
      - .offset:         60
        .size:           1
        .value_kind:     by_value
      - .address_space:  global
        .offset:         64
        .size:           8
        .value_kind:     global_buffer
    .group_segment_fixed_size: 0
    .kernarg_segment_align: 8
    .kernarg_segment_size: 72
    .language:       OpenCL C
    .language_version:
      - 2
      - 0
    .max_flat_workgroup_size: 256
    .name:           _ZN4vllm3moe10topkGatingILi4ELi64ELi4ELi16ELi64EifLNS0_11ScoringFuncE1EEEvPKT5_PKbPfiPT4_PiiiibPKf
    .private_segment_fixed_size: 0
    .sgpr_count:     30
    .sgpr_spill_count: 0
    .symbol:         _ZN4vllm3moe10topkGatingILi4ELi64ELi4ELi16ELi64EifLNS0_11ScoringFuncE1EEEvPKT5_PKbPfiPT4_PiiiibPKf.kd
    .uniform_work_group_size: 1
    .uses_dynamic_stack: false
    .vgpr_count:     28
    .vgpr_spill_count: 0
    .wavefront_size: 64
  - .agpr_count:     0
    .args:
      - .address_space:  global
        .offset:         0
        .size:           8
        .value_kind:     global_buffer
      - .address_space:  global
        .offset:         8
        .size:           8
        .value_kind:     global_buffer
      - .address_space:  global
        .offset:         16
        .size:           8
        .value_kind:     global_buffer
      - .offset:         24
        .size:           4
        .value_kind:     by_value
      - .address_space:  global
        .offset:         32
        .size:           8
        .value_kind:     global_buffer
      - .address_space:  global
        .offset:         40
        .size:           8
        .value_kind:     global_buffer
      - .offset:         48
        .size:           4
        .value_kind:     by_value
      - .offset:         52
        .size:           4
        .value_kind:     by_value
      - .offset:         56
        .size:           4
        .value_kind:     by_value
      - .offset:         60
        .size:           1
        .value_kind:     by_value
      - .address_space:  global
        .offset:         64
        .size:           8
        .value_kind:     global_buffer
    .group_segment_fixed_size: 0
    .kernarg_segment_align: 8
    .kernarg_segment_size: 72
    .language:       OpenCL C
    .language_version:
      - 2
      - 0
    .max_flat_workgroup_size: 128
    .name:           _ZN4vllm3moe10topkGatingILi4ELi64ELi4ELi16ELi32EifLNS0_11ScoringFuncE1EEEvPKT5_PKbPfiPT4_PiiiibPKf
    .private_segment_fixed_size: 0
    .sgpr_count:     30
    .sgpr_spill_count: 0
    .symbol:         _ZN4vllm3moe10topkGatingILi4ELi64ELi4ELi16ELi32EifLNS0_11ScoringFuncE1EEEvPKT5_PKbPfiPT4_PiiiibPKf.kd
    .uniform_work_group_size: 1
    .uses_dynamic_stack: false
    .vgpr_count:     28
    .vgpr_spill_count: 0
    .wavefront_size: 64
  - .agpr_count:     0
    .args:
      - .address_space:  global
        .offset:         0
        .size:           8
        .value_kind:     global_buffer
      - .address_space:  global
        .offset:         8
        .size:           8
        .value_kind:     global_buffer
      - .address_space:  global
        .offset:         16
        .size:           8
        .value_kind:     global_buffer
      - .offset:         24
        .size:           4
        .value_kind:     by_value
      - .address_space:  global
        .offset:         32
        .size:           8
        .value_kind:     global_buffer
      - .address_space:  global
        .offset:         40
        .size:           8
        .value_kind:     global_buffer
      - .offset:         48
        .size:           4
        .value_kind:     by_value
      - .offset:         52
        .size:           4
        .value_kind:     by_value
      - .offset:         56
        .size:           4
        .value_kind:     by_value
      - .offset:         60
        .size:           1
        .value_kind:     by_value
      - .address_space:  global
        .offset:         64
        .size:           8
        .value_kind:     global_buffer
    .group_segment_fixed_size: 0
    .kernarg_segment_align: 8
    .kernarg_segment_size: 72
    .language:       OpenCL C
    .language_version:
      - 2
      - 0
    .max_flat_workgroup_size: 256
    .name:           _ZN4vllm3moe10topkGatingILi4ELi128ELi4ELi16ELi64EifLNS0_11ScoringFuncE1EEEvPKT5_PKbPfiPT4_PiiiibPKf
    .private_segment_fixed_size: 0
    .sgpr_count:     30
    .sgpr_spill_count: 0
    .symbol:         _ZN4vllm3moe10topkGatingILi4ELi128ELi4ELi16ELi64EifLNS0_11ScoringFuncE1EEEvPKT5_PKbPfiPT4_PiiiibPKf.kd
    .uniform_work_group_size: 1
    .uses_dynamic_stack: false
    .vgpr_count:     28
    .vgpr_spill_count: 0
    .wavefront_size: 64
  - .agpr_count:     0
    .args:
      - .address_space:  global
        .offset:         0
        .size:           8
        .value_kind:     global_buffer
      - .address_space:  global
        .offset:         8
        .size:           8
        .value_kind:     global_buffer
      - .address_space:  global
        .offset:         16
        .size:           8
        .value_kind:     global_buffer
      - .offset:         24
        .size:           4
        .value_kind:     by_value
      - .address_space:  global
        .offset:         32
        .size:           8
        .value_kind:     global_buffer
      - .address_space:  global
        .offset:         40
        .size:           8
        .value_kind:     global_buffer
      - .offset:         48
        .size:           4
        .value_kind:     by_value
      - .offset:         52
        .size:           4
        .value_kind:     by_value
      - .offset:         56
        .size:           4
        .value_kind:     by_value
      - .offset:         60
        .size:           1
        .value_kind:     by_value
      - .address_space:  global
        .offset:         64
        .size:           8
        .value_kind:     global_buffer
    .group_segment_fixed_size: 0
    .kernarg_segment_align: 8
    .kernarg_segment_size: 72
    .language:       OpenCL C
    .language_version:
      - 2
      - 0
    .max_flat_workgroup_size: 128
    .name:           _ZN4vllm3moe10topkGatingILi4ELi128ELi4ELi16ELi32EifLNS0_11ScoringFuncE1EEEvPKT5_PKbPfiPT4_PiiiibPKf
    .private_segment_fixed_size: 0
    .sgpr_count:     30
    .sgpr_spill_count: 0
    .symbol:         _ZN4vllm3moe10topkGatingILi4ELi128ELi4ELi16ELi32EifLNS0_11ScoringFuncE1EEEvPKT5_PKbPfiPT4_PiiiibPKf.kd
    .uniform_work_group_size: 1
    .uses_dynamic_stack: false
    .vgpr_count:     28
    .vgpr_spill_count: 0
    .wavefront_size: 64
  - .agpr_count:     0
    .args:
      - .address_space:  global
        .offset:         0
        .size:           8
        .value_kind:     global_buffer
      - .address_space:  global
        .offset:         8
        .size:           8
        .value_kind:     global_buffer
      - .address_space:  global
        .offset:         16
        .size:           8
        .value_kind:     global_buffer
      - .offset:         24
        .size:           4
        .value_kind:     by_value
      - .address_space:  global
        .offset:         32
        .size:           8
        .value_kind:     global_buffer
      - .address_space:  global
        .offset:         40
        .size:           8
        .value_kind:     global_buffer
      - .offset:         48
        .size:           4
        .value_kind:     by_value
      - .offset:         52
        .size:           4
        .value_kind:     by_value
      - .offset:         56
        .size:           4
        .value_kind:     by_value
      - .offset:         60
        .size:           1
        .value_kind:     by_value
      - .address_space:  global
        .offset:         64
        .size:           8
        .value_kind:     global_buffer
    .group_segment_fixed_size: 0
    .kernarg_segment_align: 8
    .kernarg_segment_size: 72
    .language:       OpenCL C
    .language_version:
      - 2
      - 0
    .max_flat_workgroup_size: 256
    .name:           _ZN4vllm3moe10topkGatingILi4ELi256ELi4ELi16ELi64EifLNS0_11ScoringFuncE1EEEvPKT5_PKbPfiPT4_PiiiibPKf
    .private_segment_fixed_size: 0
    .sgpr_count:     30
    .sgpr_spill_count: 0
    .symbol:         _ZN4vllm3moe10topkGatingILi4ELi256ELi4ELi16ELi64EifLNS0_11ScoringFuncE1EEEvPKT5_PKbPfiPT4_PiiiibPKf.kd
    .uniform_work_group_size: 1
    .uses_dynamic_stack: false
    .vgpr_count:     29
    .vgpr_spill_count: 0
    .wavefront_size: 64
  - .agpr_count:     0
    .args:
      - .address_space:  global
        .offset:         0
        .size:           8
        .value_kind:     global_buffer
      - .address_space:  global
        .offset:         8
        .size:           8
        .value_kind:     global_buffer
      - .address_space:  global
        .offset:         16
        .size:           8
        .value_kind:     global_buffer
      - .offset:         24
        .size:           4
        .value_kind:     by_value
      - .address_space:  global
        .offset:         32
        .size:           8
        .value_kind:     global_buffer
      - .address_space:  global
        .offset:         40
        .size:           8
        .value_kind:     global_buffer
      - .offset:         48
        .size:           4
        .value_kind:     by_value
      - .offset:         52
        .size:           4
        .value_kind:     by_value
      - .offset:         56
        .size:           4
        .value_kind:     by_value
      - .offset:         60
        .size:           1
        .value_kind:     by_value
      - .address_space:  global
        .offset:         64
        .size:           8
        .value_kind:     global_buffer
    .group_segment_fixed_size: 0
    .kernarg_segment_align: 8
    .kernarg_segment_size: 72
    .language:       OpenCL C
    .language_version:
      - 2
      - 0
    .max_flat_workgroup_size: 128
    .name:           _ZN4vllm3moe10topkGatingILi8ELi256ELi4ELi16ELi32EifLNS0_11ScoringFuncE1EEEvPKT5_PKbPfiPT4_PiiiibPKf
    .private_segment_fixed_size: 0
    .sgpr_count:     30
    .sgpr_spill_count: 0
    .symbol:         _ZN4vllm3moe10topkGatingILi8ELi256ELi4ELi16ELi32EifLNS0_11ScoringFuncE1EEEvPKT5_PKbPfiPT4_PiiiibPKf.kd
    .uniform_work_group_size: 1
    .uses_dynamic_stack: false
    .vgpr_count:     41
    .vgpr_spill_count: 0
    .wavefront_size: 64
  - .agpr_count:     0
    .args:
      - .address_space:  global
        .offset:         0
        .size:           8
        .value_kind:     global_buffer
      - .address_space:  global
        .offset:         8
        .size:           8
        .value_kind:     global_buffer
      - .address_space:  global
        .offset:         16
        .size:           8
        .value_kind:     global_buffer
      - .offset:         24
        .size:           4
        .value_kind:     by_value
      - .address_space:  global
        .offset:         32
        .size:           8
        .value_kind:     global_buffer
      - .address_space:  global
        .offset:         40
        .size:           8
        .value_kind:     global_buffer
      - .offset:         48
        .size:           4
        .value_kind:     by_value
      - .offset:         52
        .size:           4
        .value_kind:     by_value
      - .offset:         56
        .size:           4
        .value_kind:     by_value
      - .offset:         60
        .size:           1
        .value_kind:     by_value
      - .address_space:  global
        .offset:         64
        .size:           8
        .value_kind:     global_buffer
    .group_segment_fixed_size: 0
    .kernarg_segment_align: 8
    .kernarg_segment_size: 72
    .language:       OpenCL C
    .language_version:
      - 2
      - 0
    .max_flat_workgroup_size: 256
    .name:           _ZN4vllm3moe10topkGatingILi8ELi512ELi4ELi16ELi64EifLNS0_11ScoringFuncE1EEEvPKT5_PKbPfiPT4_PiiiibPKf
    .private_segment_fixed_size: 0
    .sgpr_count:     30
    .sgpr_spill_count: 0
    .symbol:         _ZN4vllm3moe10topkGatingILi8ELi512ELi4ELi16ELi64EifLNS0_11ScoringFuncE1EEEvPKT5_PKbPfiPT4_PiiiibPKf.kd
    .uniform_work_group_size: 1
    .uses_dynamic_stack: false
    .vgpr_count:     42
    .vgpr_spill_count: 0
    .wavefront_size: 64
  - .agpr_count:     0
    .args:
      - .address_space:  global
        .offset:         0
        .size:           8
        .value_kind:     global_buffer
      - .address_space:  global
        .offset:         8
        .size:           8
        .value_kind:     global_buffer
      - .address_space:  global
        .offset:         16
        .size:           8
        .value_kind:     global_buffer
      - .offset:         24
        .size:           4
        .value_kind:     by_value
      - .address_space:  global
        .offset:         32
        .size:           8
        .value_kind:     global_buffer
      - .address_space:  global
        .offset:         40
        .size:           8
        .value_kind:     global_buffer
      - .offset:         48
        .size:           4
        .value_kind:     by_value
      - .offset:         52
        .size:           4
        .value_kind:     by_value
      - .offset:         56
        .size:           4
        .value_kind:     by_value
      - .offset:         60
        .size:           1
        .value_kind:     by_value
      - .address_space:  global
        .offset:         64
        .size:           8
        .value_kind:     global_buffer
    .group_segment_fixed_size: 0
    .kernarg_segment_align: 8
    .kernarg_segment_size: 72
    .language:       OpenCL C
    .language_version:
      - 2
      - 0
    .max_flat_workgroup_size: 128
    .name:           _ZN4vllm3moe10topkGatingILi16ELi512ELi4ELi16ELi32EifLNS0_11ScoringFuncE1EEEvPKT5_PKbPfiPT4_PiiiibPKf
    .private_segment_fixed_size: 0
    .sgpr_count:     30
    .sgpr_spill_count: 0
    .symbol:         _ZN4vllm3moe10topkGatingILi16ELi512ELi4ELi16ELi32EifLNS0_11ScoringFuncE1EEEvPKT5_PKbPfiPT4_PiiiibPKf.kd
    .uniform_work_group_size: 1
    .uses_dynamic_stack: false
    .vgpr_count:     64
    .vgpr_spill_count: 0
    .wavefront_size: 64
  - .agpr_count:     0
    .args:
      - .address_space:  global
        .offset:         0
        .size:           8
        .value_kind:     global_buffer
      - .address_space:  global
        .offset:         8
        .size:           8
        .value_kind:     global_buffer
      - .address_space:  global
        .offset:         16
        .size:           8
        .value_kind:     global_buffer
      - .offset:         24
        .size:           4
        .value_kind:     by_value
    .group_segment_fixed_size: 0
    .kernarg_segment_align: 8
    .kernarg_segment_size: 28
    .language:       OpenCL C
    .language_version:
      - 2
      - 0
    .max_flat_workgroup_size: 256
    .name:           _ZN4vllm3moe10moeSigmoidILi256EfEEvPKT0_PKbPfi
    .private_segment_fixed_size: 0
    .sgpr_count:     18
    .sgpr_spill_count: 0
    .symbol:         _ZN4vllm3moe10moeSigmoidILi256EfEEvPKT0_PKbPfi.kd
    .uniform_work_group_size: 1
    .uses_dynamic_stack: false
    .vgpr_count:     11
    .vgpr_spill_count: 0
    .wavefront_size: 64
  - .agpr_count:     0
    .args:
      - .address_space:  global
        .offset:         0
        .size:           8
        .value_kind:     global_buffer
      - .address_space:  global
        .offset:         8
        .size:           8
        .value_kind:     global_buffer
      - .address_space:  global
        .offset:         16
        .size:           8
        .value_kind:     global_buffer
      - .offset:         24
        .size:           4
        .value_kind:     by_value
      - .address_space:  global
        .offset:         32
        .size:           8
        .value_kind:     global_buffer
      - .address_space:  global
        .offset:         40
        .size:           8
        .value_kind:     global_buffer
      - .offset:         48
        .size:           4
        .value_kind:     by_value
      - .offset:         52
        .size:           4
        .value_kind:     by_value
      - .offset:         56
        .size:           4
        .value_kind:     by_value
      - .offset:         60
        .size:           1
        .value_kind:     by_value
      - .address_space:  global
        .offset:         64
        .size:           8
        .value_kind:     global_buffer
    .group_segment_fixed_size: 0
    .kernarg_segment_align: 8
    .kernarg_segment_size: 72
    .language:       OpenCL C
    .language_version:
      - 2
      - 0
    .max_flat_workgroup_size: 256
    .name:           _ZN4vllm3moe10topkGatingILi1ELi1ELi4ELi4ELi64EjfLNS0_11ScoringFuncE1EEEvPKT5_PKbPfiPT4_PiiiibPKf
    .private_segment_fixed_size: 0
    .sgpr_count:     24
    .sgpr_spill_count: 0
    .symbol:         _ZN4vllm3moe10topkGatingILi1ELi1ELi4ELi4ELi64EjfLNS0_11ScoringFuncE1EEEvPKT5_PKbPfiPT4_PiiiibPKf.kd
    .uniform_work_group_size: 1
    .uses_dynamic_stack: false
    .vgpr_count:     19
    .vgpr_spill_count: 0
    .wavefront_size: 64
  - .agpr_count:     0
    .args:
      - .address_space:  global
        .offset:         0
        .size:           8
        .value_kind:     global_buffer
      - .address_space:  global
        .offset:         8
        .size:           8
        .value_kind:     global_buffer
      - .address_space:  global
        .offset:         16
        .size:           8
        .value_kind:     global_buffer
      - .offset:         24
        .size:           4
        .value_kind:     by_value
      - .address_space:  global
        .offset:         32
        .size:           8
        .value_kind:     global_buffer
      - .address_space:  global
        .offset:         40
        .size:           8
        .value_kind:     global_buffer
      - .offset:         48
        .size:           4
        .value_kind:     by_value
      - .offset:         52
        .size:           4
        .value_kind:     by_value
      - .offset:         56
        .size:           4
        .value_kind:     by_value
      - .offset:         60
        .size:           1
        .value_kind:     by_value
      - .address_space:  global
        .offset:         64
        .size:           8
        .value_kind:     global_buffer
    .group_segment_fixed_size: 0
    .kernarg_segment_align: 8
    .kernarg_segment_size: 72
    .language:       OpenCL C
    .language_version:
      - 2
      - 0
    .max_flat_workgroup_size: 128
    .name:           _ZN4vllm3moe10topkGatingILi1ELi1ELi4ELi4ELi32EjfLNS0_11ScoringFuncE1EEEvPKT5_PKbPfiPT4_PiiiibPKf
    .private_segment_fixed_size: 0
    .sgpr_count:     24
    .sgpr_spill_count: 0
    .symbol:         _ZN4vllm3moe10topkGatingILi1ELi1ELi4ELi4ELi32EjfLNS0_11ScoringFuncE1EEEvPKT5_PKbPfiPT4_PiiiibPKf.kd
    .uniform_work_group_size: 1
    .uses_dynamic_stack: false
    .vgpr_count:     19
    .vgpr_spill_count: 0
    .wavefront_size: 64
  - .agpr_count:     0
    .args:
      - .address_space:  global
        .offset:         0
        .size:           8
        .value_kind:     global_buffer
      - .address_space:  global
        .offset:         8
        .size:           8
        .value_kind:     global_buffer
      - .address_space:  global
        .offset:         16
        .size:           8
        .value_kind:     global_buffer
      - .offset:         24
        .size:           4
        .value_kind:     by_value
      - .address_space:  global
        .offset:         32
        .size:           8
        .value_kind:     global_buffer
      - .address_space:  global
        .offset:         40
        .size:           8
        .value_kind:     global_buffer
      - .offset:         48
        .size:           4
        .value_kind:     by_value
      - .offset:         52
        .size:           4
        .value_kind:     by_value
      - .offset:         56
        .size:           4
        .value_kind:     by_value
      - .offset:         60
        .size:           1
        .value_kind:     by_value
      - .address_space:  global
        .offset:         64
        .size:           8
        .value_kind:     global_buffer
    .group_segment_fixed_size: 0
    .kernarg_segment_align: 8
    .kernarg_segment_size: 72
    .language:       OpenCL C
    .language_version:
      - 2
      - 0
    .max_flat_workgroup_size: 256
    .name:           _ZN4vllm3moe10topkGatingILi2ELi2ELi4ELi8ELi64EjfLNS0_11ScoringFuncE1EEEvPKT5_PKbPfiPT4_PiiiibPKf
    .private_segment_fixed_size: 0
    .sgpr_count:     28
    .sgpr_spill_count: 0
    .symbol:         _ZN4vllm3moe10topkGatingILi2ELi2ELi4ELi8ELi64EjfLNS0_11ScoringFuncE1EEEvPKT5_PKbPfiPT4_PiiiibPKf.kd
    .uniform_work_group_size: 1
    .uses_dynamic_stack: false
    .vgpr_count:     19
    .vgpr_spill_count: 0
    .wavefront_size: 64
  - .agpr_count:     0
    .args:
      - .address_space:  global
        .offset:         0
        .size:           8
        .value_kind:     global_buffer
      - .address_space:  global
        .offset:         8
        .size:           8
        .value_kind:     global_buffer
      - .address_space:  global
        .offset:         16
        .size:           8
        .value_kind:     global_buffer
      - .offset:         24
        .size:           4
        .value_kind:     by_value
      - .address_space:  global
        .offset:         32
        .size:           8
        .value_kind:     global_buffer
      - .address_space:  global
        .offset:         40
        .size:           8
        .value_kind:     global_buffer
      - .offset:         48
        .size:           4
        .value_kind:     by_value
      - .offset:         52
        .size:           4
        .value_kind:     by_value
      - .offset:         56
        .size:           4
        .value_kind:     by_value
      - .offset:         60
        .size:           1
        .value_kind:     by_value
      - .address_space:  global
        .offset:         64
        .size:           8
        .value_kind:     global_buffer
    .group_segment_fixed_size: 0
    .kernarg_segment_align: 8
    .kernarg_segment_size: 72
    .language:       OpenCL C
    .language_version:
      - 2
      - 0
    .max_flat_workgroup_size: 128
    .name:           _ZN4vllm3moe10topkGatingILi2ELi2ELi4ELi8ELi32EjfLNS0_11ScoringFuncE1EEEvPKT5_PKbPfiPT4_PiiiibPKf
    .private_segment_fixed_size: 0
    .sgpr_count:     28
    .sgpr_spill_count: 0
    .symbol:         _ZN4vllm3moe10topkGatingILi2ELi2ELi4ELi8ELi32EjfLNS0_11ScoringFuncE1EEEvPKT5_PKbPfiPT4_PiiiibPKf.kd
    .uniform_work_group_size: 1
    .uses_dynamic_stack: false
    .vgpr_count:     19
    .vgpr_spill_count: 0
    .wavefront_size: 64
  - .agpr_count:     0
    .args:
      - .address_space:  global
        .offset:         0
        .size:           8
        .value_kind:     global_buffer
      - .address_space:  global
        .offset:         8
        .size:           8
        .value_kind:     global_buffer
      - .address_space:  global
        .offset:         16
        .size:           8
        .value_kind:     global_buffer
      - .offset:         24
        .size:           4
        .value_kind:     by_value
      - .address_space:  global
        .offset:         32
        .size:           8
        .value_kind:     global_buffer
      - .address_space:  global
        .offset:         40
        .size:           8
        .value_kind:     global_buffer
      - .offset:         48
        .size:           4
        .value_kind:     by_value
      - .offset:         52
        .size:           4
        .value_kind:     by_value
      - .offset:         56
        .size:           4
        .value_kind:     by_value
      - .offset:         60
        .size:           1
        .value_kind:     by_value
      - .address_space:  global
        .offset:         64
        .size:           8
        .value_kind:     global_buffer
    .group_segment_fixed_size: 0
    .kernarg_segment_align: 8
    .kernarg_segment_size: 72
    .language:       OpenCL C
    .language_version:
      - 2
      - 0
    .max_flat_workgroup_size: 256
    .name:           _ZN4vllm3moe10topkGatingILi4ELi4ELi4ELi16ELi64EjfLNS0_11ScoringFuncE1EEEvPKT5_PKbPfiPT4_PiiiibPKf
    .private_segment_fixed_size: 0
    .sgpr_count:     28
    .sgpr_spill_count: 0
    .symbol:         _ZN4vllm3moe10topkGatingILi4ELi4ELi4ELi16ELi64EjfLNS0_11ScoringFuncE1EEEvPKT5_PKbPfiPT4_PiiiibPKf.kd
    .uniform_work_group_size: 1
    .uses_dynamic_stack: false
    .vgpr_count:     26
    .vgpr_spill_count: 0
    .wavefront_size: 64
  - .agpr_count:     0
    .args:
      - .address_space:  global
        .offset:         0
        .size:           8
        .value_kind:     global_buffer
      - .address_space:  global
        .offset:         8
        .size:           8
        .value_kind:     global_buffer
      - .address_space:  global
        .offset:         16
        .size:           8
        .value_kind:     global_buffer
      - .offset:         24
        .size:           4
        .value_kind:     by_value
      - .address_space:  global
        .offset:         32
        .size:           8
        .value_kind:     global_buffer
      - .address_space:  global
        .offset:         40
        .size:           8
        .value_kind:     global_buffer
      - .offset:         48
        .size:           4
        .value_kind:     by_value
      - .offset:         52
        .size:           4
        .value_kind:     by_value
      - .offset:         56
        .size:           4
        .value_kind:     by_value
      - .offset:         60
        .size:           1
        .value_kind:     by_value
      - .address_space:  global
        .offset:         64
        .size:           8
        .value_kind:     global_buffer
    .group_segment_fixed_size: 0
    .kernarg_segment_align: 8
    .kernarg_segment_size: 72
    .language:       OpenCL C
    .language_version:
      - 2
      - 0
    .max_flat_workgroup_size: 128
    .name:           _ZN4vllm3moe10topkGatingILi4ELi4ELi4ELi16ELi32EjfLNS0_11ScoringFuncE1EEEvPKT5_PKbPfiPT4_PiiiibPKf
    .private_segment_fixed_size: 0
    .sgpr_count:     28
    .sgpr_spill_count: 0
    .symbol:         _ZN4vllm3moe10topkGatingILi4ELi4ELi4ELi16ELi32EjfLNS0_11ScoringFuncE1EEEvPKT5_PKbPfiPT4_PiiiibPKf.kd
    .uniform_work_group_size: 1
    .uses_dynamic_stack: false
    .vgpr_count:     26
    .vgpr_spill_count: 0
    .wavefront_size: 64
  - .agpr_count:     0
    .args:
      - .address_space:  global
        .offset:         0
        .size:           8
        .value_kind:     global_buffer
      - .address_space:  global
        .offset:         8
        .size:           8
        .value_kind:     global_buffer
      - .address_space:  global
        .offset:         16
        .size:           8
        .value_kind:     global_buffer
      - .offset:         24
        .size:           4
        .value_kind:     by_value
      - .address_space:  global
        .offset:         32
        .size:           8
        .value_kind:     global_buffer
      - .address_space:  global
        .offset:         40
        .size:           8
        .value_kind:     global_buffer
      - .offset:         48
        .size:           4
        .value_kind:     by_value
      - .offset:         52
        .size:           4
        .value_kind:     by_value
      - .offset:         56
        .size:           4
        .value_kind:     by_value
      - .offset:         60
        .size:           1
        .value_kind:     by_value
      - .address_space:  global
        .offset:         64
        .size:           8
        .value_kind:     global_buffer
    .group_segment_fixed_size: 0
    .kernarg_segment_align: 8
    .kernarg_segment_size: 72
    .language:       OpenCL C
    .language_version:
      - 2
      - 0
    .max_flat_workgroup_size: 256
    .name:           _ZN4vllm3moe10topkGatingILi4ELi8ELi4ELi16ELi64EjfLNS0_11ScoringFuncE1EEEvPKT5_PKbPfiPT4_PiiiibPKf
    .private_segment_fixed_size: 0
    .sgpr_count:     30
    .sgpr_spill_count: 0
    .symbol:         _ZN4vllm3moe10topkGatingILi4ELi8ELi4ELi16ELi64EjfLNS0_11ScoringFuncE1EEEvPKT5_PKbPfiPT4_PiiiibPKf.kd
    .uniform_work_group_size: 1
    .uses_dynamic_stack: false
    .vgpr_count:     28
    .vgpr_spill_count: 0
    .wavefront_size: 64
  - .agpr_count:     0
    .args:
      - .address_space:  global
        .offset:         0
        .size:           8
        .value_kind:     global_buffer
      - .address_space:  global
        .offset:         8
        .size:           8
        .value_kind:     global_buffer
      - .address_space:  global
        .offset:         16
        .size:           8
        .value_kind:     global_buffer
      - .offset:         24
        .size:           4
        .value_kind:     by_value
      - .address_space:  global
        .offset:         32
        .size:           8
        .value_kind:     global_buffer
      - .address_space:  global
        .offset:         40
        .size:           8
        .value_kind:     global_buffer
      - .offset:         48
        .size:           4
        .value_kind:     by_value
      - .offset:         52
        .size:           4
        .value_kind:     by_value
      - .offset:         56
        .size:           4
        .value_kind:     by_value
      - .offset:         60
        .size:           1
        .value_kind:     by_value
      - .address_space:  global
        .offset:         64
        .size:           8
        .value_kind:     global_buffer
    .group_segment_fixed_size: 0
    .kernarg_segment_align: 8
    .kernarg_segment_size: 72
    .language:       OpenCL C
    .language_version:
      - 2
      - 0
    .max_flat_workgroup_size: 128
    .name:           _ZN4vllm3moe10topkGatingILi4ELi8ELi4ELi16ELi32EjfLNS0_11ScoringFuncE1EEEvPKT5_PKbPfiPT4_PiiiibPKf
    .private_segment_fixed_size: 0
    .sgpr_count:     30
    .sgpr_spill_count: 0
    .symbol:         _ZN4vllm3moe10topkGatingILi4ELi8ELi4ELi16ELi32EjfLNS0_11ScoringFuncE1EEEvPKT5_PKbPfiPT4_PiiiibPKf.kd
    .uniform_work_group_size: 1
    .uses_dynamic_stack: false
    .vgpr_count:     28
    .vgpr_spill_count: 0
    .wavefront_size: 64
  - .agpr_count:     0
    .args:
      - .address_space:  global
        .offset:         0
        .size:           8
        .value_kind:     global_buffer
      - .address_space:  global
        .offset:         8
        .size:           8
        .value_kind:     global_buffer
      - .address_space:  global
        .offset:         16
        .size:           8
        .value_kind:     global_buffer
      - .offset:         24
        .size:           4
        .value_kind:     by_value
      - .address_space:  global
        .offset:         32
        .size:           8
        .value_kind:     global_buffer
      - .address_space:  global
        .offset:         40
        .size:           8
        .value_kind:     global_buffer
      - .offset:         48
        .size:           4
        .value_kind:     by_value
      - .offset:         52
        .size:           4
        .value_kind:     by_value
      - .offset:         56
        .size:           4
        .value_kind:     by_value
      - .offset:         60
        .size:           1
        .value_kind:     by_value
      - .address_space:  global
        .offset:         64
        .size:           8
        .value_kind:     global_buffer
    .group_segment_fixed_size: 0
    .kernarg_segment_align: 8
    .kernarg_segment_size: 72
    .language:       OpenCL C
    .language_version:
      - 2
      - 0
    .max_flat_workgroup_size: 256
    .name:           _ZN4vllm3moe10topkGatingILi4ELi16ELi4ELi16ELi64EjfLNS0_11ScoringFuncE1EEEvPKT5_PKbPfiPT4_PiiiibPKf
    .private_segment_fixed_size: 0
    .sgpr_count:     30
    .sgpr_spill_count: 0
    .symbol:         _ZN4vllm3moe10topkGatingILi4ELi16ELi4ELi16ELi64EjfLNS0_11ScoringFuncE1EEEvPKT5_PKbPfiPT4_PiiiibPKf.kd
    .uniform_work_group_size: 1
    .uses_dynamic_stack: false
    .vgpr_count:     28
    .vgpr_spill_count: 0
    .wavefront_size: 64
  - .agpr_count:     0
    .args:
      - .address_space:  global
        .offset:         0
        .size:           8
        .value_kind:     global_buffer
      - .address_space:  global
        .offset:         8
        .size:           8
        .value_kind:     global_buffer
      - .address_space:  global
        .offset:         16
        .size:           8
        .value_kind:     global_buffer
      - .offset:         24
        .size:           4
        .value_kind:     by_value
      - .address_space:  global
        .offset:         32
        .size:           8
        .value_kind:     global_buffer
      - .address_space:  global
        .offset:         40
        .size:           8
        .value_kind:     global_buffer
      - .offset:         48
        .size:           4
        .value_kind:     by_value
      - .offset:         52
        .size:           4
        .value_kind:     by_value
      - .offset:         56
        .size:           4
        .value_kind:     by_value
      - .offset:         60
        .size:           1
        .value_kind:     by_value
      - .address_space:  global
        .offset:         64
        .size:           8
        .value_kind:     global_buffer
    .group_segment_fixed_size: 0
    .kernarg_segment_align: 8
    .kernarg_segment_size: 72
    .language:       OpenCL C
    .language_version:
      - 2
      - 0
    .max_flat_workgroup_size: 128
    .name:           _ZN4vllm3moe10topkGatingILi4ELi16ELi4ELi16ELi32EjfLNS0_11ScoringFuncE1EEEvPKT5_PKbPfiPT4_PiiiibPKf
    .private_segment_fixed_size: 0
    .sgpr_count:     30
    .sgpr_spill_count: 0
    .symbol:         _ZN4vllm3moe10topkGatingILi4ELi16ELi4ELi16ELi32EjfLNS0_11ScoringFuncE1EEEvPKT5_PKbPfiPT4_PiiiibPKf.kd
    .uniform_work_group_size: 1
    .uses_dynamic_stack: false
    .vgpr_count:     28
    .vgpr_spill_count: 0
    .wavefront_size: 64
  - .agpr_count:     0
    .args:
      - .address_space:  global
        .offset:         0
        .size:           8
        .value_kind:     global_buffer
      - .address_space:  global
        .offset:         8
        .size:           8
        .value_kind:     global_buffer
      - .address_space:  global
        .offset:         16
        .size:           8
        .value_kind:     global_buffer
      - .offset:         24
        .size:           4
        .value_kind:     by_value
      - .address_space:  global
        .offset:         32
        .size:           8
        .value_kind:     global_buffer
      - .address_space:  global
        .offset:         40
        .size:           8
        .value_kind:     global_buffer
      - .offset:         48
        .size:           4
        .value_kind:     by_value
      - .offset:         52
        .size:           4
        .value_kind:     by_value
      - .offset:         56
        .size:           4
        .value_kind:     by_value
      - .offset:         60
        .size:           1
        .value_kind:     by_value
      - .address_space:  global
        .offset:         64
        .size:           8
        .value_kind:     global_buffer
    .group_segment_fixed_size: 0
    .kernarg_segment_align: 8
    .kernarg_segment_size: 72
    .language:       OpenCL C
    .language_version:
      - 2
      - 0
    .max_flat_workgroup_size: 256
    .name:           _ZN4vllm3moe10topkGatingILi4ELi32ELi4ELi16ELi64EjfLNS0_11ScoringFuncE1EEEvPKT5_PKbPfiPT4_PiiiibPKf
    .private_segment_fixed_size: 0
    .sgpr_count:     30
    .sgpr_spill_count: 0
    .symbol:         _ZN4vllm3moe10topkGatingILi4ELi32ELi4ELi16ELi64EjfLNS0_11ScoringFuncE1EEEvPKT5_PKbPfiPT4_PiiiibPKf.kd
    .uniform_work_group_size: 1
    .uses_dynamic_stack: false
    .vgpr_count:     28
    .vgpr_spill_count: 0
    .wavefront_size: 64
  - .agpr_count:     0
    .args:
      - .address_space:  global
        .offset:         0
        .size:           8
        .value_kind:     global_buffer
      - .address_space:  global
        .offset:         8
        .size:           8
        .value_kind:     global_buffer
      - .address_space:  global
        .offset:         16
        .size:           8
        .value_kind:     global_buffer
      - .offset:         24
        .size:           4
        .value_kind:     by_value
      - .address_space:  global
        .offset:         32
        .size:           8
        .value_kind:     global_buffer
      - .address_space:  global
        .offset:         40
        .size:           8
        .value_kind:     global_buffer
      - .offset:         48
        .size:           4
        .value_kind:     by_value
      - .offset:         52
        .size:           4
        .value_kind:     by_value
      - .offset:         56
        .size:           4
        .value_kind:     by_value
      - .offset:         60
        .size:           1
        .value_kind:     by_value
      - .address_space:  global
        .offset:         64
        .size:           8
        .value_kind:     global_buffer
    .group_segment_fixed_size: 0
    .kernarg_segment_align: 8
    .kernarg_segment_size: 72
    .language:       OpenCL C
    .language_version:
      - 2
      - 0
    .max_flat_workgroup_size: 128
    .name:           _ZN4vllm3moe10topkGatingILi4ELi32ELi4ELi16ELi32EjfLNS0_11ScoringFuncE1EEEvPKT5_PKbPfiPT4_PiiiibPKf
    .private_segment_fixed_size: 0
    .sgpr_count:     30
    .sgpr_spill_count: 0
    .symbol:         _ZN4vllm3moe10topkGatingILi4ELi32ELi4ELi16ELi32EjfLNS0_11ScoringFuncE1EEEvPKT5_PKbPfiPT4_PiiiibPKf.kd
    .uniform_work_group_size: 1
    .uses_dynamic_stack: false
    .vgpr_count:     28
    .vgpr_spill_count: 0
    .wavefront_size: 64
  - .agpr_count:     0
    .args:
      - .address_space:  global
        .offset:         0
        .size:           8
        .value_kind:     global_buffer
      - .address_space:  global
        .offset:         8
        .size:           8
        .value_kind:     global_buffer
      - .address_space:  global
        .offset:         16
        .size:           8
        .value_kind:     global_buffer
      - .offset:         24
        .size:           4
        .value_kind:     by_value
      - .address_space:  global
        .offset:         32
        .size:           8
        .value_kind:     global_buffer
      - .address_space:  global
        .offset:         40
        .size:           8
        .value_kind:     global_buffer
      - .offset:         48
        .size:           4
        .value_kind:     by_value
      - .offset:         52
        .size:           4
        .value_kind:     by_value
      - .offset:         56
        .size:           4
        .value_kind:     by_value
      - .offset:         60
        .size:           1
        .value_kind:     by_value
      - .address_space:  global
        .offset:         64
        .size:           8
        .value_kind:     global_buffer
    .group_segment_fixed_size: 0
    .kernarg_segment_align: 8
    .kernarg_segment_size: 72
    .language:       OpenCL C
    .language_version:
      - 2
      - 0
    .max_flat_workgroup_size: 256
    .name:           _ZN4vllm3moe10topkGatingILi4ELi64ELi4ELi16ELi64EjfLNS0_11ScoringFuncE1EEEvPKT5_PKbPfiPT4_PiiiibPKf
    .private_segment_fixed_size: 0
    .sgpr_count:     30
    .sgpr_spill_count: 0
    .symbol:         _ZN4vllm3moe10topkGatingILi4ELi64ELi4ELi16ELi64EjfLNS0_11ScoringFuncE1EEEvPKT5_PKbPfiPT4_PiiiibPKf.kd
    .uniform_work_group_size: 1
    .uses_dynamic_stack: false
    .vgpr_count:     28
    .vgpr_spill_count: 0
    .wavefront_size: 64
  - .agpr_count:     0
    .args:
      - .address_space:  global
        .offset:         0
        .size:           8
        .value_kind:     global_buffer
      - .address_space:  global
        .offset:         8
        .size:           8
        .value_kind:     global_buffer
      - .address_space:  global
        .offset:         16
        .size:           8
        .value_kind:     global_buffer
      - .offset:         24
        .size:           4
        .value_kind:     by_value
      - .address_space:  global
        .offset:         32
        .size:           8
        .value_kind:     global_buffer
      - .address_space:  global
        .offset:         40
        .size:           8
        .value_kind:     global_buffer
      - .offset:         48
        .size:           4
        .value_kind:     by_value
      - .offset:         52
        .size:           4
        .value_kind:     by_value
      - .offset:         56
        .size:           4
        .value_kind:     by_value
      - .offset:         60
        .size:           1
        .value_kind:     by_value
      - .address_space:  global
        .offset:         64
        .size:           8
        .value_kind:     global_buffer
    .group_segment_fixed_size: 0
    .kernarg_segment_align: 8
    .kernarg_segment_size: 72
    .language:       OpenCL C
    .language_version:
      - 2
      - 0
    .max_flat_workgroup_size: 128
    .name:           _ZN4vllm3moe10topkGatingILi4ELi64ELi4ELi16ELi32EjfLNS0_11ScoringFuncE1EEEvPKT5_PKbPfiPT4_PiiiibPKf
    .private_segment_fixed_size: 0
    .sgpr_count:     30
    .sgpr_spill_count: 0
    .symbol:         _ZN4vllm3moe10topkGatingILi4ELi64ELi4ELi16ELi32EjfLNS0_11ScoringFuncE1EEEvPKT5_PKbPfiPT4_PiiiibPKf.kd
    .uniform_work_group_size: 1
    .uses_dynamic_stack: false
    .vgpr_count:     28
    .vgpr_spill_count: 0
    .wavefront_size: 64
  - .agpr_count:     0
    .args:
      - .address_space:  global
        .offset:         0
        .size:           8
        .value_kind:     global_buffer
      - .address_space:  global
        .offset:         8
        .size:           8
        .value_kind:     global_buffer
      - .address_space:  global
        .offset:         16
        .size:           8
        .value_kind:     global_buffer
      - .offset:         24
        .size:           4
        .value_kind:     by_value
      - .address_space:  global
        .offset:         32
        .size:           8
        .value_kind:     global_buffer
      - .address_space:  global
        .offset:         40
        .size:           8
        .value_kind:     global_buffer
      - .offset:         48
        .size:           4
        .value_kind:     by_value
      - .offset:         52
        .size:           4
        .value_kind:     by_value
      - .offset:         56
        .size:           4
        .value_kind:     by_value
      - .offset:         60
        .size:           1
        .value_kind:     by_value
      - .address_space:  global
        .offset:         64
        .size:           8
        .value_kind:     global_buffer
    .group_segment_fixed_size: 0
    .kernarg_segment_align: 8
    .kernarg_segment_size: 72
    .language:       OpenCL C
    .language_version:
      - 2
      - 0
    .max_flat_workgroup_size: 256
    .name:           _ZN4vllm3moe10topkGatingILi4ELi128ELi4ELi16ELi64EjfLNS0_11ScoringFuncE1EEEvPKT5_PKbPfiPT4_PiiiibPKf
    .private_segment_fixed_size: 0
    .sgpr_count:     30
    .sgpr_spill_count: 0
    .symbol:         _ZN4vllm3moe10topkGatingILi4ELi128ELi4ELi16ELi64EjfLNS0_11ScoringFuncE1EEEvPKT5_PKbPfiPT4_PiiiibPKf.kd
    .uniform_work_group_size: 1
    .uses_dynamic_stack: false
    .vgpr_count:     28
    .vgpr_spill_count: 0
    .wavefront_size: 64
  - .agpr_count:     0
    .args:
      - .address_space:  global
        .offset:         0
        .size:           8
        .value_kind:     global_buffer
      - .address_space:  global
        .offset:         8
        .size:           8
        .value_kind:     global_buffer
      - .address_space:  global
        .offset:         16
        .size:           8
        .value_kind:     global_buffer
      - .offset:         24
        .size:           4
        .value_kind:     by_value
      - .address_space:  global
        .offset:         32
        .size:           8
        .value_kind:     global_buffer
      - .address_space:  global
        .offset:         40
        .size:           8
        .value_kind:     global_buffer
      - .offset:         48
        .size:           4
        .value_kind:     by_value
      - .offset:         52
        .size:           4
        .value_kind:     by_value
      - .offset:         56
        .size:           4
        .value_kind:     by_value
      - .offset:         60
        .size:           1
        .value_kind:     by_value
      - .address_space:  global
        .offset:         64
        .size:           8
        .value_kind:     global_buffer
    .group_segment_fixed_size: 0
    .kernarg_segment_align: 8
    .kernarg_segment_size: 72
    .language:       OpenCL C
    .language_version:
      - 2
      - 0
    .max_flat_workgroup_size: 128
    .name:           _ZN4vllm3moe10topkGatingILi4ELi128ELi4ELi16ELi32EjfLNS0_11ScoringFuncE1EEEvPKT5_PKbPfiPT4_PiiiibPKf
    .private_segment_fixed_size: 0
    .sgpr_count:     30
    .sgpr_spill_count: 0
    .symbol:         _ZN4vllm3moe10topkGatingILi4ELi128ELi4ELi16ELi32EjfLNS0_11ScoringFuncE1EEEvPKT5_PKbPfiPT4_PiiiibPKf.kd
    .uniform_work_group_size: 1
    .uses_dynamic_stack: false
    .vgpr_count:     28
    .vgpr_spill_count: 0
    .wavefront_size: 64
  - .agpr_count:     0
    .args:
      - .address_space:  global
        .offset:         0
        .size:           8
        .value_kind:     global_buffer
      - .address_space:  global
        .offset:         8
        .size:           8
        .value_kind:     global_buffer
      - .address_space:  global
        .offset:         16
        .size:           8
        .value_kind:     global_buffer
      - .offset:         24
        .size:           4
        .value_kind:     by_value
      - .address_space:  global
        .offset:         32
        .size:           8
        .value_kind:     global_buffer
      - .address_space:  global
        .offset:         40
        .size:           8
        .value_kind:     global_buffer
      - .offset:         48
        .size:           4
        .value_kind:     by_value
      - .offset:         52
        .size:           4
        .value_kind:     by_value
      - .offset:         56
        .size:           4
        .value_kind:     by_value
      - .offset:         60
        .size:           1
        .value_kind:     by_value
      - .address_space:  global
        .offset:         64
        .size:           8
        .value_kind:     global_buffer
    .group_segment_fixed_size: 0
    .kernarg_segment_align: 8
    .kernarg_segment_size: 72
    .language:       OpenCL C
    .language_version:
      - 2
      - 0
    .max_flat_workgroup_size: 256
    .name:           _ZN4vllm3moe10topkGatingILi4ELi256ELi4ELi16ELi64EjfLNS0_11ScoringFuncE1EEEvPKT5_PKbPfiPT4_PiiiibPKf
    .private_segment_fixed_size: 0
    .sgpr_count:     30
    .sgpr_spill_count: 0
    .symbol:         _ZN4vllm3moe10topkGatingILi4ELi256ELi4ELi16ELi64EjfLNS0_11ScoringFuncE1EEEvPKT5_PKbPfiPT4_PiiiibPKf.kd
    .uniform_work_group_size: 1
    .uses_dynamic_stack: false
    .vgpr_count:     29
    .vgpr_spill_count: 0
    .wavefront_size: 64
  - .agpr_count:     0
    .args:
      - .address_space:  global
        .offset:         0
        .size:           8
        .value_kind:     global_buffer
      - .address_space:  global
        .offset:         8
        .size:           8
        .value_kind:     global_buffer
      - .address_space:  global
        .offset:         16
        .size:           8
        .value_kind:     global_buffer
      - .offset:         24
        .size:           4
        .value_kind:     by_value
      - .address_space:  global
        .offset:         32
        .size:           8
        .value_kind:     global_buffer
      - .address_space:  global
        .offset:         40
        .size:           8
        .value_kind:     global_buffer
      - .offset:         48
        .size:           4
        .value_kind:     by_value
      - .offset:         52
        .size:           4
        .value_kind:     by_value
      - .offset:         56
        .size:           4
        .value_kind:     by_value
      - .offset:         60
        .size:           1
        .value_kind:     by_value
      - .address_space:  global
        .offset:         64
        .size:           8
        .value_kind:     global_buffer
    .group_segment_fixed_size: 0
    .kernarg_segment_align: 8
    .kernarg_segment_size: 72
    .language:       OpenCL C
    .language_version:
      - 2
      - 0
    .max_flat_workgroup_size: 128
    .name:           _ZN4vllm3moe10topkGatingILi8ELi256ELi4ELi16ELi32EjfLNS0_11ScoringFuncE1EEEvPKT5_PKbPfiPT4_PiiiibPKf
    .private_segment_fixed_size: 0
    .sgpr_count:     30
    .sgpr_spill_count: 0
    .symbol:         _ZN4vllm3moe10topkGatingILi8ELi256ELi4ELi16ELi32EjfLNS0_11ScoringFuncE1EEEvPKT5_PKbPfiPT4_PiiiibPKf.kd
    .uniform_work_group_size: 1
    .uses_dynamic_stack: false
    .vgpr_count:     41
    .vgpr_spill_count: 0
    .wavefront_size: 64
  - .agpr_count:     0
    .args:
      - .address_space:  global
        .offset:         0
        .size:           8
        .value_kind:     global_buffer
      - .address_space:  global
        .offset:         8
        .size:           8
        .value_kind:     global_buffer
      - .address_space:  global
        .offset:         16
        .size:           8
        .value_kind:     global_buffer
      - .offset:         24
        .size:           4
        .value_kind:     by_value
      - .address_space:  global
        .offset:         32
        .size:           8
        .value_kind:     global_buffer
      - .address_space:  global
        .offset:         40
        .size:           8
        .value_kind:     global_buffer
      - .offset:         48
        .size:           4
        .value_kind:     by_value
      - .offset:         52
        .size:           4
        .value_kind:     by_value
      - .offset:         56
        .size:           4
        .value_kind:     by_value
      - .offset:         60
        .size:           1
        .value_kind:     by_value
      - .address_space:  global
        .offset:         64
        .size:           8
        .value_kind:     global_buffer
    .group_segment_fixed_size: 0
    .kernarg_segment_align: 8
    .kernarg_segment_size: 72
    .language:       OpenCL C
    .language_version:
      - 2
      - 0
    .max_flat_workgroup_size: 256
    .name:           _ZN4vllm3moe10topkGatingILi8ELi512ELi4ELi16ELi64EjfLNS0_11ScoringFuncE1EEEvPKT5_PKbPfiPT4_PiiiibPKf
    .private_segment_fixed_size: 0
    .sgpr_count:     30
    .sgpr_spill_count: 0
    .symbol:         _ZN4vllm3moe10topkGatingILi8ELi512ELi4ELi16ELi64EjfLNS0_11ScoringFuncE1EEEvPKT5_PKbPfiPT4_PiiiibPKf.kd
    .uniform_work_group_size: 1
    .uses_dynamic_stack: false
    .vgpr_count:     42
    .vgpr_spill_count: 0
    .wavefront_size: 64
  - .agpr_count:     0
    .args:
      - .address_space:  global
        .offset:         0
        .size:           8
        .value_kind:     global_buffer
      - .address_space:  global
        .offset:         8
        .size:           8
        .value_kind:     global_buffer
      - .address_space:  global
        .offset:         16
        .size:           8
        .value_kind:     global_buffer
      - .offset:         24
        .size:           4
        .value_kind:     by_value
      - .address_space:  global
        .offset:         32
        .size:           8
        .value_kind:     global_buffer
      - .address_space:  global
        .offset:         40
        .size:           8
        .value_kind:     global_buffer
      - .offset:         48
        .size:           4
        .value_kind:     by_value
      - .offset:         52
        .size:           4
        .value_kind:     by_value
      - .offset:         56
        .size:           4
        .value_kind:     by_value
      - .offset:         60
        .size:           1
        .value_kind:     by_value
      - .address_space:  global
        .offset:         64
        .size:           8
        .value_kind:     global_buffer
    .group_segment_fixed_size: 0
    .kernarg_segment_align: 8
    .kernarg_segment_size: 72
    .language:       OpenCL C
    .language_version:
      - 2
      - 0
    .max_flat_workgroup_size: 128
    .name:           _ZN4vllm3moe10topkGatingILi16ELi512ELi4ELi16ELi32EjfLNS0_11ScoringFuncE1EEEvPKT5_PKbPfiPT4_PiiiibPKf
    .private_segment_fixed_size: 0
    .sgpr_count:     30
    .sgpr_spill_count: 0
    .symbol:         _ZN4vllm3moe10topkGatingILi16ELi512ELi4ELi16ELi32EjfLNS0_11ScoringFuncE1EEEvPKT5_PKbPfiPT4_PiiiibPKf.kd
    .uniform_work_group_size: 1
    .uses_dynamic_stack: false
    .vgpr_count:     64
    .vgpr_spill_count: 0
    .wavefront_size: 64
  - .agpr_count:     0
    .args:
      - .address_space:  global
        .offset:         0
        .size:           8
        .value_kind:     global_buffer
      - .address_space:  global
        .offset:         8
        .size:           8
        .value_kind:     global_buffer
      - .address_space:  global
        .offset:         16
        .size:           8
        .value_kind:     global_buffer
      - .offset:         24
        .size:           4
        .value_kind:     by_value
      - .address_space:  global
        .offset:         32
        .size:           8
        .value_kind:     global_buffer
      - .address_space:  global
        .offset:         40
        .size:           8
        .value_kind:     global_buffer
      - .offset:         48
        .size:           4
        .value_kind:     by_value
      - .offset:         52
        .size:           4
        .value_kind:     by_value
      - .offset:         56
        .size:           4
        .value_kind:     by_value
      - .offset:         60
        .size:           1
        .value_kind:     by_value
      - .address_space:  global
        .offset:         64
        .size:           8
        .value_kind:     global_buffer
    .group_segment_fixed_size: 0
    .kernarg_segment_align: 8
    .kernarg_segment_size: 72
    .language:       OpenCL C
    .language_version:
      - 2
      - 0
    .max_flat_workgroup_size: 256
    .name:           _ZN4vllm3moe10topkGatingILi1ELi1ELi4ELi4ELi64ElfLNS0_11ScoringFuncE1EEEvPKT5_PKbPfiPT4_PiiiibPKf
    .private_segment_fixed_size: 0
    .sgpr_count:     24
    .sgpr_spill_count: 0
    .symbol:         _ZN4vllm3moe10topkGatingILi1ELi1ELi4ELi4ELi64ElfLNS0_11ScoringFuncE1EEEvPKT5_PKbPfiPT4_PiiiibPKf.kd
    .uniform_work_group_size: 1
    .uses_dynamic_stack: false
    .vgpr_count:     19
    .vgpr_spill_count: 0
    .wavefront_size: 64
  - .agpr_count:     0
    .args:
      - .address_space:  global
        .offset:         0
        .size:           8
        .value_kind:     global_buffer
      - .address_space:  global
        .offset:         8
        .size:           8
        .value_kind:     global_buffer
      - .address_space:  global
        .offset:         16
        .size:           8
        .value_kind:     global_buffer
      - .offset:         24
        .size:           4
        .value_kind:     by_value
      - .address_space:  global
        .offset:         32
        .size:           8
        .value_kind:     global_buffer
      - .address_space:  global
        .offset:         40
        .size:           8
        .value_kind:     global_buffer
      - .offset:         48
        .size:           4
        .value_kind:     by_value
      - .offset:         52
        .size:           4
        .value_kind:     by_value
      - .offset:         56
        .size:           4
        .value_kind:     by_value
      - .offset:         60
        .size:           1
        .value_kind:     by_value
      - .address_space:  global
        .offset:         64
        .size:           8
        .value_kind:     global_buffer
    .group_segment_fixed_size: 0
    .kernarg_segment_align: 8
    .kernarg_segment_size: 72
    .language:       OpenCL C
    .language_version:
      - 2
      - 0
    .max_flat_workgroup_size: 128
    .name:           _ZN4vllm3moe10topkGatingILi1ELi1ELi4ELi4ELi32ElfLNS0_11ScoringFuncE1EEEvPKT5_PKbPfiPT4_PiiiibPKf
    .private_segment_fixed_size: 0
    .sgpr_count:     24
    .sgpr_spill_count: 0
    .symbol:         _ZN4vllm3moe10topkGatingILi1ELi1ELi4ELi4ELi32ElfLNS0_11ScoringFuncE1EEEvPKT5_PKbPfiPT4_PiiiibPKf.kd
    .uniform_work_group_size: 1
    .uses_dynamic_stack: false
    .vgpr_count:     19
    .vgpr_spill_count: 0
    .wavefront_size: 64
  - .agpr_count:     0
    .args:
      - .address_space:  global
        .offset:         0
        .size:           8
        .value_kind:     global_buffer
      - .address_space:  global
        .offset:         8
        .size:           8
        .value_kind:     global_buffer
      - .address_space:  global
        .offset:         16
        .size:           8
        .value_kind:     global_buffer
      - .offset:         24
        .size:           4
        .value_kind:     by_value
      - .address_space:  global
        .offset:         32
        .size:           8
        .value_kind:     global_buffer
      - .address_space:  global
        .offset:         40
        .size:           8
        .value_kind:     global_buffer
      - .offset:         48
        .size:           4
        .value_kind:     by_value
      - .offset:         52
        .size:           4
        .value_kind:     by_value
      - .offset:         56
        .size:           4
        .value_kind:     by_value
      - .offset:         60
        .size:           1
        .value_kind:     by_value
      - .address_space:  global
        .offset:         64
        .size:           8
        .value_kind:     global_buffer
    .group_segment_fixed_size: 0
    .kernarg_segment_align: 8
    .kernarg_segment_size: 72
    .language:       OpenCL C
    .language_version:
      - 2
      - 0
    .max_flat_workgroup_size: 256
    .name:           _ZN4vllm3moe10topkGatingILi2ELi2ELi4ELi8ELi64ElfLNS0_11ScoringFuncE1EEEvPKT5_PKbPfiPT4_PiiiibPKf
    .private_segment_fixed_size: 0
    .sgpr_count:     28
    .sgpr_spill_count: 0
    .symbol:         _ZN4vllm3moe10topkGatingILi2ELi2ELi4ELi8ELi64ElfLNS0_11ScoringFuncE1EEEvPKT5_PKbPfiPT4_PiiiibPKf.kd
    .uniform_work_group_size: 1
    .uses_dynamic_stack: false
    .vgpr_count:     19
    .vgpr_spill_count: 0
    .wavefront_size: 64
  - .agpr_count:     0
    .args:
      - .address_space:  global
        .offset:         0
        .size:           8
        .value_kind:     global_buffer
      - .address_space:  global
        .offset:         8
        .size:           8
        .value_kind:     global_buffer
      - .address_space:  global
        .offset:         16
        .size:           8
        .value_kind:     global_buffer
      - .offset:         24
        .size:           4
        .value_kind:     by_value
      - .address_space:  global
        .offset:         32
        .size:           8
        .value_kind:     global_buffer
      - .address_space:  global
        .offset:         40
        .size:           8
        .value_kind:     global_buffer
      - .offset:         48
        .size:           4
        .value_kind:     by_value
      - .offset:         52
        .size:           4
        .value_kind:     by_value
      - .offset:         56
        .size:           4
        .value_kind:     by_value
      - .offset:         60
        .size:           1
        .value_kind:     by_value
      - .address_space:  global
        .offset:         64
        .size:           8
        .value_kind:     global_buffer
    .group_segment_fixed_size: 0
    .kernarg_segment_align: 8
    .kernarg_segment_size: 72
    .language:       OpenCL C
    .language_version:
      - 2
      - 0
    .max_flat_workgroup_size: 128
    .name:           _ZN4vllm3moe10topkGatingILi2ELi2ELi4ELi8ELi32ElfLNS0_11ScoringFuncE1EEEvPKT5_PKbPfiPT4_PiiiibPKf
    .private_segment_fixed_size: 0
    .sgpr_count:     28
    .sgpr_spill_count: 0
    .symbol:         _ZN4vllm3moe10topkGatingILi2ELi2ELi4ELi8ELi32ElfLNS0_11ScoringFuncE1EEEvPKT5_PKbPfiPT4_PiiiibPKf.kd
    .uniform_work_group_size: 1
    .uses_dynamic_stack: false
    .vgpr_count:     19
    .vgpr_spill_count: 0
    .wavefront_size: 64
  - .agpr_count:     0
    .args:
      - .address_space:  global
        .offset:         0
        .size:           8
        .value_kind:     global_buffer
      - .address_space:  global
        .offset:         8
        .size:           8
        .value_kind:     global_buffer
      - .address_space:  global
        .offset:         16
        .size:           8
        .value_kind:     global_buffer
      - .offset:         24
        .size:           4
        .value_kind:     by_value
      - .address_space:  global
        .offset:         32
        .size:           8
        .value_kind:     global_buffer
      - .address_space:  global
        .offset:         40
        .size:           8
        .value_kind:     global_buffer
      - .offset:         48
        .size:           4
        .value_kind:     by_value
      - .offset:         52
        .size:           4
        .value_kind:     by_value
      - .offset:         56
        .size:           4
        .value_kind:     by_value
      - .offset:         60
        .size:           1
        .value_kind:     by_value
      - .address_space:  global
        .offset:         64
        .size:           8
        .value_kind:     global_buffer
    .group_segment_fixed_size: 0
    .kernarg_segment_align: 8
    .kernarg_segment_size: 72
    .language:       OpenCL C
    .language_version:
      - 2
      - 0
    .max_flat_workgroup_size: 256
    .name:           _ZN4vllm3moe10topkGatingILi4ELi4ELi4ELi16ELi64ElfLNS0_11ScoringFuncE1EEEvPKT5_PKbPfiPT4_PiiiibPKf
    .private_segment_fixed_size: 0
    .sgpr_count:     28
    .sgpr_spill_count: 0
    .symbol:         _ZN4vllm3moe10topkGatingILi4ELi4ELi4ELi16ELi64ElfLNS0_11ScoringFuncE1EEEvPKT5_PKbPfiPT4_PiiiibPKf.kd
    .uniform_work_group_size: 1
    .uses_dynamic_stack: false
    .vgpr_count:     26
    .vgpr_spill_count: 0
    .wavefront_size: 64
  - .agpr_count:     0
    .args:
      - .address_space:  global
        .offset:         0
        .size:           8
        .value_kind:     global_buffer
      - .address_space:  global
        .offset:         8
        .size:           8
        .value_kind:     global_buffer
      - .address_space:  global
        .offset:         16
        .size:           8
        .value_kind:     global_buffer
      - .offset:         24
        .size:           4
        .value_kind:     by_value
      - .address_space:  global
        .offset:         32
        .size:           8
        .value_kind:     global_buffer
      - .address_space:  global
        .offset:         40
        .size:           8
        .value_kind:     global_buffer
      - .offset:         48
        .size:           4
        .value_kind:     by_value
      - .offset:         52
        .size:           4
        .value_kind:     by_value
      - .offset:         56
        .size:           4
        .value_kind:     by_value
      - .offset:         60
        .size:           1
        .value_kind:     by_value
      - .address_space:  global
        .offset:         64
        .size:           8
        .value_kind:     global_buffer
    .group_segment_fixed_size: 0
    .kernarg_segment_align: 8
    .kernarg_segment_size: 72
    .language:       OpenCL C
    .language_version:
      - 2
      - 0
    .max_flat_workgroup_size: 128
    .name:           _ZN4vllm3moe10topkGatingILi4ELi4ELi4ELi16ELi32ElfLNS0_11ScoringFuncE1EEEvPKT5_PKbPfiPT4_PiiiibPKf
    .private_segment_fixed_size: 0
    .sgpr_count:     28
    .sgpr_spill_count: 0
    .symbol:         _ZN4vllm3moe10topkGatingILi4ELi4ELi4ELi16ELi32ElfLNS0_11ScoringFuncE1EEEvPKT5_PKbPfiPT4_PiiiibPKf.kd
    .uniform_work_group_size: 1
    .uses_dynamic_stack: false
    .vgpr_count:     26
    .vgpr_spill_count: 0
    .wavefront_size: 64
  - .agpr_count:     0
    .args:
      - .address_space:  global
        .offset:         0
        .size:           8
        .value_kind:     global_buffer
      - .address_space:  global
        .offset:         8
        .size:           8
        .value_kind:     global_buffer
      - .address_space:  global
        .offset:         16
        .size:           8
        .value_kind:     global_buffer
      - .offset:         24
        .size:           4
        .value_kind:     by_value
      - .address_space:  global
        .offset:         32
        .size:           8
        .value_kind:     global_buffer
      - .address_space:  global
        .offset:         40
        .size:           8
        .value_kind:     global_buffer
      - .offset:         48
        .size:           4
        .value_kind:     by_value
      - .offset:         52
        .size:           4
        .value_kind:     by_value
      - .offset:         56
        .size:           4
        .value_kind:     by_value
      - .offset:         60
        .size:           1
        .value_kind:     by_value
      - .address_space:  global
        .offset:         64
        .size:           8
        .value_kind:     global_buffer
    .group_segment_fixed_size: 0
    .kernarg_segment_align: 8
    .kernarg_segment_size: 72
    .language:       OpenCL C
    .language_version:
      - 2
      - 0
    .max_flat_workgroup_size: 256
    .name:           _ZN4vllm3moe10topkGatingILi4ELi8ELi4ELi16ELi64ElfLNS0_11ScoringFuncE1EEEvPKT5_PKbPfiPT4_PiiiibPKf
    .private_segment_fixed_size: 0
    .sgpr_count:     30
    .sgpr_spill_count: 0
    .symbol:         _ZN4vllm3moe10topkGatingILi4ELi8ELi4ELi16ELi64ElfLNS0_11ScoringFuncE1EEEvPKT5_PKbPfiPT4_PiiiibPKf.kd
    .uniform_work_group_size: 1
    .uses_dynamic_stack: false
    .vgpr_count:     28
    .vgpr_spill_count: 0
    .wavefront_size: 64
  - .agpr_count:     0
    .args:
      - .address_space:  global
        .offset:         0
        .size:           8
        .value_kind:     global_buffer
      - .address_space:  global
        .offset:         8
        .size:           8
        .value_kind:     global_buffer
      - .address_space:  global
        .offset:         16
        .size:           8
        .value_kind:     global_buffer
      - .offset:         24
        .size:           4
        .value_kind:     by_value
      - .address_space:  global
        .offset:         32
        .size:           8
        .value_kind:     global_buffer
      - .address_space:  global
        .offset:         40
        .size:           8
        .value_kind:     global_buffer
      - .offset:         48
        .size:           4
        .value_kind:     by_value
      - .offset:         52
        .size:           4
        .value_kind:     by_value
      - .offset:         56
        .size:           4
        .value_kind:     by_value
      - .offset:         60
        .size:           1
        .value_kind:     by_value
      - .address_space:  global
        .offset:         64
        .size:           8
        .value_kind:     global_buffer
    .group_segment_fixed_size: 0
    .kernarg_segment_align: 8
    .kernarg_segment_size: 72
    .language:       OpenCL C
    .language_version:
      - 2
      - 0
    .max_flat_workgroup_size: 128
    .name:           _ZN4vllm3moe10topkGatingILi4ELi8ELi4ELi16ELi32ElfLNS0_11ScoringFuncE1EEEvPKT5_PKbPfiPT4_PiiiibPKf
    .private_segment_fixed_size: 0
    .sgpr_count:     30
    .sgpr_spill_count: 0
    .symbol:         _ZN4vllm3moe10topkGatingILi4ELi8ELi4ELi16ELi32ElfLNS0_11ScoringFuncE1EEEvPKT5_PKbPfiPT4_PiiiibPKf.kd
    .uniform_work_group_size: 1
    .uses_dynamic_stack: false
    .vgpr_count:     28
    .vgpr_spill_count: 0
    .wavefront_size: 64
  - .agpr_count:     0
    .args:
      - .address_space:  global
        .offset:         0
        .size:           8
        .value_kind:     global_buffer
      - .address_space:  global
        .offset:         8
        .size:           8
        .value_kind:     global_buffer
      - .address_space:  global
        .offset:         16
        .size:           8
        .value_kind:     global_buffer
      - .offset:         24
        .size:           4
        .value_kind:     by_value
      - .address_space:  global
        .offset:         32
        .size:           8
        .value_kind:     global_buffer
      - .address_space:  global
        .offset:         40
        .size:           8
        .value_kind:     global_buffer
      - .offset:         48
        .size:           4
        .value_kind:     by_value
      - .offset:         52
        .size:           4
        .value_kind:     by_value
      - .offset:         56
        .size:           4
        .value_kind:     by_value
      - .offset:         60
        .size:           1
        .value_kind:     by_value
      - .address_space:  global
        .offset:         64
        .size:           8
        .value_kind:     global_buffer
    .group_segment_fixed_size: 0
    .kernarg_segment_align: 8
    .kernarg_segment_size: 72
    .language:       OpenCL C
    .language_version:
      - 2
      - 0
    .max_flat_workgroup_size: 256
    .name:           _ZN4vllm3moe10topkGatingILi4ELi16ELi4ELi16ELi64ElfLNS0_11ScoringFuncE1EEEvPKT5_PKbPfiPT4_PiiiibPKf
    .private_segment_fixed_size: 0
    .sgpr_count:     30
    .sgpr_spill_count: 0
    .symbol:         _ZN4vllm3moe10topkGatingILi4ELi16ELi4ELi16ELi64ElfLNS0_11ScoringFuncE1EEEvPKT5_PKbPfiPT4_PiiiibPKf.kd
    .uniform_work_group_size: 1
    .uses_dynamic_stack: false
    .vgpr_count:     28
    .vgpr_spill_count: 0
    .wavefront_size: 64
  - .agpr_count:     0
    .args:
      - .address_space:  global
        .offset:         0
        .size:           8
        .value_kind:     global_buffer
      - .address_space:  global
        .offset:         8
        .size:           8
        .value_kind:     global_buffer
      - .address_space:  global
        .offset:         16
        .size:           8
        .value_kind:     global_buffer
      - .offset:         24
        .size:           4
        .value_kind:     by_value
      - .address_space:  global
        .offset:         32
        .size:           8
        .value_kind:     global_buffer
      - .address_space:  global
        .offset:         40
        .size:           8
        .value_kind:     global_buffer
      - .offset:         48
        .size:           4
        .value_kind:     by_value
      - .offset:         52
        .size:           4
        .value_kind:     by_value
      - .offset:         56
        .size:           4
        .value_kind:     by_value
      - .offset:         60
        .size:           1
        .value_kind:     by_value
      - .address_space:  global
        .offset:         64
        .size:           8
        .value_kind:     global_buffer
    .group_segment_fixed_size: 0
    .kernarg_segment_align: 8
    .kernarg_segment_size: 72
    .language:       OpenCL C
    .language_version:
      - 2
      - 0
    .max_flat_workgroup_size: 128
    .name:           _ZN4vllm3moe10topkGatingILi4ELi16ELi4ELi16ELi32ElfLNS0_11ScoringFuncE1EEEvPKT5_PKbPfiPT4_PiiiibPKf
    .private_segment_fixed_size: 0
    .sgpr_count:     30
    .sgpr_spill_count: 0
    .symbol:         _ZN4vllm3moe10topkGatingILi4ELi16ELi4ELi16ELi32ElfLNS0_11ScoringFuncE1EEEvPKT5_PKbPfiPT4_PiiiibPKf.kd
    .uniform_work_group_size: 1
    .uses_dynamic_stack: false
    .vgpr_count:     28
    .vgpr_spill_count: 0
    .wavefront_size: 64
  - .agpr_count:     0
    .args:
      - .address_space:  global
        .offset:         0
        .size:           8
        .value_kind:     global_buffer
      - .address_space:  global
        .offset:         8
        .size:           8
        .value_kind:     global_buffer
      - .address_space:  global
        .offset:         16
        .size:           8
        .value_kind:     global_buffer
      - .offset:         24
        .size:           4
        .value_kind:     by_value
      - .address_space:  global
        .offset:         32
        .size:           8
        .value_kind:     global_buffer
      - .address_space:  global
        .offset:         40
        .size:           8
        .value_kind:     global_buffer
      - .offset:         48
        .size:           4
        .value_kind:     by_value
      - .offset:         52
        .size:           4
        .value_kind:     by_value
      - .offset:         56
        .size:           4
        .value_kind:     by_value
      - .offset:         60
        .size:           1
        .value_kind:     by_value
      - .address_space:  global
        .offset:         64
        .size:           8
        .value_kind:     global_buffer
    .group_segment_fixed_size: 0
    .kernarg_segment_align: 8
    .kernarg_segment_size: 72
    .language:       OpenCL C
    .language_version:
      - 2
      - 0
    .max_flat_workgroup_size: 256
    .name:           _ZN4vllm3moe10topkGatingILi4ELi32ELi4ELi16ELi64ElfLNS0_11ScoringFuncE1EEEvPKT5_PKbPfiPT4_PiiiibPKf
    .private_segment_fixed_size: 0
    .sgpr_count:     30
    .sgpr_spill_count: 0
    .symbol:         _ZN4vllm3moe10topkGatingILi4ELi32ELi4ELi16ELi64ElfLNS0_11ScoringFuncE1EEEvPKT5_PKbPfiPT4_PiiiibPKf.kd
    .uniform_work_group_size: 1
    .uses_dynamic_stack: false
    .vgpr_count:     28
    .vgpr_spill_count: 0
    .wavefront_size: 64
  - .agpr_count:     0
    .args:
      - .address_space:  global
        .offset:         0
        .size:           8
        .value_kind:     global_buffer
      - .address_space:  global
        .offset:         8
        .size:           8
        .value_kind:     global_buffer
      - .address_space:  global
        .offset:         16
        .size:           8
        .value_kind:     global_buffer
      - .offset:         24
        .size:           4
        .value_kind:     by_value
      - .address_space:  global
        .offset:         32
        .size:           8
        .value_kind:     global_buffer
      - .address_space:  global
        .offset:         40
        .size:           8
        .value_kind:     global_buffer
      - .offset:         48
        .size:           4
        .value_kind:     by_value
      - .offset:         52
        .size:           4
        .value_kind:     by_value
      - .offset:         56
        .size:           4
        .value_kind:     by_value
      - .offset:         60
        .size:           1
        .value_kind:     by_value
      - .address_space:  global
        .offset:         64
        .size:           8
        .value_kind:     global_buffer
    .group_segment_fixed_size: 0
    .kernarg_segment_align: 8
    .kernarg_segment_size: 72
    .language:       OpenCL C
    .language_version:
      - 2
      - 0
    .max_flat_workgroup_size: 128
    .name:           _ZN4vllm3moe10topkGatingILi4ELi32ELi4ELi16ELi32ElfLNS0_11ScoringFuncE1EEEvPKT5_PKbPfiPT4_PiiiibPKf
    .private_segment_fixed_size: 0
    .sgpr_count:     30
    .sgpr_spill_count: 0
    .symbol:         _ZN4vllm3moe10topkGatingILi4ELi32ELi4ELi16ELi32ElfLNS0_11ScoringFuncE1EEEvPKT5_PKbPfiPT4_PiiiibPKf.kd
    .uniform_work_group_size: 1
    .uses_dynamic_stack: false
    .vgpr_count:     28
    .vgpr_spill_count: 0
    .wavefront_size: 64
  - .agpr_count:     0
    .args:
      - .address_space:  global
        .offset:         0
        .size:           8
        .value_kind:     global_buffer
      - .address_space:  global
        .offset:         8
        .size:           8
        .value_kind:     global_buffer
      - .address_space:  global
        .offset:         16
        .size:           8
        .value_kind:     global_buffer
      - .offset:         24
        .size:           4
        .value_kind:     by_value
      - .address_space:  global
        .offset:         32
        .size:           8
        .value_kind:     global_buffer
      - .address_space:  global
        .offset:         40
        .size:           8
        .value_kind:     global_buffer
      - .offset:         48
        .size:           4
        .value_kind:     by_value
      - .offset:         52
        .size:           4
        .value_kind:     by_value
      - .offset:         56
        .size:           4
        .value_kind:     by_value
      - .offset:         60
        .size:           1
        .value_kind:     by_value
      - .address_space:  global
        .offset:         64
        .size:           8
        .value_kind:     global_buffer
    .group_segment_fixed_size: 0
    .kernarg_segment_align: 8
    .kernarg_segment_size: 72
    .language:       OpenCL C
    .language_version:
      - 2
      - 0
    .max_flat_workgroup_size: 256
    .name:           _ZN4vllm3moe10topkGatingILi4ELi64ELi4ELi16ELi64ElfLNS0_11ScoringFuncE1EEEvPKT5_PKbPfiPT4_PiiiibPKf
    .private_segment_fixed_size: 0
    .sgpr_count:     30
    .sgpr_spill_count: 0
    .symbol:         _ZN4vllm3moe10topkGatingILi4ELi64ELi4ELi16ELi64ElfLNS0_11ScoringFuncE1EEEvPKT5_PKbPfiPT4_PiiiibPKf.kd
    .uniform_work_group_size: 1
    .uses_dynamic_stack: false
    .vgpr_count:     28
    .vgpr_spill_count: 0
    .wavefront_size: 64
  - .agpr_count:     0
    .args:
      - .address_space:  global
        .offset:         0
        .size:           8
        .value_kind:     global_buffer
      - .address_space:  global
        .offset:         8
        .size:           8
        .value_kind:     global_buffer
      - .address_space:  global
        .offset:         16
        .size:           8
        .value_kind:     global_buffer
      - .offset:         24
        .size:           4
        .value_kind:     by_value
      - .address_space:  global
        .offset:         32
        .size:           8
        .value_kind:     global_buffer
      - .address_space:  global
        .offset:         40
        .size:           8
        .value_kind:     global_buffer
      - .offset:         48
        .size:           4
        .value_kind:     by_value
      - .offset:         52
        .size:           4
        .value_kind:     by_value
      - .offset:         56
        .size:           4
        .value_kind:     by_value
      - .offset:         60
        .size:           1
        .value_kind:     by_value
      - .address_space:  global
        .offset:         64
        .size:           8
        .value_kind:     global_buffer
    .group_segment_fixed_size: 0
    .kernarg_segment_align: 8
    .kernarg_segment_size: 72
    .language:       OpenCL C
    .language_version:
      - 2
      - 0
    .max_flat_workgroup_size: 128
    .name:           _ZN4vllm3moe10topkGatingILi4ELi64ELi4ELi16ELi32ElfLNS0_11ScoringFuncE1EEEvPKT5_PKbPfiPT4_PiiiibPKf
    .private_segment_fixed_size: 0
    .sgpr_count:     30
    .sgpr_spill_count: 0
    .symbol:         _ZN4vllm3moe10topkGatingILi4ELi64ELi4ELi16ELi32ElfLNS0_11ScoringFuncE1EEEvPKT5_PKbPfiPT4_PiiiibPKf.kd
    .uniform_work_group_size: 1
    .uses_dynamic_stack: false
    .vgpr_count:     28
    .vgpr_spill_count: 0
    .wavefront_size: 64
  - .agpr_count:     0
    .args:
      - .address_space:  global
        .offset:         0
        .size:           8
        .value_kind:     global_buffer
      - .address_space:  global
        .offset:         8
        .size:           8
        .value_kind:     global_buffer
      - .address_space:  global
        .offset:         16
        .size:           8
        .value_kind:     global_buffer
      - .offset:         24
        .size:           4
        .value_kind:     by_value
      - .address_space:  global
        .offset:         32
        .size:           8
        .value_kind:     global_buffer
      - .address_space:  global
        .offset:         40
        .size:           8
        .value_kind:     global_buffer
      - .offset:         48
        .size:           4
        .value_kind:     by_value
      - .offset:         52
        .size:           4
        .value_kind:     by_value
      - .offset:         56
        .size:           4
        .value_kind:     by_value
      - .offset:         60
        .size:           1
        .value_kind:     by_value
      - .address_space:  global
        .offset:         64
        .size:           8
        .value_kind:     global_buffer
    .group_segment_fixed_size: 0
    .kernarg_segment_align: 8
    .kernarg_segment_size: 72
    .language:       OpenCL C
    .language_version:
      - 2
      - 0
    .max_flat_workgroup_size: 256
    .name:           _ZN4vllm3moe10topkGatingILi4ELi128ELi4ELi16ELi64ElfLNS0_11ScoringFuncE1EEEvPKT5_PKbPfiPT4_PiiiibPKf
    .private_segment_fixed_size: 0
    .sgpr_count:     30
    .sgpr_spill_count: 0
    .symbol:         _ZN4vllm3moe10topkGatingILi4ELi128ELi4ELi16ELi64ElfLNS0_11ScoringFuncE1EEEvPKT5_PKbPfiPT4_PiiiibPKf.kd
    .uniform_work_group_size: 1
    .uses_dynamic_stack: false
    .vgpr_count:     30
    .vgpr_spill_count: 0
    .wavefront_size: 64
  - .agpr_count:     0
    .args:
      - .address_space:  global
        .offset:         0
        .size:           8
        .value_kind:     global_buffer
      - .address_space:  global
        .offset:         8
        .size:           8
        .value_kind:     global_buffer
      - .address_space:  global
        .offset:         16
        .size:           8
        .value_kind:     global_buffer
      - .offset:         24
        .size:           4
        .value_kind:     by_value
      - .address_space:  global
        .offset:         32
        .size:           8
        .value_kind:     global_buffer
      - .address_space:  global
        .offset:         40
        .size:           8
        .value_kind:     global_buffer
      - .offset:         48
        .size:           4
        .value_kind:     by_value
      - .offset:         52
        .size:           4
        .value_kind:     by_value
      - .offset:         56
        .size:           4
        .value_kind:     by_value
      - .offset:         60
        .size:           1
        .value_kind:     by_value
      - .address_space:  global
        .offset:         64
        .size:           8
        .value_kind:     global_buffer
    .group_segment_fixed_size: 0
    .kernarg_segment_align: 8
    .kernarg_segment_size: 72
    .language:       OpenCL C
    .language_version:
      - 2
      - 0
    .max_flat_workgroup_size: 128
    .name:           _ZN4vllm3moe10topkGatingILi4ELi128ELi4ELi16ELi32ElfLNS0_11ScoringFuncE1EEEvPKT5_PKbPfiPT4_PiiiibPKf
    .private_segment_fixed_size: 0
    .sgpr_count:     30
    .sgpr_spill_count: 0
    .symbol:         _ZN4vllm3moe10topkGatingILi4ELi128ELi4ELi16ELi32ElfLNS0_11ScoringFuncE1EEEvPKT5_PKbPfiPT4_PiiiibPKf.kd
    .uniform_work_group_size: 1
    .uses_dynamic_stack: false
    .vgpr_count:     30
    .vgpr_spill_count: 0
    .wavefront_size: 64
  - .agpr_count:     0
    .args:
      - .address_space:  global
        .offset:         0
        .size:           8
        .value_kind:     global_buffer
      - .address_space:  global
        .offset:         8
        .size:           8
        .value_kind:     global_buffer
      - .address_space:  global
        .offset:         16
        .size:           8
        .value_kind:     global_buffer
      - .offset:         24
        .size:           4
        .value_kind:     by_value
      - .address_space:  global
        .offset:         32
        .size:           8
        .value_kind:     global_buffer
      - .address_space:  global
        .offset:         40
        .size:           8
        .value_kind:     global_buffer
      - .offset:         48
        .size:           4
        .value_kind:     by_value
      - .offset:         52
        .size:           4
        .value_kind:     by_value
      - .offset:         56
        .size:           4
        .value_kind:     by_value
      - .offset:         60
        .size:           1
        .value_kind:     by_value
      - .address_space:  global
        .offset:         64
        .size:           8
        .value_kind:     global_buffer
    .group_segment_fixed_size: 0
    .kernarg_segment_align: 8
    .kernarg_segment_size: 72
    .language:       OpenCL C
    .language_version:
      - 2
      - 0
    .max_flat_workgroup_size: 256
    .name:           _ZN4vllm3moe10topkGatingILi4ELi256ELi4ELi16ELi64ElfLNS0_11ScoringFuncE1EEEvPKT5_PKbPfiPT4_PiiiibPKf
    .private_segment_fixed_size: 0
    .sgpr_count:     30
    .sgpr_spill_count: 0
    .symbol:         _ZN4vllm3moe10topkGatingILi4ELi256ELi4ELi16ELi64ElfLNS0_11ScoringFuncE1EEEvPKT5_PKbPfiPT4_PiiiibPKf.kd
    .uniform_work_group_size: 1
    .uses_dynamic_stack: false
    .vgpr_count:     31
    .vgpr_spill_count: 0
    .wavefront_size: 64
  - .agpr_count:     0
    .args:
      - .address_space:  global
        .offset:         0
        .size:           8
        .value_kind:     global_buffer
      - .address_space:  global
        .offset:         8
        .size:           8
        .value_kind:     global_buffer
      - .address_space:  global
        .offset:         16
        .size:           8
        .value_kind:     global_buffer
      - .offset:         24
        .size:           4
        .value_kind:     by_value
      - .address_space:  global
        .offset:         32
        .size:           8
        .value_kind:     global_buffer
      - .address_space:  global
        .offset:         40
        .size:           8
        .value_kind:     global_buffer
      - .offset:         48
        .size:           4
        .value_kind:     by_value
      - .offset:         52
        .size:           4
        .value_kind:     by_value
      - .offset:         56
        .size:           4
        .value_kind:     by_value
      - .offset:         60
        .size:           1
        .value_kind:     by_value
      - .address_space:  global
        .offset:         64
        .size:           8
        .value_kind:     global_buffer
    .group_segment_fixed_size: 0
    .kernarg_segment_align: 8
    .kernarg_segment_size: 72
    .language:       OpenCL C
    .language_version:
      - 2
      - 0
    .max_flat_workgroup_size: 128
    .name:           _ZN4vllm3moe10topkGatingILi8ELi256ELi4ELi16ELi32ElfLNS0_11ScoringFuncE1EEEvPKT5_PKbPfiPT4_PiiiibPKf
    .private_segment_fixed_size: 0
    .sgpr_count:     30
    .sgpr_spill_count: 0
    .symbol:         _ZN4vllm3moe10topkGatingILi8ELi256ELi4ELi16ELi32ElfLNS0_11ScoringFuncE1EEEvPKT5_PKbPfiPT4_PiiiibPKf.kd
    .uniform_work_group_size: 1
    .uses_dynamic_stack: false
    .vgpr_count:     42
    .vgpr_spill_count: 0
    .wavefront_size: 64
  - .agpr_count:     0
    .args:
      - .address_space:  global
        .offset:         0
        .size:           8
        .value_kind:     global_buffer
      - .address_space:  global
        .offset:         8
        .size:           8
        .value_kind:     global_buffer
      - .address_space:  global
        .offset:         16
        .size:           8
        .value_kind:     global_buffer
      - .offset:         24
        .size:           4
        .value_kind:     by_value
      - .address_space:  global
        .offset:         32
        .size:           8
        .value_kind:     global_buffer
      - .address_space:  global
        .offset:         40
        .size:           8
        .value_kind:     global_buffer
      - .offset:         48
        .size:           4
        .value_kind:     by_value
      - .offset:         52
        .size:           4
        .value_kind:     by_value
      - .offset:         56
        .size:           4
        .value_kind:     by_value
      - .offset:         60
        .size:           1
        .value_kind:     by_value
      - .address_space:  global
        .offset:         64
        .size:           8
        .value_kind:     global_buffer
    .group_segment_fixed_size: 0
    .kernarg_segment_align: 8
    .kernarg_segment_size: 72
    .language:       OpenCL C
    .language_version:
      - 2
      - 0
    .max_flat_workgroup_size: 256
    .name:           _ZN4vllm3moe10topkGatingILi8ELi512ELi4ELi16ELi64ElfLNS0_11ScoringFuncE1EEEvPKT5_PKbPfiPT4_PiiiibPKf
    .private_segment_fixed_size: 0
    .sgpr_count:     30
    .sgpr_spill_count: 0
    .symbol:         _ZN4vllm3moe10topkGatingILi8ELi512ELi4ELi16ELi64ElfLNS0_11ScoringFuncE1EEEvPKT5_PKbPfiPT4_PiiiibPKf.kd
    .uniform_work_group_size: 1
    .uses_dynamic_stack: false
    .vgpr_count:     43
    .vgpr_spill_count: 0
    .wavefront_size: 64
  - .agpr_count:     0
    .args:
      - .address_space:  global
        .offset:         0
        .size:           8
        .value_kind:     global_buffer
      - .address_space:  global
        .offset:         8
        .size:           8
        .value_kind:     global_buffer
      - .address_space:  global
        .offset:         16
        .size:           8
        .value_kind:     global_buffer
      - .offset:         24
        .size:           4
        .value_kind:     by_value
      - .address_space:  global
        .offset:         32
        .size:           8
        .value_kind:     global_buffer
      - .address_space:  global
        .offset:         40
        .size:           8
        .value_kind:     global_buffer
      - .offset:         48
        .size:           4
        .value_kind:     by_value
      - .offset:         52
        .size:           4
        .value_kind:     by_value
      - .offset:         56
        .size:           4
        .value_kind:     by_value
      - .offset:         60
        .size:           1
        .value_kind:     by_value
      - .address_space:  global
        .offset:         64
        .size:           8
        .value_kind:     global_buffer
    .group_segment_fixed_size: 0
    .kernarg_segment_align: 8
    .kernarg_segment_size: 72
    .language:       OpenCL C
    .language_version:
      - 2
      - 0
    .max_flat_workgroup_size: 128
    .name:           _ZN4vllm3moe10topkGatingILi16ELi512ELi4ELi16ELi32ElfLNS0_11ScoringFuncE1EEEvPKT5_PKbPfiPT4_PiiiibPKf
    .private_segment_fixed_size: 0
    .sgpr_count:     30
    .sgpr_spill_count: 0
    .symbol:         _ZN4vllm3moe10topkGatingILi16ELi512ELi4ELi16ELi32ElfLNS0_11ScoringFuncE1EEEvPKT5_PKbPfiPT4_PiiiibPKf.kd
    .uniform_work_group_size: 1
    .uses_dynamic_stack: false
    .vgpr_count:     63
    .vgpr_spill_count: 0
    .wavefront_size: 64
  - .agpr_count:     0
    .args:
      - .address_space:  global
        .offset:         0
        .size:           8
        .value_kind:     global_buffer
      - .address_space:  global
        .offset:         8
        .size:           8
        .value_kind:     global_buffer
      - .address_space:  global
        .offset:         16
        .size:           8
        .value_kind:     global_buffer
      - .offset:         24
        .size:           4
        .value_kind:     by_value
      - .address_space:  global
        .offset:         32
        .size:           8
        .value_kind:     global_buffer
      - .address_space:  global
        .offset:         40
        .size:           8
        .value_kind:     global_buffer
      - .offset:         48
        .size:           4
        .value_kind:     by_value
      - .offset:         52
        .size:           4
        .value_kind:     by_value
      - .offset:         56
        .size:           4
        .value_kind:     by_value
      - .offset:         60
        .size:           1
        .value_kind:     by_value
      - .address_space:  global
        .offset:         64
        .size:           8
        .value_kind:     global_buffer
    .group_segment_fixed_size: 0
    .kernarg_segment_align: 8
    .kernarg_segment_size: 72
    .language:       OpenCL C
    .language_version:
      - 2
      - 0
    .max_flat_workgroup_size: 256
    .name:           _ZN4vllm3moe10topkGatingILi1ELi1ELi4ELi2ELi64Ei6__halfLNS0_11ScoringFuncE1EEEvPKT5_PKbPfiPT4_PiiiibPKf
    .private_segment_fixed_size: 0
    .sgpr_count:     24
    .sgpr_spill_count: 0
    .symbol:         _ZN4vllm3moe10topkGatingILi1ELi1ELi4ELi2ELi64Ei6__halfLNS0_11ScoringFuncE1EEEvPKT5_PKbPfiPT4_PiiiibPKf.kd
    .uniform_work_group_size: 1
    .uses_dynamic_stack: false
    .vgpr_count:     19
    .vgpr_spill_count: 0
    .wavefront_size: 64
  - .agpr_count:     0
    .args:
      - .address_space:  global
        .offset:         0
        .size:           8
        .value_kind:     global_buffer
      - .address_space:  global
        .offset:         8
        .size:           8
        .value_kind:     global_buffer
      - .address_space:  global
        .offset:         16
        .size:           8
        .value_kind:     global_buffer
      - .offset:         24
        .size:           4
        .value_kind:     by_value
      - .address_space:  global
        .offset:         32
        .size:           8
        .value_kind:     global_buffer
      - .address_space:  global
        .offset:         40
        .size:           8
        .value_kind:     global_buffer
      - .offset:         48
        .size:           4
        .value_kind:     by_value
      - .offset:         52
        .size:           4
        .value_kind:     by_value
      - .offset:         56
        .size:           4
        .value_kind:     by_value
      - .offset:         60
        .size:           1
        .value_kind:     by_value
      - .address_space:  global
        .offset:         64
        .size:           8
        .value_kind:     global_buffer
    .group_segment_fixed_size: 0
    .kernarg_segment_align: 8
    .kernarg_segment_size: 72
    .language:       OpenCL C
    .language_version:
      - 2
      - 0
    .max_flat_workgroup_size: 128
    .name:           _ZN4vllm3moe10topkGatingILi1ELi1ELi4ELi2ELi32Ei6__halfLNS0_11ScoringFuncE1EEEvPKT5_PKbPfiPT4_PiiiibPKf
    .private_segment_fixed_size: 0
    .sgpr_count:     24
    .sgpr_spill_count: 0
    .symbol:         _ZN4vllm3moe10topkGatingILi1ELi1ELi4ELi2ELi32Ei6__halfLNS0_11ScoringFuncE1EEEvPKT5_PKbPfiPT4_PiiiibPKf.kd
    .uniform_work_group_size: 1
    .uses_dynamic_stack: false
    .vgpr_count:     19
    .vgpr_spill_count: 0
    .wavefront_size: 64
  - .agpr_count:     0
    .args:
      - .address_space:  global
        .offset:         0
        .size:           8
        .value_kind:     global_buffer
      - .address_space:  global
        .offset:         8
        .size:           8
        .value_kind:     global_buffer
      - .address_space:  global
        .offset:         16
        .size:           8
        .value_kind:     global_buffer
      - .offset:         24
        .size:           4
        .value_kind:     by_value
      - .address_space:  global
        .offset:         32
        .size:           8
        .value_kind:     global_buffer
      - .address_space:  global
        .offset:         40
        .size:           8
        .value_kind:     global_buffer
      - .offset:         48
        .size:           4
        .value_kind:     by_value
      - .offset:         52
        .size:           4
        .value_kind:     by_value
      - .offset:         56
        .size:           4
        .value_kind:     by_value
      - .offset:         60
        .size:           1
        .value_kind:     by_value
      - .address_space:  global
        .offset:         64
        .size:           8
        .value_kind:     global_buffer
    .group_segment_fixed_size: 0
    .kernarg_segment_align: 8
    .kernarg_segment_size: 72
    .language:       OpenCL C
    .language_version:
      - 2
      - 0
    .max_flat_workgroup_size: 256
    .name:           _ZN4vllm3moe10topkGatingILi2ELi2ELi4ELi4ELi64Ei6__halfLNS0_11ScoringFuncE1EEEvPKT5_PKbPfiPT4_PiiiibPKf
    .private_segment_fixed_size: 0
    .sgpr_count:     28
    .sgpr_spill_count: 0
    .symbol:         _ZN4vllm3moe10topkGatingILi2ELi2ELi4ELi4ELi64Ei6__halfLNS0_11ScoringFuncE1EEEvPKT5_PKbPfiPT4_PiiiibPKf.kd
    .uniform_work_group_size: 1
    .uses_dynamic_stack: false
    .vgpr_count:     19
    .vgpr_spill_count: 0
    .wavefront_size: 64
  - .agpr_count:     0
    .args:
      - .address_space:  global
        .offset:         0
        .size:           8
        .value_kind:     global_buffer
      - .address_space:  global
        .offset:         8
        .size:           8
        .value_kind:     global_buffer
      - .address_space:  global
        .offset:         16
        .size:           8
        .value_kind:     global_buffer
      - .offset:         24
        .size:           4
        .value_kind:     by_value
      - .address_space:  global
        .offset:         32
        .size:           8
        .value_kind:     global_buffer
      - .address_space:  global
        .offset:         40
        .size:           8
        .value_kind:     global_buffer
      - .offset:         48
        .size:           4
        .value_kind:     by_value
      - .offset:         52
        .size:           4
        .value_kind:     by_value
      - .offset:         56
        .size:           4
        .value_kind:     by_value
      - .offset:         60
        .size:           1
        .value_kind:     by_value
      - .address_space:  global
        .offset:         64
        .size:           8
        .value_kind:     global_buffer
    .group_segment_fixed_size: 0
    .kernarg_segment_align: 8
    .kernarg_segment_size: 72
    .language:       OpenCL C
    .language_version:
      - 2
      - 0
    .max_flat_workgroup_size: 128
    .name:           _ZN4vllm3moe10topkGatingILi2ELi2ELi4ELi4ELi32Ei6__halfLNS0_11ScoringFuncE1EEEvPKT5_PKbPfiPT4_PiiiibPKf
    .private_segment_fixed_size: 0
    .sgpr_count:     28
    .sgpr_spill_count: 0
    .symbol:         _ZN4vllm3moe10topkGatingILi2ELi2ELi4ELi4ELi32Ei6__halfLNS0_11ScoringFuncE1EEEvPKT5_PKbPfiPT4_PiiiibPKf.kd
    .uniform_work_group_size: 1
    .uses_dynamic_stack: false
    .vgpr_count:     19
    .vgpr_spill_count: 0
    .wavefront_size: 64
  - .agpr_count:     0
    .args:
      - .address_space:  global
        .offset:         0
        .size:           8
        .value_kind:     global_buffer
      - .address_space:  global
        .offset:         8
        .size:           8
        .value_kind:     global_buffer
      - .address_space:  global
        .offset:         16
        .size:           8
        .value_kind:     global_buffer
      - .offset:         24
        .size:           4
        .value_kind:     by_value
      - .address_space:  global
        .offset:         32
        .size:           8
        .value_kind:     global_buffer
      - .address_space:  global
        .offset:         40
        .size:           8
        .value_kind:     global_buffer
      - .offset:         48
        .size:           4
        .value_kind:     by_value
      - .offset:         52
        .size:           4
        .value_kind:     by_value
      - .offset:         56
        .size:           4
        .value_kind:     by_value
      - .offset:         60
        .size:           1
        .value_kind:     by_value
      - .address_space:  global
        .offset:         64
        .size:           8
        .value_kind:     global_buffer
    .group_segment_fixed_size: 0
    .kernarg_segment_align: 8
    .kernarg_segment_size: 72
    .language:       OpenCL C
    .language_version:
      - 2
      - 0
    .max_flat_workgroup_size: 256
    .name:           _ZN4vllm3moe10topkGatingILi4ELi4ELi4ELi8ELi64Ei6__halfLNS0_11ScoringFuncE1EEEvPKT5_PKbPfiPT4_PiiiibPKf
    .private_segment_fixed_size: 0
    .sgpr_count:     28
    .sgpr_spill_count: 0
    .symbol:         _ZN4vllm3moe10topkGatingILi4ELi4ELi4ELi8ELi64Ei6__halfLNS0_11ScoringFuncE1EEEvPKT5_PKbPfiPT4_PiiiibPKf.kd
    .uniform_work_group_size: 1
    .uses_dynamic_stack: false
    .vgpr_count:     26
    .vgpr_spill_count: 0
    .wavefront_size: 64
  - .agpr_count:     0
    .args:
      - .address_space:  global
        .offset:         0
        .size:           8
        .value_kind:     global_buffer
      - .address_space:  global
        .offset:         8
        .size:           8
        .value_kind:     global_buffer
      - .address_space:  global
        .offset:         16
        .size:           8
        .value_kind:     global_buffer
      - .offset:         24
        .size:           4
        .value_kind:     by_value
      - .address_space:  global
        .offset:         32
        .size:           8
        .value_kind:     global_buffer
      - .address_space:  global
        .offset:         40
        .size:           8
        .value_kind:     global_buffer
      - .offset:         48
        .size:           4
        .value_kind:     by_value
      - .offset:         52
        .size:           4
        .value_kind:     by_value
      - .offset:         56
        .size:           4
        .value_kind:     by_value
      - .offset:         60
        .size:           1
        .value_kind:     by_value
      - .address_space:  global
        .offset:         64
        .size:           8
        .value_kind:     global_buffer
    .group_segment_fixed_size: 0
    .kernarg_segment_align: 8
    .kernarg_segment_size: 72
    .language:       OpenCL C
    .language_version:
      - 2
      - 0
    .max_flat_workgroup_size: 128
    .name:           _ZN4vllm3moe10topkGatingILi4ELi4ELi4ELi8ELi32Ei6__halfLNS0_11ScoringFuncE1EEEvPKT5_PKbPfiPT4_PiiiibPKf
    .private_segment_fixed_size: 0
    .sgpr_count:     28
    .sgpr_spill_count: 0
    .symbol:         _ZN4vllm3moe10topkGatingILi4ELi4ELi4ELi8ELi32Ei6__halfLNS0_11ScoringFuncE1EEEvPKT5_PKbPfiPT4_PiiiibPKf.kd
    .uniform_work_group_size: 1
    .uses_dynamic_stack: false
    .vgpr_count:     26
    .vgpr_spill_count: 0
    .wavefront_size: 64
  - .agpr_count:     0
    .args:
      - .address_space:  global
        .offset:         0
        .size:           8
        .value_kind:     global_buffer
      - .address_space:  global
        .offset:         8
        .size:           8
        .value_kind:     global_buffer
      - .address_space:  global
        .offset:         16
        .size:           8
        .value_kind:     global_buffer
      - .offset:         24
        .size:           4
        .value_kind:     by_value
      - .address_space:  global
        .offset:         32
        .size:           8
        .value_kind:     global_buffer
      - .address_space:  global
        .offset:         40
        .size:           8
        .value_kind:     global_buffer
      - .offset:         48
        .size:           4
        .value_kind:     by_value
      - .offset:         52
        .size:           4
        .value_kind:     by_value
      - .offset:         56
        .size:           4
        .value_kind:     by_value
      - .offset:         60
        .size:           1
        .value_kind:     by_value
      - .address_space:  global
        .offset:         64
        .size:           8
        .value_kind:     global_buffer
    .group_segment_fixed_size: 0
    .kernarg_segment_align: 8
    .kernarg_segment_size: 72
    .language:       OpenCL C
    .language_version:
      - 2
      - 0
    .max_flat_workgroup_size: 256
    .name:           _ZN4vllm3moe10topkGatingILi8ELi8ELi4ELi16ELi64Ei6__halfLNS0_11ScoringFuncE1EEEvPKT5_PKbPfiPT4_PiiiibPKf
    .private_segment_fixed_size: 0
    .sgpr_count:     32
    .sgpr_spill_count: 0
    .symbol:         _ZN4vllm3moe10topkGatingILi8ELi8ELi4ELi16ELi64Ei6__halfLNS0_11ScoringFuncE1EEEvPKT5_PKbPfiPT4_PiiiibPKf.kd
    .uniform_work_group_size: 1
    .uses_dynamic_stack: false
    .vgpr_count:     35
    .vgpr_spill_count: 0
    .wavefront_size: 64
  - .agpr_count:     0
    .args:
      - .address_space:  global
        .offset:         0
        .size:           8
        .value_kind:     global_buffer
      - .address_space:  global
        .offset:         8
        .size:           8
        .value_kind:     global_buffer
      - .address_space:  global
        .offset:         16
        .size:           8
        .value_kind:     global_buffer
      - .offset:         24
        .size:           4
        .value_kind:     by_value
      - .address_space:  global
        .offset:         32
        .size:           8
        .value_kind:     global_buffer
      - .address_space:  global
        .offset:         40
        .size:           8
        .value_kind:     global_buffer
      - .offset:         48
        .size:           4
        .value_kind:     by_value
      - .offset:         52
        .size:           4
        .value_kind:     by_value
      - .offset:         56
        .size:           4
        .value_kind:     by_value
      - .offset:         60
        .size:           1
        .value_kind:     by_value
      - .address_space:  global
        .offset:         64
        .size:           8
        .value_kind:     global_buffer
    .group_segment_fixed_size: 0
    .kernarg_segment_align: 8
    .kernarg_segment_size: 72
    .language:       OpenCL C
    .language_version:
      - 2
      - 0
    .max_flat_workgroup_size: 128
    .name:           _ZN4vllm3moe10topkGatingILi8ELi8ELi4ELi16ELi32Ei6__halfLNS0_11ScoringFuncE1EEEvPKT5_PKbPfiPT4_PiiiibPKf
    .private_segment_fixed_size: 0
    .sgpr_count:     32
    .sgpr_spill_count: 0
    .symbol:         _ZN4vllm3moe10topkGatingILi8ELi8ELi4ELi16ELi32Ei6__halfLNS0_11ScoringFuncE1EEEvPKT5_PKbPfiPT4_PiiiibPKf.kd
    .uniform_work_group_size: 1
    .uses_dynamic_stack: false
    .vgpr_count:     35
    .vgpr_spill_count: 0
    .wavefront_size: 64
  - .agpr_count:     0
    .args:
      - .address_space:  global
        .offset:         0
        .size:           8
        .value_kind:     global_buffer
      - .address_space:  global
        .offset:         8
        .size:           8
        .value_kind:     global_buffer
      - .address_space:  global
        .offset:         16
        .size:           8
        .value_kind:     global_buffer
      - .offset:         24
        .size:           4
        .value_kind:     by_value
      - .address_space:  global
        .offset:         32
        .size:           8
        .value_kind:     global_buffer
      - .address_space:  global
        .offset:         40
        .size:           8
        .value_kind:     global_buffer
      - .offset:         48
        .size:           4
        .value_kind:     by_value
      - .offset:         52
        .size:           4
        .value_kind:     by_value
      - .offset:         56
        .size:           4
        .value_kind:     by_value
      - .offset:         60
        .size:           1
        .value_kind:     by_value
      - .address_space:  global
        .offset:         64
        .size:           8
        .value_kind:     global_buffer
    .group_segment_fixed_size: 0
    .kernarg_segment_align: 8
    .kernarg_segment_size: 72
    .language:       OpenCL C
    .language_version:
      - 2
      - 0
    .max_flat_workgroup_size: 256
    .name:           _ZN4vllm3moe10topkGatingILi8ELi16ELi4ELi16ELi64Ei6__halfLNS0_11ScoringFuncE1EEEvPKT5_PKbPfiPT4_PiiiibPKf
    .private_segment_fixed_size: 0
    .sgpr_count:     30
    .sgpr_spill_count: 0
    .symbol:         _ZN4vllm3moe10topkGatingILi8ELi16ELi4ELi16ELi64Ei6__halfLNS0_11ScoringFuncE1EEEvPKT5_PKbPfiPT4_PiiiibPKf.kd
    .uniform_work_group_size: 1
    .uses_dynamic_stack: false
    .vgpr_count:     34
    .vgpr_spill_count: 0
    .wavefront_size: 64
  - .agpr_count:     0
    .args:
      - .address_space:  global
        .offset:         0
        .size:           8
        .value_kind:     global_buffer
      - .address_space:  global
        .offset:         8
        .size:           8
        .value_kind:     global_buffer
      - .address_space:  global
        .offset:         16
        .size:           8
        .value_kind:     global_buffer
      - .offset:         24
        .size:           4
        .value_kind:     by_value
      - .address_space:  global
        .offset:         32
        .size:           8
        .value_kind:     global_buffer
      - .address_space:  global
        .offset:         40
        .size:           8
        .value_kind:     global_buffer
      - .offset:         48
        .size:           4
        .value_kind:     by_value
      - .offset:         52
        .size:           4
        .value_kind:     by_value
      - .offset:         56
        .size:           4
        .value_kind:     by_value
      - .offset:         60
        .size:           1
        .value_kind:     by_value
      - .address_space:  global
        .offset:         64
        .size:           8
        .value_kind:     global_buffer
    .group_segment_fixed_size: 0
    .kernarg_segment_align: 8
    .kernarg_segment_size: 72
    .language:       OpenCL C
    .language_version:
      - 2
      - 0
    .max_flat_workgroup_size: 128
    .name:           _ZN4vllm3moe10topkGatingILi8ELi16ELi4ELi16ELi32Ei6__halfLNS0_11ScoringFuncE1EEEvPKT5_PKbPfiPT4_PiiiibPKf
    .private_segment_fixed_size: 0
    .sgpr_count:     30
    .sgpr_spill_count: 0
    .symbol:         _ZN4vllm3moe10topkGatingILi8ELi16ELi4ELi16ELi32Ei6__halfLNS0_11ScoringFuncE1EEEvPKT5_PKbPfiPT4_PiiiibPKf.kd
    .uniform_work_group_size: 1
    .uses_dynamic_stack: false
    .vgpr_count:     34
    .vgpr_spill_count: 0
    .wavefront_size: 64
  - .agpr_count:     0
    .args:
      - .address_space:  global
        .offset:         0
        .size:           8
        .value_kind:     global_buffer
      - .address_space:  global
        .offset:         8
        .size:           8
        .value_kind:     global_buffer
      - .address_space:  global
        .offset:         16
        .size:           8
        .value_kind:     global_buffer
      - .offset:         24
        .size:           4
        .value_kind:     by_value
      - .address_space:  global
        .offset:         32
        .size:           8
        .value_kind:     global_buffer
      - .address_space:  global
        .offset:         40
        .size:           8
        .value_kind:     global_buffer
      - .offset:         48
        .size:           4
        .value_kind:     by_value
      - .offset:         52
        .size:           4
        .value_kind:     by_value
      - .offset:         56
        .size:           4
        .value_kind:     by_value
      - .offset:         60
        .size:           1
        .value_kind:     by_value
      - .address_space:  global
        .offset:         64
        .size:           8
        .value_kind:     global_buffer
    .group_segment_fixed_size: 0
    .kernarg_segment_align: 8
    .kernarg_segment_size: 72
    .language:       OpenCL C
    .language_version:
      - 2
      - 0
    .max_flat_workgroup_size: 256
    .name:           _ZN4vllm3moe10topkGatingILi8ELi32ELi4ELi16ELi64Ei6__halfLNS0_11ScoringFuncE1EEEvPKT5_PKbPfiPT4_PiiiibPKf
    .private_segment_fixed_size: 0
    .sgpr_count:     30
    .sgpr_spill_count: 0
    .symbol:         _ZN4vllm3moe10topkGatingILi8ELi32ELi4ELi16ELi64Ei6__halfLNS0_11ScoringFuncE1EEEvPKT5_PKbPfiPT4_PiiiibPKf.kd
    .uniform_work_group_size: 1
    .uses_dynamic_stack: false
    .vgpr_count:     34
    .vgpr_spill_count: 0
    .wavefront_size: 64
  - .agpr_count:     0
    .args:
      - .address_space:  global
        .offset:         0
        .size:           8
        .value_kind:     global_buffer
      - .address_space:  global
        .offset:         8
        .size:           8
        .value_kind:     global_buffer
      - .address_space:  global
        .offset:         16
        .size:           8
        .value_kind:     global_buffer
      - .offset:         24
        .size:           4
        .value_kind:     by_value
      - .address_space:  global
        .offset:         32
        .size:           8
        .value_kind:     global_buffer
      - .address_space:  global
        .offset:         40
        .size:           8
        .value_kind:     global_buffer
      - .offset:         48
        .size:           4
        .value_kind:     by_value
      - .offset:         52
        .size:           4
        .value_kind:     by_value
      - .offset:         56
        .size:           4
        .value_kind:     by_value
      - .offset:         60
        .size:           1
        .value_kind:     by_value
      - .address_space:  global
        .offset:         64
        .size:           8
        .value_kind:     global_buffer
    .group_segment_fixed_size: 0
    .kernarg_segment_align: 8
    .kernarg_segment_size: 72
    .language:       OpenCL C
    .language_version:
      - 2
      - 0
    .max_flat_workgroup_size: 128
    .name:           _ZN4vllm3moe10topkGatingILi8ELi32ELi4ELi16ELi32Ei6__halfLNS0_11ScoringFuncE1EEEvPKT5_PKbPfiPT4_PiiiibPKf
    .private_segment_fixed_size: 0
    .sgpr_count:     30
    .sgpr_spill_count: 0
    .symbol:         _ZN4vllm3moe10topkGatingILi8ELi32ELi4ELi16ELi32Ei6__halfLNS0_11ScoringFuncE1EEEvPKT5_PKbPfiPT4_PiiiibPKf.kd
    .uniform_work_group_size: 1
    .uses_dynamic_stack: false
    .vgpr_count:     34
    .vgpr_spill_count: 0
    .wavefront_size: 64
  - .agpr_count:     0
    .args:
      - .address_space:  global
        .offset:         0
        .size:           8
        .value_kind:     global_buffer
      - .address_space:  global
        .offset:         8
        .size:           8
        .value_kind:     global_buffer
      - .address_space:  global
        .offset:         16
        .size:           8
        .value_kind:     global_buffer
      - .offset:         24
        .size:           4
        .value_kind:     by_value
      - .address_space:  global
        .offset:         32
        .size:           8
        .value_kind:     global_buffer
      - .address_space:  global
        .offset:         40
        .size:           8
        .value_kind:     global_buffer
      - .offset:         48
        .size:           4
        .value_kind:     by_value
      - .offset:         52
        .size:           4
        .value_kind:     by_value
      - .offset:         56
        .size:           4
        .value_kind:     by_value
      - .offset:         60
        .size:           1
        .value_kind:     by_value
      - .address_space:  global
        .offset:         64
        .size:           8
        .value_kind:     global_buffer
    .group_segment_fixed_size: 0
    .kernarg_segment_align: 8
    .kernarg_segment_size: 72
    .language:       OpenCL C
    .language_version:
      - 2
      - 0
    .max_flat_workgroup_size: 256
    .name:           _ZN4vllm3moe10topkGatingILi8ELi64ELi4ELi16ELi64Ei6__halfLNS0_11ScoringFuncE1EEEvPKT5_PKbPfiPT4_PiiiibPKf
    .private_segment_fixed_size: 0
    .sgpr_count:     30
    .sgpr_spill_count: 0
    .symbol:         _ZN4vllm3moe10topkGatingILi8ELi64ELi4ELi16ELi64Ei6__halfLNS0_11ScoringFuncE1EEEvPKT5_PKbPfiPT4_PiiiibPKf.kd
    .uniform_work_group_size: 1
    .uses_dynamic_stack: false
    .vgpr_count:     34
    .vgpr_spill_count: 0
    .wavefront_size: 64
  - .agpr_count:     0
    .args:
      - .address_space:  global
        .offset:         0
        .size:           8
        .value_kind:     global_buffer
      - .address_space:  global
        .offset:         8
        .size:           8
        .value_kind:     global_buffer
      - .address_space:  global
        .offset:         16
        .size:           8
        .value_kind:     global_buffer
      - .offset:         24
        .size:           4
        .value_kind:     by_value
      - .address_space:  global
        .offset:         32
        .size:           8
        .value_kind:     global_buffer
      - .address_space:  global
        .offset:         40
        .size:           8
        .value_kind:     global_buffer
      - .offset:         48
        .size:           4
        .value_kind:     by_value
      - .offset:         52
        .size:           4
        .value_kind:     by_value
      - .offset:         56
        .size:           4
        .value_kind:     by_value
      - .offset:         60
        .size:           1
        .value_kind:     by_value
      - .address_space:  global
        .offset:         64
        .size:           8
        .value_kind:     global_buffer
    .group_segment_fixed_size: 0
    .kernarg_segment_align: 8
    .kernarg_segment_size: 72
    .language:       OpenCL C
    .language_version:
      - 2
      - 0
    .max_flat_workgroup_size: 128
    .name:           _ZN4vllm3moe10topkGatingILi8ELi64ELi4ELi16ELi32Ei6__halfLNS0_11ScoringFuncE1EEEvPKT5_PKbPfiPT4_PiiiibPKf
    .private_segment_fixed_size: 0
    .sgpr_count:     30
    .sgpr_spill_count: 0
    .symbol:         _ZN4vllm3moe10topkGatingILi8ELi64ELi4ELi16ELi32Ei6__halfLNS0_11ScoringFuncE1EEEvPKT5_PKbPfiPT4_PiiiibPKf.kd
    .uniform_work_group_size: 1
    .uses_dynamic_stack: false
    .vgpr_count:     34
    .vgpr_spill_count: 0
    .wavefront_size: 64
  - .agpr_count:     0
    .args:
      - .address_space:  global
        .offset:         0
        .size:           8
        .value_kind:     global_buffer
      - .address_space:  global
        .offset:         8
        .size:           8
        .value_kind:     global_buffer
      - .address_space:  global
        .offset:         16
        .size:           8
        .value_kind:     global_buffer
      - .offset:         24
        .size:           4
        .value_kind:     by_value
      - .address_space:  global
        .offset:         32
        .size:           8
        .value_kind:     global_buffer
      - .address_space:  global
        .offset:         40
        .size:           8
        .value_kind:     global_buffer
      - .offset:         48
        .size:           4
        .value_kind:     by_value
      - .offset:         52
        .size:           4
        .value_kind:     by_value
      - .offset:         56
        .size:           4
        .value_kind:     by_value
      - .offset:         60
        .size:           1
        .value_kind:     by_value
      - .address_space:  global
        .offset:         64
        .size:           8
        .value_kind:     global_buffer
    .group_segment_fixed_size: 0
    .kernarg_segment_align: 8
    .kernarg_segment_size: 72
    .language:       OpenCL C
    .language_version:
      - 2
      - 0
    .max_flat_workgroup_size: 256
    .name:           _ZN4vllm3moe10topkGatingILi8ELi128ELi4ELi16ELi64Ei6__halfLNS0_11ScoringFuncE1EEEvPKT5_PKbPfiPT4_PiiiibPKf
    .private_segment_fixed_size: 0
    .sgpr_count:     30
    .sgpr_spill_count: 0
    .symbol:         _ZN4vllm3moe10topkGatingILi8ELi128ELi4ELi16ELi64Ei6__halfLNS0_11ScoringFuncE1EEEvPKT5_PKbPfiPT4_PiiiibPKf.kd
    .uniform_work_group_size: 1
    .uses_dynamic_stack: false
    .vgpr_count:     36
    .vgpr_spill_count: 0
    .wavefront_size: 64
  - .agpr_count:     0
    .args:
      - .address_space:  global
        .offset:         0
        .size:           8
        .value_kind:     global_buffer
      - .address_space:  global
        .offset:         8
        .size:           8
        .value_kind:     global_buffer
      - .address_space:  global
        .offset:         16
        .size:           8
        .value_kind:     global_buffer
      - .offset:         24
        .size:           4
        .value_kind:     by_value
      - .address_space:  global
        .offset:         32
        .size:           8
        .value_kind:     global_buffer
      - .address_space:  global
        .offset:         40
        .size:           8
        .value_kind:     global_buffer
      - .offset:         48
        .size:           4
        .value_kind:     by_value
      - .offset:         52
        .size:           4
        .value_kind:     by_value
      - .offset:         56
        .size:           4
        .value_kind:     by_value
      - .offset:         60
        .size:           1
        .value_kind:     by_value
      - .address_space:  global
        .offset:         64
        .size:           8
        .value_kind:     global_buffer
    .group_segment_fixed_size: 0
    .kernarg_segment_align: 8
    .kernarg_segment_size: 72
    .language:       OpenCL C
    .language_version:
      - 2
      - 0
    .max_flat_workgroup_size: 128
    .name:           _ZN4vllm3moe10topkGatingILi8ELi128ELi4ELi16ELi32Ei6__halfLNS0_11ScoringFuncE1EEEvPKT5_PKbPfiPT4_PiiiibPKf
    .private_segment_fixed_size: 0
    .sgpr_count:     30
    .sgpr_spill_count: 0
    .symbol:         _ZN4vllm3moe10topkGatingILi8ELi128ELi4ELi16ELi32Ei6__halfLNS0_11ScoringFuncE1EEEvPKT5_PKbPfiPT4_PiiiibPKf.kd
    .uniform_work_group_size: 1
    .uses_dynamic_stack: false
    .vgpr_count:     36
    .vgpr_spill_count: 0
    .wavefront_size: 64
  - .agpr_count:     0
    .args:
      - .address_space:  global
        .offset:         0
        .size:           8
        .value_kind:     global_buffer
      - .address_space:  global
        .offset:         8
        .size:           8
        .value_kind:     global_buffer
      - .address_space:  global
        .offset:         16
        .size:           8
        .value_kind:     global_buffer
      - .offset:         24
        .size:           4
        .value_kind:     by_value
      - .address_space:  global
        .offset:         32
        .size:           8
        .value_kind:     global_buffer
      - .address_space:  global
        .offset:         40
        .size:           8
        .value_kind:     global_buffer
      - .offset:         48
        .size:           4
        .value_kind:     by_value
      - .offset:         52
        .size:           4
        .value_kind:     by_value
      - .offset:         56
        .size:           4
        .value_kind:     by_value
      - .offset:         60
        .size:           1
        .value_kind:     by_value
      - .address_space:  global
        .offset:         64
        .size:           8
        .value_kind:     global_buffer
    .group_segment_fixed_size: 0
    .kernarg_segment_align: 8
    .kernarg_segment_size: 72
    .language:       OpenCL C
    .language_version:
      - 2
      - 0
    .max_flat_workgroup_size: 256
    .name:           _ZN4vllm3moe10topkGatingILi8ELi256ELi4ELi16ELi64Ei6__halfLNS0_11ScoringFuncE1EEEvPKT5_PKbPfiPT4_PiiiibPKf
    .private_segment_fixed_size: 0
    .sgpr_count:     30
    .sgpr_spill_count: 0
    .symbol:         _ZN4vllm3moe10topkGatingILi8ELi256ELi4ELi16ELi64Ei6__halfLNS0_11ScoringFuncE1EEEvPKT5_PKbPfiPT4_PiiiibPKf.kd
    .uniform_work_group_size: 1
    .uses_dynamic_stack: false
    .vgpr_count:     37
    .vgpr_spill_count: 0
    .wavefront_size: 64
  - .agpr_count:     0
    .args:
      - .address_space:  global
        .offset:         0
        .size:           8
        .value_kind:     global_buffer
      - .address_space:  global
        .offset:         8
        .size:           8
        .value_kind:     global_buffer
      - .address_space:  global
        .offset:         16
        .size:           8
        .value_kind:     global_buffer
      - .offset:         24
        .size:           4
        .value_kind:     by_value
      - .address_space:  global
        .offset:         32
        .size:           8
        .value_kind:     global_buffer
      - .address_space:  global
        .offset:         40
        .size:           8
        .value_kind:     global_buffer
      - .offset:         48
        .size:           4
        .value_kind:     by_value
      - .offset:         52
        .size:           4
        .value_kind:     by_value
      - .offset:         56
        .size:           4
        .value_kind:     by_value
      - .offset:         60
        .size:           1
        .value_kind:     by_value
      - .address_space:  global
        .offset:         64
        .size:           8
        .value_kind:     global_buffer
    .group_segment_fixed_size: 0
    .kernarg_segment_align: 8
    .kernarg_segment_size: 72
    .language:       OpenCL C
    .language_version:
      - 2
      - 0
    .max_flat_workgroup_size: 128
    .name:           _ZN4vllm3moe10topkGatingILi8ELi256ELi4ELi16ELi32Ei6__halfLNS0_11ScoringFuncE1EEEvPKT5_PKbPfiPT4_PiiiibPKf
    .private_segment_fixed_size: 0
    .sgpr_count:     30
    .sgpr_spill_count: 0
    .symbol:         _ZN4vllm3moe10topkGatingILi8ELi256ELi4ELi16ELi32Ei6__halfLNS0_11ScoringFuncE1EEEvPKT5_PKbPfiPT4_PiiiibPKf.kd
    .uniform_work_group_size: 1
    .uses_dynamic_stack: false
    .vgpr_count:     37
    .vgpr_spill_count: 0
    .wavefront_size: 64
  - .agpr_count:     0
    .args:
      - .address_space:  global
        .offset:         0
        .size:           8
        .value_kind:     global_buffer
      - .address_space:  global
        .offset:         8
        .size:           8
        .value_kind:     global_buffer
      - .address_space:  global
        .offset:         16
        .size:           8
        .value_kind:     global_buffer
      - .offset:         24
        .size:           4
        .value_kind:     by_value
      - .address_space:  global
        .offset:         32
        .size:           8
        .value_kind:     global_buffer
      - .address_space:  global
        .offset:         40
        .size:           8
        .value_kind:     global_buffer
      - .offset:         48
        .size:           4
        .value_kind:     by_value
      - .offset:         52
        .size:           4
        .value_kind:     by_value
      - .offset:         56
        .size:           4
        .value_kind:     by_value
      - .offset:         60
        .size:           1
        .value_kind:     by_value
      - .address_space:  global
        .offset:         64
        .size:           8
        .value_kind:     global_buffer
    .group_segment_fixed_size: 0
    .kernarg_segment_align: 8
    .kernarg_segment_size: 72
    .language:       OpenCL C
    .language_version:
      - 2
      - 0
    .max_flat_workgroup_size: 256
    .name:           _ZN4vllm3moe10topkGatingILi8ELi512ELi4ELi16ELi64Ei6__halfLNS0_11ScoringFuncE1EEEvPKT5_PKbPfiPT4_PiiiibPKf
    .private_segment_fixed_size: 0
    .sgpr_count:     30
    .sgpr_spill_count: 0
    .symbol:         _ZN4vllm3moe10topkGatingILi8ELi512ELi4ELi16ELi64Ei6__halfLNS0_11ScoringFuncE1EEEvPKT5_PKbPfiPT4_PiiiibPKf.kd
    .uniform_work_group_size: 1
    .uses_dynamic_stack: false
    .vgpr_count:     38
    .vgpr_spill_count: 0
    .wavefront_size: 64
  - .agpr_count:     0
    .args:
      - .address_space:  global
        .offset:         0
        .size:           8
        .value_kind:     global_buffer
      - .address_space:  global
        .offset:         8
        .size:           8
        .value_kind:     global_buffer
      - .address_space:  global
        .offset:         16
        .size:           8
        .value_kind:     global_buffer
      - .offset:         24
        .size:           4
        .value_kind:     by_value
      - .address_space:  global
        .offset:         32
        .size:           8
        .value_kind:     global_buffer
      - .address_space:  global
        .offset:         40
        .size:           8
        .value_kind:     global_buffer
      - .offset:         48
        .size:           4
        .value_kind:     by_value
      - .offset:         52
        .size:           4
        .value_kind:     by_value
      - .offset:         56
        .size:           4
        .value_kind:     by_value
      - .offset:         60
        .size:           1
        .value_kind:     by_value
      - .address_space:  global
        .offset:         64
        .size:           8
        .value_kind:     global_buffer
    .group_segment_fixed_size: 0
    .kernarg_segment_align: 8
    .kernarg_segment_size: 72
    .language:       OpenCL C
    .language_version:
      - 2
      - 0
    .max_flat_workgroup_size: 128
    .name:           _ZN4vllm3moe10topkGatingILi16ELi512ELi4ELi16ELi32Ei6__halfLNS0_11ScoringFuncE1EEEvPKT5_PKbPfiPT4_PiiiibPKf
    .private_segment_fixed_size: 0
    .sgpr_count:     30
    .sgpr_spill_count: 0
    .symbol:         _ZN4vllm3moe10topkGatingILi16ELi512ELi4ELi16ELi32Ei6__halfLNS0_11ScoringFuncE1EEEvPKT5_PKbPfiPT4_PiiiibPKf.kd
    .uniform_work_group_size: 1
    .uses_dynamic_stack: false
    .vgpr_count:     61
    .vgpr_spill_count: 0
    .wavefront_size: 64
  - .agpr_count:     0
    .args:
      - .address_space:  global
        .offset:         0
        .size:           8
        .value_kind:     global_buffer
      - .address_space:  global
        .offset:         8
        .size:           8
        .value_kind:     global_buffer
      - .address_space:  global
        .offset:         16
        .size:           8
        .value_kind:     global_buffer
      - .offset:         24
        .size:           4
        .value_kind:     by_value
    .group_segment_fixed_size: 0
    .kernarg_segment_align: 8
    .kernarg_segment_size: 28
    .language:       OpenCL C
    .language_version:
      - 2
      - 0
    .max_flat_workgroup_size: 256
    .name:           _ZN4vllm3moe10moeSigmoidILi256E6__halfEEvPKT0_PKbPfi
    .private_segment_fixed_size: 0
    .sgpr_count:     18
    .sgpr_spill_count: 0
    .symbol:         _ZN4vllm3moe10moeSigmoidILi256E6__halfEEvPKT0_PKbPfi.kd
    .uniform_work_group_size: 1
    .uses_dynamic_stack: false
    .vgpr_count:     11
    .vgpr_spill_count: 0
    .wavefront_size: 64
  - .agpr_count:     0
    .args:
      - .address_space:  global
        .offset:         0
        .size:           8
        .value_kind:     global_buffer
      - .address_space:  global
        .offset:         8
        .size:           8
        .value_kind:     global_buffer
      - .address_space:  global
        .offset:         16
        .size:           8
        .value_kind:     global_buffer
      - .offset:         24
        .size:           4
        .value_kind:     by_value
      - .address_space:  global
        .offset:         32
        .size:           8
        .value_kind:     global_buffer
      - .address_space:  global
        .offset:         40
        .size:           8
        .value_kind:     global_buffer
      - .offset:         48
        .size:           4
        .value_kind:     by_value
      - .offset:         52
        .size:           4
        .value_kind:     by_value
      - .offset:         56
        .size:           4
        .value_kind:     by_value
      - .offset:         60
        .size:           1
        .value_kind:     by_value
      - .address_space:  global
        .offset:         64
        .size:           8
        .value_kind:     global_buffer
    .group_segment_fixed_size: 0
    .kernarg_segment_align: 8
    .kernarg_segment_size: 72
    .language:       OpenCL C
    .language_version:
      - 2
      - 0
    .max_flat_workgroup_size: 256
    .name:           _ZN4vllm3moe10topkGatingILi1ELi1ELi4ELi2ELi64Ej6__halfLNS0_11ScoringFuncE1EEEvPKT5_PKbPfiPT4_PiiiibPKf
    .private_segment_fixed_size: 0
    .sgpr_count:     24
    .sgpr_spill_count: 0
    .symbol:         _ZN4vllm3moe10topkGatingILi1ELi1ELi4ELi2ELi64Ej6__halfLNS0_11ScoringFuncE1EEEvPKT5_PKbPfiPT4_PiiiibPKf.kd
    .uniform_work_group_size: 1
    .uses_dynamic_stack: false
    .vgpr_count:     19
    .vgpr_spill_count: 0
    .wavefront_size: 64
  - .agpr_count:     0
    .args:
      - .address_space:  global
        .offset:         0
        .size:           8
        .value_kind:     global_buffer
      - .address_space:  global
        .offset:         8
        .size:           8
        .value_kind:     global_buffer
      - .address_space:  global
        .offset:         16
        .size:           8
        .value_kind:     global_buffer
      - .offset:         24
        .size:           4
        .value_kind:     by_value
      - .address_space:  global
        .offset:         32
        .size:           8
        .value_kind:     global_buffer
      - .address_space:  global
        .offset:         40
        .size:           8
        .value_kind:     global_buffer
      - .offset:         48
        .size:           4
        .value_kind:     by_value
      - .offset:         52
        .size:           4
        .value_kind:     by_value
      - .offset:         56
        .size:           4
        .value_kind:     by_value
      - .offset:         60
        .size:           1
        .value_kind:     by_value
      - .address_space:  global
        .offset:         64
        .size:           8
        .value_kind:     global_buffer
    .group_segment_fixed_size: 0
    .kernarg_segment_align: 8
    .kernarg_segment_size: 72
    .language:       OpenCL C
    .language_version:
      - 2
      - 0
    .max_flat_workgroup_size: 128
    .name:           _ZN4vllm3moe10topkGatingILi1ELi1ELi4ELi2ELi32Ej6__halfLNS0_11ScoringFuncE1EEEvPKT5_PKbPfiPT4_PiiiibPKf
    .private_segment_fixed_size: 0
    .sgpr_count:     24
    .sgpr_spill_count: 0
    .symbol:         _ZN4vllm3moe10topkGatingILi1ELi1ELi4ELi2ELi32Ej6__halfLNS0_11ScoringFuncE1EEEvPKT5_PKbPfiPT4_PiiiibPKf.kd
    .uniform_work_group_size: 1
    .uses_dynamic_stack: false
    .vgpr_count:     19
    .vgpr_spill_count: 0
    .wavefront_size: 64
  - .agpr_count:     0
    .args:
      - .address_space:  global
        .offset:         0
        .size:           8
        .value_kind:     global_buffer
      - .address_space:  global
        .offset:         8
        .size:           8
        .value_kind:     global_buffer
      - .address_space:  global
        .offset:         16
        .size:           8
        .value_kind:     global_buffer
      - .offset:         24
        .size:           4
        .value_kind:     by_value
      - .address_space:  global
        .offset:         32
        .size:           8
        .value_kind:     global_buffer
      - .address_space:  global
        .offset:         40
        .size:           8
        .value_kind:     global_buffer
      - .offset:         48
        .size:           4
        .value_kind:     by_value
      - .offset:         52
        .size:           4
        .value_kind:     by_value
      - .offset:         56
        .size:           4
        .value_kind:     by_value
      - .offset:         60
        .size:           1
        .value_kind:     by_value
      - .address_space:  global
        .offset:         64
        .size:           8
        .value_kind:     global_buffer
    .group_segment_fixed_size: 0
    .kernarg_segment_align: 8
    .kernarg_segment_size: 72
    .language:       OpenCL C
    .language_version:
      - 2
      - 0
    .max_flat_workgroup_size: 256
    .name:           _ZN4vllm3moe10topkGatingILi2ELi2ELi4ELi4ELi64Ej6__halfLNS0_11ScoringFuncE1EEEvPKT5_PKbPfiPT4_PiiiibPKf
    .private_segment_fixed_size: 0
    .sgpr_count:     28
    .sgpr_spill_count: 0
    .symbol:         _ZN4vllm3moe10topkGatingILi2ELi2ELi4ELi4ELi64Ej6__halfLNS0_11ScoringFuncE1EEEvPKT5_PKbPfiPT4_PiiiibPKf.kd
    .uniform_work_group_size: 1
    .uses_dynamic_stack: false
    .vgpr_count:     19
    .vgpr_spill_count: 0
    .wavefront_size: 64
  - .agpr_count:     0
    .args:
      - .address_space:  global
        .offset:         0
        .size:           8
        .value_kind:     global_buffer
      - .address_space:  global
        .offset:         8
        .size:           8
        .value_kind:     global_buffer
      - .address_space:  global
        .offset:         16
        .size:           8
        .value_kind:     global_buffer
      - .offset:         24
        .size:           4
        .value_kind:     by_value
      - .address_space:  global
        .offset:         32
        .size:           8
        .value_kind:     global_buffer
      - .address_space:  global
        .offset:         40
        .size:           8
        .value_kind:     global_buffer
      - .offset:         48
        .size:           4
        .value_kind:     by_value
      - .offset:         52
        .size:           4
        .value_kind:     by_value
      - .offset:         56
        .size:           4
        .value_kind:     by_value
      - .offset:         60
        .size:           1
        .value_kind:     by_value
      - .address_space:  global
        .offset:         64
        .size:           8
        .value_kind:     global_buffer
    .group_segment_fixed_size: 0
    .kernarg_segment_align: 8
    .kernarg_segment_size: 72
    .language:       OpenCL C
    .language_version:
      - 2
      - 0
    .max_flat_workgroup_size: 128
    .name:           _ZN4vllm3moe10topkGatingILi2ELi2ELi4ELi4ELi32Ej6__halfLNS0_11ScoringFuncE1EEEvPKT5_PKbPfiPT4_PiiiibPKf
    .private_segment_fixed_size: 0
    .sgpr_count:     28
    .sgpr_spill_count: 0
    .symbol:         _ZN4vllm3moe10topkGatingILi2ELi2ELi4ELi4ELi32Ej6__halfLNS0_11ScoringFuncE1EEEvPKT5_PKbPfiPT4_PiiiibPKf.kd
    .uniform_work_group_size: 1
    .uses_dynamic_stack: false
    .vgpr_count:     19
    .vgpr_spill_count: 0
    .wavefront_size: 64
  - .agpr_count:     0
    .args:
      - .address_space:  global
        .offset:         0
        .size:           8
        .value_kind:     global_buffer
      - .address_space:  global
        .offset:         8
        .size:           8
        .value_kind:     global_buffer
      - .address_space:  global
        .offset:         16
        .size:           8
        .value_kind:     global_buffer
      - .offset:         24
        .size:           4
        .value_kind:     by_value
      - .address_space:  global
        .offset:         32
        .size:           8
        .value_kind:     global_buffer
      - .address_space:  global
        .offset:         40
        .size:           8
        .value_kind:     global_buffer
      - .offset:         48
        .size:           4
        .value_kind:     by_value
      - .offset:         52
        .size:           4
        .value_kind:     by_value
      - .offset:         56
        .size:           4
        .value_kind:     by_value
      - .offset:         60
        .size:           1
        .value_kind:     by_value
      - .address_space:  global
        .offset:         64
        .size:           8
        .value_kind:     global_buffer
    .group_segment_fixed_size: 0
    .kernarg_segment_align: 8
    .kernarg_segment_size: 72
    .language:       OpenCL C
    .language_version:
      - 2
      - 0
    .max_flat_workgroup_size: 256
    .name:           _ZN4vllm3moe10topkGatingILi4ELi4ELi4ELi8ELi64Ej6__halfLNS0_11ScoringFuncE1EEEvPKT5_PKbPfiPT4_PiiiibPKf
    .private_segment_fixed_size: 0
    .sgpr_count:     28
    .sgpr_spill_count: 0
    .symbol:         _ZN4vllm3moe10topkGatingILi4ELi4ELi4ELi8ELi64Ej6__halfLNS0_11ScoringFuncE1EEEvPKT5_PKbPfiPT4_PiiiibPKf.kd
    .uniform_work_group_size: 1
    .uses_dynamic_stack: false
    .vgpr_count:     26
    .vgpr_spill_count: 0
    .wavefront_size: 64
  - .agpr_count:     0
    .args:
      - .address_space:  global
        .offset:         0
        .size:           8
        .value_kind:     global_buffer
      - .address_space:  global
        .offset:         8
        .size:           8
        .value_kind:     global_buffer
      - .address_space:  global
        .offset:         16
        .size:           8
        .value_kind:     global_buffer
      - .offset:         24
        .size:           4
        .value_kind:     by_value
      - .address_space:  global
        .offset:         32
        .size:           8
        .value_kind:     global_buffer
      - .address_space:  global
        .offset:         40
        .size:           8
        .value_kind:     global_buffer
      - .offset:         48
        .size:           4
        .value_kind:     by_value
      - .offset:         52
        .size:           4
        .value_kind:     by_value
      - .offset:         56
        .size:           4
        .value_kind:     by_value
      - .offset:         60
        .size:           1
        .value_kind:     by_value
      - .address_space:  global
        .offset:         64
        .size:           8
        .value_kind:     global_buffer
    .group_segment_fixed_size: 0
    .kernarg_segment_align: 8
    .kernarg_segment_size: 72
    .language:       OpenCL C
    .language_version:
      - 2
      - 0
    .max_flat_workgroup_size: 128
    .name:           _ZN4vllm3moe10topkGatingILi4ELi4ELi4ELi8ELi32Ej6__halfLNS0_11ScoringFuncE1EEEvPKT5_PKbPfiPT4_PiiiibPKf
    .private_segment_fixed_size: 0
    .sgpr_count:     28
    .sgpr_spill_count: 0
    .symbol:         _ZN4vllm3moe10topkGatingILi4ELi4ELi4ELi8ELi32Ej6__halfLNS0_11ScoringFuncE1EEEvPKT5_PKbPfiPT4_PiiiibPKf.kd
    .uniform_work_group_size: 1
    .uses_dynamic_stack: false
    .vgpr_count:     26
    .vgpr_spill_count: 0
    .wavefront_size: 64
  - .agpr_count:     0
    .args:
      - .address_space:  global
        .offset:         0
        .size:           8
        .value_kind:     global_buffer
      - .address_space:  global
        .offset:         8
        .size:           8
        .value_kind:     global_buffer
      - .address_space:  global
        .offset:         16
        .size:           8
        .value_kind:     global_buffer
      - .offset:         24
        .size:           4
        .value_kind:     by_value
      - .address_space:  global
        .offset:         32
        .size:           8
        .value_kind:     global_buffer
      - .address_space:  global
        .offset:         40
        .size:           8
        .value_kind:     global_buffer
      - .offset:         48
        .size:           4
        .value_kind:     by_value
      - .offset:         52
        .size:           4
        .value_kind:     by_value
      - .offset:         56
        .size:           4
        .value_kind:     by_value
      - .offset:         60
        .size:           1
        .value_kind:     by_value
      - .address_space:  global
        .offset:         64
        .size:           8
        .value_kind:     global_buffer
    .group_segment_fixed_size: 0
    .kernarg_segment_align: 8
    .kernarg_segment_size: 72
    .language:       OpenCL C
    .language_version:
      - 2
      - 0
    .max_flat_workgroup_size: 256
    .name:           _ZN4vllm3moe10topkGatingILi8ELi8ELi4ELi16ELi64Ej6__halfLNS0_11ScoringFuncE1EEEvPKT5_PKbPfiPT4_PiiiibPKf
    .private_segment_fixed_size: 0
    .sgpr_count:     32
    .sgpr_spill_count: 0
    .symbol:         _ZN4vllm3moe10topkGatingILi8ELi8ELi4ELi16ELi64Ej6__halfLNS0_11ScoringFuncE1EEEvPKT5_PKbPfiPT4_PiiiibPKf.kd
    .uniform_work_group_size: 1
    .uses_dynamic_stack: false
    .vgpr_count:     35
    .vgpr_spill_count: 0
    .wavefront_size: 64
  - .agpr_count:     0
    .args:
      - .address_space:  global
        .offset:         0
        .size:           8
        .value_kind:     global_buffer
      - .address_space:  global
        .offset:         8
        .size:           8
        .value_kind:     global_buffer
      - .address_space:  global
        .offset:         16
        .size:           8
        .value_kind:     global_buffer
      - .offset:         24
        .size:           4
        .value_kind:     by_value
      - .address_space:  global
        .offset:         32
        .size:           8
        .value_kind:     global_buffer
      - .address_space:  global
        .offset:         40
        .size:           8
        .value_kind:     global_buffer
      - .offset:         48
        .size:           4
        .value_kind:     by_value
      - .offset:         52
        .size:           4
        .value_kind:     by_value
      - .offset:         56
        .size:           4
        .value_kind:     by_value
      - .offset:         60
        .size:           1
        .value_kind:     by_value
      - .address_space:  global
        .offset:         64
        .size:           8
        .value_kind:     global_buffer
    .group_segment_fixed_size: 0
    .kernarg_segment_align: 8
    .kernarg_segment_size: 72
    .language:       OpenCL C
    .language_version:
      - 2
      - 0
    .max_flat_workgroup_size: 128
    .name:           _ZN4vllm3moe10topkGatingILi8ELi8ELi4ELi16ELi32Ej6__halfLNS0_11ScoringFuncE1EEEvPKT5_PKbPfiPT4_PiiiibPKf
    .private_segment_fixed_size: 0
    .sgpr_count:     32
    .sgpr_spill_count: 0
    .symbol:         _ZN4vllm3moe10topkGatingILi8ELi8ELi4ELi16ELi32Ej6__halfLNS0_11ScoringFuncE1EEEvPKT5_PKbPfiPT4_PiiiibPKf.kd
    .uniform_work_group_size: 1
    .uses_dynamic_stack: false
    .vgpr_count:     35
    .vgpr_spill_count: 0
    .wavefront_size: 64
  - .agpr_count:     0
    .args:
      - .address_space:  global
        .offset:         0
        .size:           8
        .value_kind:     global_buffer
      - .address_space:  global
        .offset:         8
        .size:           8
        .value_kind:     global_buffer
      - .address_space:  global
        .offset:         16
        .size:           8
        .value_kind:     global_buffer
      - .offset:         24
        .size:           4
        .value_kind:     by_value
      - .address_space:  global
        .offset:         32
        .size:           8
        .value_kind:     global_buffer
      - .address_space:  global
        .offset:         40
        .size:           8
        .value_kind:     global_buffer
      - .offset:         48
        .size:           4
        .value_kind:     by_value
      - .offset:         52
        .size:           4
        .value_kind:     by_value
      - .offset:         56
        .size:           4
        .value_kind:     by_value
      - .offset:         60
        .size:           1
        .value_kind:     by_value
      - .address_space:  global
        .offset:         64
        .size:           8
        .value_kind:     global_buffer
    .group_segment_fixed_size: 0
    .kernarg_segment_align: 8
    .kernarg_segment_size: 72
    .language:       OpenCL C
    .language_version:
      - 2
      - 0
    .max_flat_workgroup_size: 256
    .name:           _ZN4vllm3moe10topkGatingILi8ELi16ELi4ELi16ELi64Ej6__halfLNS0_11ScoringFuncE1EEEvPKT5_PKbPfiPT4_PiiiibPKf
    .private_segment_fixed_size: 0
    .sgpr_count:     30
    .sgpr_spill_count: 0
    .symbol:         _ZN4vllm3moe10topkGatingILi8ELi16ELi4ELi16ELi64Ej6__halfLNS0_11ScoringFuncE1EEEvPKT5_PKbPfiPT4_PiiiibPKf.kd
    .uniform_work_group_size: 1
    .uses_dynamic_stack: false
    .vgpr_count:     34
    .vgpr_spill_count: 0
    .wavefront_size: 64
  - .agpr_count:     0
    .args:
      - .address_space:  global
        .offset:         0
        .size:           8
        .value_kind:     global_buffer
      - .address_space:  global
        .offset:         8
        .size:           8
        .value_kind:     global_buffer
      - .address_space:  global
        .offset:         16
        .size:           8
        .value_kind:     global_buffer
      - .offset:         24
        .size:           4
        .value_kind:     by_value
      - .address_space:  global
        .offset:         32
        .size:           8
        .value_kind:     global_buffer
      - .address_space:  global
        .offset:         40
        .size:           8
        .value_kind:     global_buffer
      - .offset:         48
        .size:           4
        .value_kind:     by_value
      - .offset:         52
        .size:           4
        .value_kind:     by_value
      - .offset:         56
        .size:           4
        .value_kind:     by_value
      - .offset:         60
        .size:           1
        .value_kind:     by_value
      - .address_space:  global
        .offset:         64
        .size:           8
        .value_kind:     global_buffer
    .group_segment_fixed_size: 0
    .kernarg_segment_align: 8
    .kernarg_segment_size: 72
    .language:       OpenCL C
    .language_version:
      - 2
      - 0
    .max_flat_workgroup_size: 128
    .name:           _ZN4vllm3moe10topkGatingILi8ELi16ELi4ELi16ELi32Ej6__halfLNS0_11ScoringFuncE1EEEvPKT5_PKbPfiPT4_PiiiibPKf
    .private_segment_fixed_size: 0
    .sgpr_count:     30
    .sgpr_spill_count: 0
    .symbol:         _ZN4vllm3moe10topkGatingILi8ELi16ELi4ELi16ELi32Ej6__halfLNS0_11ScoringFuncE1EEEvPKT5_PKbPfiPT4_PiiiibPKf.kd
    .uniform_work_group_size: 1
    .uses_dynamic_stack: false
    .vgpr_count:     34
    .vgpr_spill_count: 0
    .wavefront_size: 64
  - .agpr_count:     0
    .args:
      - .address_space:  global
        .offset:         0
        .size:           8
        .value_kind:     global_buffer
      - .address_space:  global
        .offset:         8
        .size:           8
        .value_kind:     global_buffer
      - .address_space:  global
        .offset:         16
        .size:           8
        .value_kind:     global_buffer
      - .offset:         24
        .size:           4
        .value_kind:     by_value
      - .address_space:  global
        .offset:         32
        .size:           8
        .value_kind:     global_buffer
      - .address_space:  global
        .offset:         40
        .size:           8
        .value_kind:     global_buffer
      - .offset:         48
        .size:           4
        .value_kind:     by_value
      - .offset:         52
        .size:           4
        .value_kind:     by_value
      - .offset:         56
        .size:           4
        .value_kind:     by_value
      - .offset:         60
        .size:           1
        .value_kind:     by_value
      - .address_space:  global
        .offset:         64
        .size:           8
        .value_kind:     global_buffer
    .group_segment_fixed_size: 0
    .kernarg_segment_align: 8
    .kernarg_segment_size: 72
    .language:       OpenCL C
    .language_version:
      - 2
      - 0
    .max_flat_workgroup_size: 256
    .name:           _ZN4vllm3moe10topkGatingILi8ELi32ELi4ELi16ELi64Ej6__halfLNS0_11ScoringFuncE1EEEvPKT5_PKbPfiPT4_PiiiibPKf
    .private_segment_fixed_size: 0
    .sgpr_count:     30
    .sgpr_spill_count: 0
    .symbol:         _ZN4vllm3moe10topkGatingILi8ELi32ELi4ELi16ELi64Ej6__halfLNS0_11ScoringFuncE1EEEvPKT5_PKbPfiPT4_PiiiibPKf.kd
    .uniform_work_group_size: 1
    .uses_dynamic_stack: false
    .vgpr_count:     34
    .vgpr_spill_count: 0
    .wavefront_size: 64
  - .agpr_count:     0
    .args:
      - .address_space:  global
        .offset:         0
        .size:           8
        .value_kind:     global_buffer
      - .address_space:  global
        .offset:         8
        .size:           8
        .value_kind:     global_buffer
      - .address_space:  global
        .offset:         16
        .size:           8
        .value_kind:     global_buffer
      - .offset:         24
        .size:           4
        .value_kind:     by_value
      - .address_space:  global
        .offset:         32
        .size:           8
        .value_kind:     global_buffer
      - .address_space:  global
        .offset:         40
        .size:           8
        .value_kind:     global_buffer
      - .offset:         48
        .size:           4
        .value_kind:     by_value
      - .offset:         52
        .size:           4
        .value_kind:     by_value
      - .offset:         56
        .size:           4
        .value_kind:     by_value
      - .offset:         60
        .size:           1
        .value_kind:     by_value
      - .address_space:  global
        .offset:         64
        .size:           8
        .value_kind:     global_buffer
    .group_segment_fixed_size: 0
    .kernarg_segment_align: 8
    .kernarg_segment_size: 72
    .language:       OpenCL C
    .language_version:
      - 2
      - 0
    .max_flat_workgroup_size: 128
    .name:           _ZN4vllm3moe10topkGatingILi8ELi32ELi4ELi16ELi32Ej6__halfLNS0_11ScoringFuncE1EEEvPKT5_PKbPfiPT4_PiiiibPKf
    .private_segment_fixed_size: 0
    .sgpr_count:     30
    .sgpr_spill_count: 0
    .symbol:         _ZN4vllm3moe10topkGatingILi8ELi32ELi4ELi16ELi32Ej6__halfLNS0_11ScoringFuncE1EEEvPKT5_PKbPfiPT4_PiiiibPKf.kd
    .uniform_work_group_size: 1
    .uses_dynamic_stack: false
    .vgpr_count:     34
    .vgpr_spill_count: 0
    .wavefront_size: 64
  - .agpr_count:     0
    .args:
      - .address_space:  global
        .offset:         0
        .size:           8
        .value_kind:     global_buffer
      - .address_space:  global
        .offset:         8
        .size:           8
        .value_kind:     global_buffer
      - .address_space:  global
        .offset:         16
        .size:           8
        .value_kind:     global_buffer
      - .offset:         24
        .size:           4
        .value_kind:     by_value
      - .address_space:  global
        .offset:         32
        .size:           8
        .value_kind:     global_buffer
      - .address_space:  global
        .offset:         40
        .size:           8
        .value_kind:     global_buffer
      - .offset:         48
        .size:           4
        .value_kind:     by_value
      - .offset:         52
        .size:           4
        .value_kind:     by_value
      - .offset:         56
        .size:           4
        .value_kind:     by_value
      - .offset:         60
        .size:           1
        .value_kind:     by_value
      - .address_space:  global
        .offset:         64
        .size:           8
        .value_kind:     global_buffer
    .group_segment_fixed_size: 0
    .kernarg_segment_align: 8
    .kernarg_segment_size: 72
    .language:       OpenCL C
    .language_version:
      - 2
      - 0
    .max_flat_workgroup_size: 256
    .name:           _ZN4vllm3moe10topkGatingILi8ELi64ELi4ELi16ELi64Ej6__halfLNS0_11ScoringFuncE1EEEvPKT5_PKbPfiPT4_PiiiibPKf
    .private_segment_fixed_size: 0
    .sgpr_count:     30
    .sgpr_spill_count: 0
    .symbol:         _ZN4vllm3moe10topkGatingILi8ELi64ELi4ELi16ELi64Ej6__halfLNS0_11ScoringFuncE1EEEvPKT5_PKbPfiPT4_PiiiibPKf.kd
    .uniform_work_group_size: 1
    .uses_dynamic_stack: false
    .vgpr_count:     34
    .vgpr_spill_count: 0
    .wavefront_size: 64
  - .agpr_count:     0
    .args:
      - .address_space:  global
        .offset:         0
        .size:           8
        .value_kind:     global_buffer
      - .address_space:  global
        .offset:         8
        .size:           8
        .value_kind:     global_buffer
      - .address_space:  global
        .offset:         16
        .size:           8
        .value_kind:     global_buffer
      - .offset:         24
        .size:           4
        .value_kind:     by_value
      - .address_space:  global
        .offset:         32
        .size:           8
        .value_kind:     global_buffer
      - .address_space:  global
        .offset:         40
        .size:           8
        .value_kind:     global_buffer
      - .offset:         48
        .size:           4
        .value_kind:     by_value
      - .offset:         52
        .size:           4
        .value_kind:     by_value
      - .offset:         56
        .size:           4
        .value_kind:     by_value
      - .offset:         60
        .size:           1
        .value_kind:     by_value
      - .address_space:  global
        .offset:         64
        .size:           8
        .value_kind:     global_buffer
    .group_segment_fixed_size: 0
    .kernarg_segment_align: 8
    .kernarg_segment_size: 72
    .language:       OpenCL C
    .language_version:
      - 2
      - 0
    .max_flat_workgroup_size: 128
    .name:           _ZN4vllm3moe10topkGatingILi8ELi64ELi4ELi16ELi32Ej6__halfLNS0_11ScoringFuncE1EEEvPKT5_PKbPfiPT4_PiiiibPKf
    .private_segment_fixed_size: 0
    .sgpr_count:     30
    .sgpr_spill_count: 0
    .symbol:         _ZN4vllm3moe10topkGatingILi8ELi64ELi4ELi16ELi32Ej6__halfLNS0_11ScoringFuncE1EEEvPKT5_PKbPfiPT4_PiiiibPKf.kd
    .uniform_work_group_size: 1
    .uses_dynamic_stack: false
    .vgpr_count:     34
    .vgpr_spill_count: 0
    .wavefront_size: 64
  - .agpr_count:     0
    .args:
      - .address_space:  global
        .offset:         0
        .size:           8
        .value_kind:     global_buffer
      - .address_space:  global
        .offset:         8
        .size:           8
        .value_kind:     global_buffer
      - .address_space:  global
        .offset:         16
        .size:           8
        .value_kind:     global_buffer
      - .offset:         24
        .size:           4
        .value_kind:     by_value
      - .address_space:  global
        .offset:         32
        .size:           8
        .value_kind:     global_buffer
      - .address_space:  global
        .offset:         40
        .size:           8
        .value_kind:     global_buffer
      - .offset:         48
        .size:           4
        .value_kind:     by_value
      - .offset:         52
        .size:           4
        .value_kind:     by_value
      - .offset:         56
        .size:           4
        .value_kind:     by_value
      - .offset:         60
        .size:           1
        .value_kind:     by_value
      - .address_space:  global
        .offset:         64
        .size:           8
        .value_kind:     global_buffer
    .group_segment_fixed_size: 0
    .kernarg_segment_align: 8
    .kernarg_segment_size: 72
    .language:       OpenCL C
    .language_version:
      - 2
      - 0
    .max_flat_workgroup_size: 256
    .name:           _ZN4vllm3moe10topkGatingILi8ELi128ELi4ELi16ELi64Ej6__halfLNS0_11ScoringFuncE1EEEvPKT5_PKbPfiPT4_PiiiibPKf
    .private_segment_fixed_size: 0
    .sgpr_count:     30
    .sgpr_spill_count: 0
    .symbol:         _ZN4vllm3moe10topkGatingILi8ELi128ELi4ELi16ELi64Ej6__halfLNS0_11ScoringFuncE1EEEvPKT5_PKbPfiPT4_PiiiibPKf.kd
    .uniform_work_group_size: 1
    .uses_dynamic_stack: false
    .vgpr_count:     36
    .vgpr_spill_count: 0
    .wavefront_size: 64
  - .agpr_count:     0
    .args:
      - .address_space:  global
        .offset:         0
        .size:           8
        .value_kind:     global_buffer
      - .address_space:  global
        .offset:         8
        .size:           8
        .value_kind:     global_buffer
      - .address_space:  global
        .offset:         16
        .size:           8
        .value_kind:     global_buffer
      - .offset:         24
        .size:           4
        .value_kind:     by_value
      - .address_space:  global
        .offset:         32
        .size:           8
        .value_kind:     global_buffer
      - .address_space:  global
        .offset:         40
        .size:           8
        .value_kind:     global_buffer
      - .offset:         48
        .size:           4
        .value_kind:     by_value
      - .offset:         52
        .size:           4
        .value_kind:     by_value
      - .offset:         56
        .size:           4
        .value_kind:     by_value
      - .offset:         60
        .size:           1
        .value_kind:     by_value
      - .address_space:  global
        .offset:         64
        .size:           8
        .value_kind:     global_buffer
    .group_segment_fixed_size: 0
    .kernarg_segment_align: 8
    .kernarg_segment_size: 72
    .language:       OpenCL C
    .language_version:
      - 2
      - 0
    .max_flat_workgroup_size: 128
    .name:           _ZN4vllm3moe10topkGatingILi8ELi128ELi4ELi16ELi32Ej6__halfLNS0_11ScoringFuncE1EEEvPKT5_PKbPfiPT4_PiiiibPKf
    .private_segment_fixed_size: 0
    .sgpr_count:     30
    .sgpr_spill_count: 0
    .symbol:         _ZN4vllm3moe10topkGatingILi8ELi128ELi4ELi16ELi32Ej6__halfLNS0_11ScoringFuncE1EEEvPKT5_PKbPfiPT4_PiiiibPKf.kd
    .uniform_work_group_size: 1
    .uses_dynamic_stack: false
    .vgpr_count:     36
    .vgpr_spill_count: 0
    .wavefront_size: 64
  - .agpr_count:     0
    .args:
      - .address_space:  global
        .offset:         0
        .size:           8
        .value_kind:     global_buffer
      - .address_space:  global
        .offset:         8
        .size:           8
        .value_kind:     global_buffer
      - .address_space:  global
        .offset:         16
        .size:           8
        .value_kind:     global_buffer
      - .offset:         24
        .size:           4
        .value_kind:     by_value
      - .address_space:  global
        .offset:         32
        .size:           8
        .value_kind:     global_buffer
      - .address_space:  global
        .offset:         40
        .size:           8
        .value_kind:     global_buffer
      - .offset:         48
        .size:           4
        .value_kind:     by_value
      - .offset:         52
        .size:           4
        .value_kind:     by_value
      - .offset:         56
        .size:           4
        .value_kind:     by_value
      - .offset:         60
        .size:           1
        .value_kind:     by_value
      - .address_space:  global
        .offset:         64
        .size:           8
        .value_kind:     global_buffer
    .group_segment_fixed_size: 0
    .kernarg_segment_align: 8
    .kernarg_segment_size: 72
    .language:       OpenCL C
    .language_version:
      - 2
      - 0
    .max_flat_workgroup_size: 256
    .name:           _ZN4vllm3moe10topkGatingILi8ELi256ELi4ELi16ELi64Ej6__halfLNS0_11ScoringFuncE1EEEvPKT5_PKbPfiPT4_PiiiibPKf
    .private_segment_fixed_size: 0
    .sgpr_count:     30
    .sgpr_spill_count: 0
    .symbol:         _ZN4vllm3moe10topkGatingILi8ELi256ELi4ELi16ELi64Ej6__halfLNS0_11ScoringFuncE1EEEvPKT5_PKbPfiPT4_PiiiibPKf.kd
    .uniform_work_group_size: 1
    .uses_dynamic_stack: false
    .vgpr_count:     37
    .vgpr_spill_count: 0
    .wavefront_size: 64
  - .agpr_count:     0
    .args:
      - .address_space:  global
        .offset:         0
        .size:           8
        .value_kind:     global_buffer
      - .address_space:  global
        .offset:         8
        .size:           8
        .value_kind:     global_buffer
      - .address_space:  global
        .offset:         16
        .size:           8
        .value_kind:     global_buffer
      - .offset:         24
        .size:           4
        .value_kind:     by_value
      - .address_space:  global
        .offset:         32
        .size:           8
        .value_kind:     global_buffer
      - .address_space:  global
        .offset:         40
        .size:           8
        .value_kind:     global_buffer
      - .offset:         48
        .size:           4
        .value_kind:     by_value
      - .offset:         52
        .size:           4
        .value_kind:     by_value
      - .offset:         56
        .size:           4
        .value_kind:     by_value
      - .offset:         60
        .size:           1
        .value_kind:     by_value
      - .address_space:  global
        .offset:         64
        .size:           8
        .value_kind:     global_buffer
    .group_segment_fixed_size: 0
    .kernarg_segment_align: 8
    .kernarg_segment_size: 72
    .language:       OpenCL C
    .language_version:
      - 2
      - 0
    .max_flat_workgroup_size: 128
    .name:           _ZN4vllm3moe10topkGatingILi8ELi256ELi4ELi16ELi32Ej6__halfLNS0_11ScoringFuncE1EEEvPKT5_PKbPfiPT4_PiiiibPKf
    .private_segment_fixed_size: 0
    .sgpr_count:     30
    .sgpr_spill_count: 0
    .symbol:         _ZN4vllm3moe10topkGatingILi8ELi256ELi4ELi16ELi32Ej6__halfLNS0_11ScoringFuncE1EEEvPKT5_PKbPfiPT4_PiiiibPKf.kd
    .uniform_work_group_size: 1
    .uses_dynamic_stack: false
    .vgpr_count:     37
    .vgpr_spill_count: 0
    .wavefront_size: 64
  - .agpr_count:     0
    .args:
      - .address_space:  global
        .offset:         0
        .size:           8
        .value_kind:     global_buffer
      - .address_space:  global
        .offset:         8
        .size:           8
        .value_kind:     global_buffer
      - .address_space:  global
        .offset:         16
        .size:           8
        .value_kind:     global_buffer
      - .offset:         24
        .size:           4
        .value_kind:     by_value
      - .address_space:  global
        .offset:         32
        .size:           8
        .value_kind:     global_buffer
      - .address_space:  global
        .offset:         40
        .size:           8
        .value_kind:     global_buffer
      - .offset:         48
        .size:           4
        .value_kind:     by_value
      - .offset:         52
        .size:           4
        .value_kind:     by_value
      - .offset:         56
        .size:           4
        .value_kind:     by_value
      - .offset:         60
        .size:           1
        .value_kind:     by_value
      - .address_space:  global
        .offset:         64
        .size:           8
        .value_kind:     global_buffer
    .group_segment_fixed_size: 0
    .kernarg_segment_align: 8
    .kernarg_segment_size: 72
    .language:       OpenCL C
    .language_version:
      - 2
      - 0
    .max_flat_workgroup_size: 256
    .name:           _ZN4vllm3moe10topkGatingILi8ELi512ELi4ELi16ELi64Ej6__halfLNS0_11ScoringFuncE1EEEvPKT5_PKbPfiPT4_PiiiibPKf
    .private_segment_fixed_size: 0
    .sgpr_count:     30
    .sgpr_spill_count: 0
    .symbol:         _ZN4vllm3moe10topkGatingILi8ELi512ELi4ELi16ELi64Ej6__halfLNS0_11ScoringFuncE1EEEvPKT5_PKbPfiPT4_PiiiibPKf.kd
    .uniform_work_group_size: 1
    .uses_dynamic_stack: false
    .vgpr_count:     38
    .vgpr_spill_count: 0
    .wavefront_size: 64
  - .agpr_count:     0
    .args:
      - .address_space:  global
        .offset:         0
        .size:           8
        .value_kind:     global_buffer
      - .address_space:  global
        .offset:         8
        .size:           8
        .value_kind:     global_buffer
      - .address_space:  global
        .offset:         16
        .size:           8
        .value_kind:     global_buffer
      - .offset:         24
        .size:           4
        .value_kind:     by_value
      - .address_space:  global
        .offset:         32
        .size:           8
        .value_kind:     global_buffer
      - .address_space:  global
        .offset:         40
        .size:           8
        .value_kind:     global_buffer
      - .offset:         48
        .size:           4
        .value_kind:     by_value
      - .offset:         52
        .size:           4
        .value_kind:     by_value
      - .offset:         56
        .size:           4
        .value_kind:     by_value
      - .offset:         60
        .size:           1
        .value_kind:     by_value
      - .address_space:  global
        .offset:         64
        .size:           8
        .value_kind:     global_buffer
    .group_segment_fixed_size: 0
    .kernarg_segment_align: 8
    .kernarg_segment_size: 72
    .language:       OpenCL C
    .language_version:
      - 2
      - 0
    .max_flat_workgroup_size: 128
    .name:           _ZN4vllm3moe10topkGatingILi16ELi512ELi4ELi16ELi32Ej6__halfLNS0_11ScoringFuncE1EEEvPKT5_PKbPfiPT4_PiiiibPKf
    .private_segment_fixed_size: 0
    .sgpr_count:     30
    .sgpr_spill_count: 0
    .symbol:         _ZN4vllm3moe10topkGatingILi16ELi512ELi4ELi16ELi32Ej6__halfLNS0_11ScoringFuncE1EEEvPKT5_PKbPfiPT4_PiiiibPKf.kd
    .uniform_work_group_size: 1
    .uses_dynamic_stack: false
    .vgpr_count:     61
    .vgpr_spill_count: 0
    .wavefront_size: 64
  - .agpr_count:     0
    .args:
      - .address_space:  global
        .offset:         0
        .size:           8
        .value_kind:     global_buffer
      - .address_space:  global
        .offset:         8
        .size:           8
        .value_kind:     global_buffer
      - .address_space:  global
        .offset:         16
        .size:           8
        .value_kind:     global_buffer
      - .offset:         24
        .size:           4
        .value_kind:     by_value
      - .address_space:  global
        .offset:         32
        .size:           8
        .value_kind:     global_buffer
      - .address_space:  global
        .offset:         40
        .size:           8
        .value_kind:     global_buffer
      - .offset:         48
        .size:           4
        .value_kind:     by_value
      - .offset:         52
        .size:           4
        .value_kind:     by_value
      - .offset:         56
        .size:           4
        .value_kind:     by_value
      - .offset:         60
        .size:           1
        .value_kind:     by_value
      - .address_space:  global
        .offset:         64
        .size:           8
        .value_kind:     global_buffer
    .group_segment_fixed_size: 0
    .kernarg_segment_align: 8
    .kernarg_segment_size: 72
    .language:       OpenCL C
    .language_version:
      - 2
      - 0
    .max_flat_workgroup_size: 256
    .name:           _ZN4vllm3moe10topkGatingILi1ELi1ELi4ELi2ELi64El6__halfLNS0_11ScoringFuncE1EEEvPKT5_PKbPfiPT4_PiiiibPKf
    .private_segment_fixed_size: 0
    .sgpr_count:     24
    .sgpr_spill_count: 0
    .symbol:         _ZN4vllm3moe10topkGatingILi1ELi1ELi4ELi2ELi64El6__halfLNS0_11ScoringFuncE1EEEvPKT5_PKbPfiPT4_PiiiibPKf.kd
    .uniform_work_group_size: 1
    .uses_dynamic_stack: false
    .vgpr_count:     19
    .vgpr_spill_count: 0
    .wavefront_size: 64
  - .agpr_count:     0
    .args:
      - .address_space:  global
        .offset:         0
        .size:           8
        .value_kind:     global_buffer
      - .address_space:  global
        .offset:         8
        .size:           8
        .value_kind:     global_buffer
      - .address_space:  global
        .offset:         16
        .size:           8
        .value_kind:     global_buffer
      - .offset:         24
        .size:           4
        .value_kind:     by_value
      - .address_space:  global
        .offset:         32
        .size:           8
        .value_kind:     global_buffer
      - .address_space:  global
        .offset:         40
        .size:           8
        .value_kind:     global_buffer
      - .offset:         48
        .size:           4
        .value_kind:     by_value
      - .offset:         52
        .size:           4
        .value_kind:     by_value
      - .offset:         56
        .size:           4
        .value_kind:     by_value
      - .offset:         60
        .size:           1
        .value_kind:     by_value
      - .address_space:  global
        .offset:         64
        .size:           8
        .value_kind:     global_buffer
    .group_segment_fixed_size: 0
    .kernarg_segment_align: 8
    .kernarg_segment_size: 72
    .language:       OpenCL C
    .language_version:
      - 2
      - 0
    .max_flat_workgroup_size: 128
    .name:           _ZN4vllm3moe10topkGatingILi1ELi1ELi4ELi2ELi32El6__halfLNS0_11ScoringFuncE1EEEvPKT5_PKbPfiPT4_PiiiibPKf
    .private_segment_fixed_size: 0
    .sgpr_count:     24
    .sgpr_spill_count: 0
    .symbol:         _ZN4vllm3moe10topkGatingILi1ELi1ELi4ELi2ELi32El6__halfLNS0_11ScoringFuncE1EEEvPKT5_PKbPfiPT4_PiiiibPKf.kd
    .uniform_work_group_size: 1
    .uses_dynamic_stack: false
    .vgpr_count:     19
    .vgpr_spill_count: 0
    .wavefront_size: 64
  - .agpr_count:     0
    .args:
      - .address_space:  global
        .offset:         0
        .size:           8
        .value_kind:     global_buffer
      - .address_space:  global
        .offset:         8
        .size:           8
        .value_kind:     global_buffer
      - .address_space:  global
        .offset:         16
        .size:           8
        .value_kind:     global_buffer
      - .offset:         24
        .size:           4
        .value_kind:     by_value
      - .address_space:  global
        .offset:         32
        .size:           8
        .value_kind:     global_buffer
      - .address_space:  global
        .offset:         40
        .size:           8
        .value_kind:     global_buffer
      - .offset:         48
        .size:           4
        .value_kind:     by_value
      - .offset:         52
        .size:           4
        .value_kind:     by_value
      - .offset:         56
        .size:           4
        .value_kind:     by_value
      - .offset:         60
        .size:           1
        .value_kind:     by_value
      - .address_space:  global
        .offset:         64
        .size:           8
        .value_kind:     global_buffer
    .group_segment_fixed_size: 0
    .kernarg_segment_align: 8
    .kernarg_segment_size: 72
    .language:       OpenCL C
    .language_version:
      - 2
      - 0
    .max_flat_workgroup_size: 256
    .name:           _ZN4vllm3moe10topkGatingILi2ELi2ELi4ELi4ELi64El6__halfLNS0_11ScoringFuncE1EEEvPKT5_PKbPfiPT4_PiiiibPKf
    .private_segment_fixed_size: 0
    .sgpr_count:     28
    .sgpr_spill_count: 0
    .symbol:         _ZN4vllm3moe10topkGatingILi2ELi2ELi4ELi4ELi64El6__halfLNS0_11ScoringFuncE1EEEvPKT5_PKbPfiPT4_PiiiibPKf.kd
    .uniform_work_group_size: 1
    .uses_dynamic_stack: false
    .vgpr_count:     19
    .vgpr_spill_count: 0
    .wavefront_size: 64
  - .agpr_count:     0
    .args:
      - .address_space:  global
        .offset:         0
        .size:           8
        .value_kind:     global_buffer
      - .address_space:  global
        .offset:         8
        .size:           8
        .value_kind:     global_buffer
      - .address_space:  global
        .offset:         16
        .size:           8
        .value_kind:     global_buffer
      - .offset:         24
        .size:           4
        .value_kind:     by_value
      - .address_space:  global
        .offset:         32
        .size:           8
        .value_kind:     global_buffer
      - .address_space:  global
        .offset:         40
        .size:           8
        .value_kind:     global_buffer
      - .offset:         48
        .size:           4
        .value_kind:     by_value
      - .offset:         52
        .size:           4
        .value_kind:     by_value
      - .offset:         56
        .size:           4
        .value_kind:     by_value
      - .offset:         60
        .size:           1
        .value_kind:     by_value
      - .address_space:  global
        .offset:         64
        .size:           8
        .value_kind:     global_buffer
    .group_segment_fixed_size: 0
    .kernarg_segment_align: 8
    .kernarg_segment_size: 72
    .language:       OpenCL C
    .language_version:
      - 2
      - 0
    .max_flat_workgroup_size: 128
    .name:           _ZN4vllm3moe10topkGatingILi2ELi2ELi4ELi4ELi32El6__halfLNS0_11ScoringFuncE1EEEvPKT5_PKbPfiPT4_PiiiibPKf
    .private_segment_fixed_size: 0
    .sgpr_count:     28
    .sgpr_spill_count: 0
    .symbol:         _ZN4vllm3moe10topkGatingILi2ELi2ELi4ELi4ELi32El6__halfLNS0_11ScoringFuncE1EEEvPKT5_PKbPfiPT4_PiiiibPKf.kd
    .uniform_work_group_size: 1
    .uses_dynamic_stack: false
    .vgpr_count:     19
    .vgpr_spill_count: 0
    .wavefront_size: 64
  - .agpr_count:     0
    .args:
      - .address_space:  global
        .offset:         0
        .size:           8
        .value_kind:     global_buffer
      - .address_space:  global
        .offset:         8
        .size:           8
        .value_kind:     global_buffer
      - .address_space:  global
        .offset:         16
        .size:           8
        .value_kind:     global_buffer
      - .offset:         24
        .size:           4
        .value_kind:     by_value
      - .address_space:  global
        .offset:         32
        .size:           8
        .value_kind:     global_buffer
      - .address_space:  global
        .offset:         40
        .size:           8
        .value_kind:     global_buffer
      - .offset:         48
        .size:           4
        .value_kind:     by_value
      - .offset:         52
        .size:           4
        .value_kind:     by_value
      - .offset:         56
        .size:           4
        .value_kind:     by_value
      - .offset:         60
        .size:           1
        .value_kind:     by_value
      - .address_space:  global
        .offset:         64
        .size:           8
        .value_kind:     global_buffer
    .group_segment_fixed_size: 0
    .kernarg_segment_align: 8
    .kernarg_segment_size: 72
    .language:       OpenCL C
    .language_version:
      - 2
      - 0
    .max_flat_workgroup_size: 256
    .name:           _ZN4vllm3moe10topkGatingILi4ELi4ELi4ELi8ELi64El6__halfLNS0_11ScoringFuncE1EEEvPKT5_PKbPfiPT4_PiiiibPKf
    .private_segment_fixed_size: 0
    .sgpr_count:     28
    .sgpr_spill_count: 0
    .symbol:         _ZN4vllm3moe10topkGatingILi4ELi4ELi4ELi8ELi64El6__halfLNS0_11ScoringFuncE1EEEvPKT5_PKbPfiPT4_PiiiibPKf.kd
    .uniform_work_group_size: 1
    .uses_dynamic_stack: false
    .vgpr_count:     26
    .vgpr_spill_count: 0
    .wavefront_size: 64
  - .agpr_count:     0
    .args:
      - .address_space:  global
        .offset:         0
        .size:           8
        .value_kind:     global_buffer
      - .address_space:  global
        .offset:         8
        .size:           8
        .value_kind:     global_buffer
      - .address_space:  global
        .offset:         16
        .size:           8
        .value_kind:     global_buffer
      - .offset:         24
        .size:           4
        .value_kind:     by_value
      - .address_space:  global
        .offset:         32
        .size:           8
        .value_kind:     global_buffer
      - .address_space:  global
        .offset:         40
        .size:           8
        .value_kind:     global_buffer
      - .offset:         48
        .size:           4
        .value_kind:     by_value
      - .offset:         52
        .size:           4
        .value_kind:     by_value
      - .offset:         56
        .size:           4
        .value_kind:     by_value
      - .offset:         60
        .size:           1
        .value_kind:     by_value
      - .address_space:  global
        .offset:         64
        .size:           8
        .value_kind:     global_buffer
    .group_segment_fixed_size: 0
    .kernarg_segment_align: 8
    .kernarg_segment_size: 72
    .language:       OpenCL C
    .language_version:
      - 2
      - 0
    .max_flat_workgroup_size: 128
    .name:           _ZN4vllm3moe10topkGatingILi4ELi4ELi4ELi8ELi32El6__halfLNS0_11ScoringFuncE1EEEvPKT5_PKbPfiPT4_PiiiibPKf
    .private_segment_fixed_size: 0
    .sgpr_count:     28
    .sgpr_spill_count: 0
    .symbol:         _ZN4vllm3moe10topkGatingILi4ELi4ELi4ELi8ELi32El6__halfLNS0_11ScoringFuncE1EEEvPKT5_PKbPfiPT4_PiiiibPKf.kd
    .uniform_work_group_size: 1
    .uses_dynamic_stack: false
    .vgpr_count:     26
    .vgpr_spill_count: 0
    .wavefront_size: 64
  - .agpr_count:     0
    .args:
      - .address_space:  global
        .offset:         0
        .size:           8
        .value_kind:     global_buffer
      - .address_space:  global
        .offset:         8
        .size:           8
        .value_kind:     global_buffer
      - .address_space:  global
        .offset:         16
        .size:           8
        .value_kind:     global_buffer
      - .offset:         24
        .size:           4
        .value_kind:     by_value
      - .address_space:  global
        .offset:         32
        .size:           8
        .value_kind:     global_buffer
      - .address_space:  global
        .offset:         40
        .size:           8
        .value_kind:     global_buffer
      - .offset:         48
        .size:           4
        .value_kind:     by_value
      - .offset:         52
        .size:           4
        .value_kind:     by_value
      - .offset:         56
        .size:           4
        .value_kind:     by_value
      - .offset:         60
        .size:           1
        .value_kind:     by_value
      - .address_space:  global
        .offset:         64
        .size:           8
        .value_kind:     global_buffer
    .group_segment_fixed_size: 0
    .kernarg_segment_align: 8
    .kernarg_segment_size: 72
    .language:       OpenCL C
    .language_version:
      - 2
      - 0
    .max_flat_workgroup_size: 256
    .name:           _ZN4vllm3moe10topkGatingILi8ELi8ELi4ELi16ELi64El6__halfLNS0_11ScoringFuncE1EEEvPKT5_PKbPfiPT4_PiiiibPKf
    .private_segment_fixed_size: 0
    .sgpr_count:     32
    .sgpr_spill_count: 0
    .symbol:         _ZN4vllm3moe10topkGatingILi8ELi8ELi4ELi16ELi64El6__halfLNS0_11ScoringFuncE1EEEvPKT5_PKbPfiPT4_PiiiibPKf.kd
    .uniform_work_group_size: 1
    .uses_dynamic_stack: false
    .vgpr_count:     35
    .vgpr_spill_count: 0
    .wavefront_size: 64
  - .agpr_count:     0
    .args:
      - .address_space:  global
        .offset:         0
        .size:           8
        .value_kind:     global_buffer
      - .address_space:  global
        .offset:         8
        .size:           8
        .value_kind:     global_buffer
      - .address_space:  global
        .offset:         16
        .size:           8
        .value_kind:     global_buffer
      - .offset:         24
        .size:           4
        .value_kind:     by_value
      - .address_space:  global
        .offset:         32
        .size:           8
        .value_kind:     global_buffer
      - .address_space:  global
        .offset:         40
        .size:           8
        .value_kind:     global_buffer
      - .offset:         48
        .size:           4
        .value_kind:     by_value
      - .offset:         52
        .size:           4
        .value_kind:     by_value
      - .offset:         56
        .size:           4
        .value_kind:     by_value
      - .offset:         60
        .size:           1
        .value_kind:     by_value
      - .address_space:  global
        .offset:         64
        .size:           8
        .value_kind:     global_buffer
    .group_segment_fixed_size: 0
    .kernarg_segment_align: 8
    .kernarg_segment_size: 72
    .language:       OpenCL C
    .language_version:
      - 2
      - 0
    .max_flat_workgroup_size: 128
    .name:           _ZN4vllm3moe10topkGatingILi8ELi8ELi4ELi16ELi32El6__halfLNS0_11ScoringFuncE1EEEvPKT5_PKbPfiPT4_PiiiibPKf
    .private_segment_fixed_size: 0
    .sgpr_count:     32
    .sgpr_spill_count: 0
    .symbol:         _ZN4vllm3moe10topkGatingILi8ELi8ELi4ELi16ELi32El6__halfLNS0_11ScoringFuncE1EEEvPKT5_PKbPfiPT4_PiiiibPKf.kd
    .uniform_work_group_size: 1
    .uses_dynamic_stack: false
    .vgpr_count:     35
    .vgpr_spill_count: 0
    .wavefront_size: 64
  - .agpr_count:     0
    .args:
      - .address_space:  global
        .offset:         0
        .size:           8
        .value_kind:     global_buffer
      - .address_space:  global
        .offset:         8
        .size:           8
        .value_kind:     global_buffer
      - .address_space:  global
        .offset:         16
        .size:           8
        .value_kind:     global_buffer
      - .offset:         24
        .size:           4
        .value_kind:     by_value
      - .address_space:  global
        .offset:         32
        .size:           8
        .value_kind:     global_buffer
      - .address_space:  global
        .offset:         40
        .size:           8
        .value_kind:     global_buffer
      - .offset:         48
        .size:           4
        .value_kind:     by_value
      - .offset:         52
        .size:           4
        .value_kind:     by_value
      - .offset:         56
        .size:           4
        .value_kind:     by_value
      - .offset:         60
        .size:           1
        .value_kind:     by_value
      - .address_space:  global
        .offset:         64
        .size:           8
        .value_kind:     global_buffer
    .group_segment_fixed_size: 0
    .kernarg_segment_align: 8
    .kernarg_segment_size: 72
    .language:       OpenCL C
    .language_version:
      - 2
      - 0
    .max_flat_workgroup_size: 256
    .name:           _ZN4vllm3moe10topkGatingILi8ELi16ELi4ELi16ELi64El6__halfLNS0_11ScoringFuncE1EEEvPKT5_PKbPfiPT4_PiiiibPKf
    .private_segment_fixed_size: 0
    .sgpr_count:     30
    .sgpr_spill_count: 0
    .symbol:         _ZN4vllm3moe10topkGatingILi8ELi16ELi4ELi16ELi64El6__halfLNS0_11ScoringFuncE1EEEvPKT5_PKbPfiPT4_PiiiibPKf.kd
    .uniform_work_group_size: 1
    .uses_dynamic_stack: false
    .vgpr_count:     34
    .vgpr_spill_count: 0
    .wavefront_size: 64
  - .agpr_count:     0
    .args:
      - .address_space:  global
        .offset:         0
        .size:           8
        .value_kind:     global_buffer
      - .address_space:  global
        .offset:         8
        .size:           8
        .value_kind:     global_buffer
      - .address_space:  global
        .offset:         16
        .size:           8
        .value_kind:     global_buffer
      - .offset:         24
        .size:           4
        .value_kind:     by_value
      - .address_space:  global
        .offset:         32
        .size:           8
        .value_kind:     global_buffer
      - .address_space:  global
        .offset:         40
        .size:           8
        .value_kind:     global_buffer
      - .offset:         48
        .size:           4
        .value_kind:     by_value
      - .offset:         52
        .size:           4
        .value_kind:     by_value
      - .offset:         56
        .size:           4
        .value_kind:     by_value
      - .offset:         60
        .size:           1
        .value_kind:     by_value
      - .address_space:  global
        .offset:         64
        .size:           8
        .value_kind:     global_buffer
    .group_segment_fixed_size: 0
    .kernarg_segment_align: 8
    .kernarg_segment_size: 72
    .language:       OpenCL C
    .language_version:
      - 2
      - 0
    .max_flat_workgroup_size: 128
    .name:           _ZN4vllm3moe10topkGatingILi8ELi16ELi4ELi16ELi32El6__halfLNS0_11ScoringFuncE1EEEvPKT5_PKbPfiPT4_PiiiibPKf
    .private_segment_fixed_size: 0
    .sgpr_count:     30
    .sgpr_spill_count: 0
    .symbol:         _ZN4vllm3moe10topkGatingILi8ELi16ELi4ELi16ELi32El6__halfLNS0_11ScoringFuncE1EEEvPKT5_PKbPfiPT4_PiiiibPKf.kd
    .uniform_work_group_size: 1
    .uses_dynamic_stack: false
    .vgpr_count:     34
    .vgpr_spill_count: 0
    .wavefront_size: 64
  - .agpr_count:     0
    .args:
      - .address_space:  global
        .offset:         0
        .size:           8
        .value_kind:     global_buffer
      - .address_space:  global
        .offset:         8
        .size:           8
        .value_kind:     global_buffer
      - .address_space:  global
        .offset:         16
        .size:           8
        .value_kind:     global_buffer
      - .offset:         24
        .size:           4
        .value_kind:     by_value
      - .address_space:  global
        .offset:         32
        .size:           8
        .value_kind:     global_buffer
      - .address_space:  global
        .offset:         40
        .size:           8
        .value_kind:     global_buffer
      - .offset:         48
        .size:           4
        .value_kind:     by_value
      - .offset:         52
        .size:           4
        .value_kind:     by_value
      - .offset:         56
        .size:           4
        .value_kind:     by_value
      - .offset:         60
        .size:           1
        .value_kind:     by_value
      - .address_space:  global
        .offset:         64
        .size:           8
        .value_kind:     global_buffer
    .group_segment_fixed_size: 0
    .kernarg_segment_align: 8
    .kernarg_segment_size: 72
    .language:       OpenCL C
    .language_version:
      - 2
      - 0
    .max_flat_workgroup_size: 256
    .name:           _ZN4vllm3moe10topkGatingILi8ELi32ELi4ELi16ELi64El6__halfLNS0_11ScoringFuncE1EEEvPKT5_PKbPfiPT4_PiiiibPKf
    .private_segment_fixed_size: 0
    .sgpr_count:     30
    .sgpr_spill_count: 0
    .symbol:         _ZN4vllm3moe10topkGatingILi8ELi32ELi4ELi16ELi64El6__halfLNS0_11ScoringFuncE1EEEvPKT5_PKbPfiPT4_PiiiibPKf.kd
    .uniform_work_group_size: 1
    .uses_dynamic_stack: false
    .vgpr_count:     34
    .vgpr_spill_count: 0
    .wavefront_size: 64
  - .agpr_count:     0
    .args:
      - .address_space:  global
        .offset:         0
        .size:           8
        .value_kind:     global_buffer
      - .address_space:  global
        .offset:         8
        .size:           8
        .value_kind:     global_buffer
      - .address_space:  global
        .offset:         16
        .size:           8
        .value_kind:     global_buffer
      - .offset:         24
        .size:           4
        .value_kind:     by_value
      - .address_space:  global
        .offset:         32
        .size:           8
        .value_kind:     global_buffer
      - .address_space:  global
        .offset:         40
        .size:           8
        .value_kind:     global_buffer
      - .offset:         48
        .size:           4
        .value_kind:     by_value
      - .offset:         52
        .size:           4
        .value_kind:     by_value
      - .offset:         56
        .size:           4
        .value_kind:     by_value
      - .offset:         60
        .size:           1
        .value_kind:     by_value
      - .address_space:  global
        .offset:         64
        .size:           8
        .value_kind:     global_buffer
    .group_segment_fixed_size: 0
    .kernarg_segment_align: 8
    .kernarg_segment_size: 72
    .language:       OpenCL C
    .language_version:
      - 2
      - 0
    .max_flat_workgroup_size: 128
    .name:           _ZN4vllm3moe10topkGatingILi8ELi32ELi4ELi16ELi32El6__halfLNS0_11ScoringFuncE1EEEvPKT5_PKbPfiPT4_PiiiibPKf
    .private_segment_fixed_size: 0
    .sgpr_count:     30
    .sgpr_spill_count: 0
    .symbol:         _ZN4vllm3moe10topkGatingILi8ELi32ELi4ELi16ELi32El6__halfLNS0_11ScoringFuncE1EEEvPKT5_PKbPfiPT4_PiiiibPKf.kd
    .uniform_work_group_size: 1
    .uses_dynamic_stack: false
    .vgpr_count:     34
    .vgpr_spill_count: 0
    .wavefront_size: 64
  - .agpr_count:     0
    .args:
      - .address_space:  global
        .offset:         0
        .size:           8
        .value_kind:     global_buffer
      - .address_space:  global
        .offset:         8
        .size:           8
        .value_kind:     global_buffer
      - .address_space:  global
        .offset:         16
        .size:           8
        .value_kind:     global_buffer
      - .offset:         24
        .size:           4
        .value_kind:     by_value
      - .address_space:  global
        .offset:         32
        .size:           8
        .value_kind:     global_buffer
      - .address_space:  global
        .offset:         40
        .size:           8
        .value_kind:     global_buffer
      - .offset:         48
        .size:           4
        .value_kind:     by_value
      - .offset:         52
        .size:           4
        .value_kind:     by_value
      - .offset:         56
        .size:           4
        .value_kind:     by_value
      - .offset:         60
        .size:           1
        .value_kind:     by_value
      - .address_space:  global
        .offset:         64
        .size:           8
        .value_kind:     global_buffer
    .group_segment_fixed_size: 0
    .kernarg_segment_align: 8
    .kernarg_segment_size: 72
    .language:       OpenCL C
    .language_version:
      - 2
      - 0
    .max_flat_workgroup_size: 256
    .name:           _ZN4vllm3moe10topkGatingILi8ELi64ELi4ELi16ELi64El6__halfLNS0_11ScoringFuncE1EEEvPKT5_PKbPfiPT4_PiiiibPKf
    .private_segment_fixed_size: 0
    .sgpr_count:     30
    .sgpr_spill_count: 0
    .symbol:         _ZN4vllm3moe10topkGatingILi8ELi64ELi4ELi16ELi64El6__halfLNS0_11ScoringFuncE1EEEvPKT5_PKbPfiPT4_PiiiibPKf.kd
    .uniform_work_group_size: 1
    .uses_dynamic_stack: false
    .vgpr_count:     35
    .vgpr_spill_count: 0
    .wavefront_size: 64
  - .agpr_count:     0
    .args:
      - .address_space:  global
        .offset:         0
        .size:           8
        .value_kind:     global_buffer
      - .address_space:  global
        .offset:         8
        .size:           8
        .value_kind:     global_buffer
      - .address_space:  global
        .offset:         16
        .size:           8
        .value_kind:     global_buffer
      - .offset:         24
        .size:           4
        .value_kind:     by_value
      - .address_space:  global
        .offset:         32
        .size:           8
        .value_kind:     global_buffer
      - .address_space:  global
        .offset:         40
        .size:           8
        .value_kind:     global_buffer
      - .offset:         48
        .size:           4
        .value_kind:     by_value
      - .offset:         52
        .size:           4
        .value_kind:     by_value
      - .offset:         56
        .size:           4
        .value_kind:     by_value
      - .offset:         60
        .size:           1
        .value_kind:     by_value
      - .address_space:  global
        .offset:         64
        .size:           8
        .value_kind:     global_buffer
    .group_segment_fixed_size: 0
    .kernarg_segment_align: 8
    .kernarg_segment_size: 72
    .language:       OpenCL C
    .language_version:
      - 2
      - 0
    .max_flat_workgroup_size: 128
    .name:           _ZN4vllm3moe10topkGatingILi8ELi64ELi4ELi16ELi32El6__halfLNS0_11ScoringFuncE1EEEvPKT5_PKbPfiPT4_PiiiibPKf
    .private_segment_fixed_size: 0
    .sgpr_count:     30
    .sgpr_spill_count: 0
    .symbol:         _ZN4vllm3moe10topkGatingILi8ELi64ELi4ELi16ELi32El6__halfLNS0_11ScoringFuncE1EEEvPKT5_PKbPfiPT4_PiiiibPKf.kd
    .uniform_work_group_size: 1
    .uses_dynamic_stack: false
    .vgpr_count:     35
    .vgpr_spill_count: 0
    .wavefront_size: 64
  - .agpr_count:     0
    .args:
      - .address_space:  global
        .offset:         0
        .size:           8
        .value_kind:     global_buffer
      - .address_space:  global
        .offset:         8
        .size:           8
        .value_kind:     global_buffer
      - .address_space:  global
        .offset:         16
        .size:           8
        .value_kind:     global_buffer
      - .offset:         24
        .size:           4
        .value_kind:     by_value
      - .address_space:  global
        .offset:         32
        .size:           8
        .value_kind:     global_buffer
      - .address_space:  global
        .offset:         40
        .size:           8
        .value_kind:     global_buffer
      - .offset:         48
        .size:           4
        .value_kind:     by_value
      - .offset:         52
        .size:           4
        .value_kind:     by_value
      - .offset:         56
        .size:           4
        .value_kind:     by_value
      - .offset:         60
        .size:           1
        .value_kind:     by_value
      - .address_space:  global
        .offset:         64
        .size:           8
        .value_kind:     global_buffer
    .group_segment_fixed_size: 0
    .kernarg_segment_align: 8
    .kernarg_segment_size: 72
    .language:       OpenCL C
    .language_version:
      - 2
      - 0
    .max_flat_workgroup_size: 256
    .name:           _ZN4vllm3moe10topkGatingILi8ELi128ELi4ELi16ELi64El6__halfLNS0_11ScoringFuncE1EEEvPKT5_PKbPfiPT4_PiiiibPKf
    .private_segment_fixed_size: 0
    .sgpr_count:     30
    .sgpr_spill_count: 0
    .symbol:         _ZN4vllm3moe10topkGatingILi8ELi128ELi4ELi16ELi64El6__halfLNS0_11ScoringFuncE1EEEvPKT5_PKbPfiPT4_PiiiibPKf.kd
    .uniform_work_group_size: 1
    .uses_dynamic_stack: false
    .vgpr_count:     37
    .vgpr_spill_count: 0
    .wavefront_size: 64
  - .agpr_count:     0
    .args:
      - .address_space:  global
        .offset:         0
        .size:           8
        .value_kind:     global_buffer
      - .address_space:  global
        .offset:         8
        .size:           8
        .value_kind:     global_buffer
      - .address_space:  global
        .offset:         16
        .size:           8
        .value_kind:     global_buffer
      - .offset:         24
        .size:           4
        .value_kind:     by_value
      - .address_space:  global
        .offset:         32
        .size:           8
        .value_kind:     global_buffer
      - .address_space:  global
        .offset:         40
        .size:           8
        .value_kind:     global_buffer
      - .offset:         48
        .size:           4
        .value_kind:     by_value
      - .offset:         52
        .size:           4
        .value_kind:     by_value
      - .offset:         56
        .size:           4
        .value_kind:     by_value
      - .offset:         60
        .size:           1
        .value_kind:     by_value
      - .address_space:  global
        .offset:         64
        .size:           8
        .value_kind:     global_buffer
    .group_segment_fixed_size: 0
    .kernarg_segment_align: 8
    .kernarg_segment_size: 72
    .language:       OpenCL C
    .language_version:
      - 2
      - 0
    .max_flat_workgroup_size: 128
    .name:           _ZN4vllm3moe10topkGatingILi8ELi128ELi4ELi16ELi32El6__halfLNS0_11ScoringFuncE1EEEvPKT5_PKbPfiPT4_PiiiibPKf
    .private_segment_fixed_size: 0
    .sgpr_count:     30
    .sgpr_spill_count: 0
    .symbol:         _ZN4vllm3moe10topkGatingILi8ELi128ELi4ELi16ELi32El6__halfLNS0_11ScoringFuncE1EEEvPKT5_PKbPfiPT4_PiiiibPKf.kd
    .uniform_work_group_size: 1
    .uses_dynamic_stack: false
    .vgpr_count:     37
    .vgpr_spill_count: 0
    .wavefront_size: 64
  - .agpr_count:     0
    .args:
      - .address_space:  global
        .offset:         0
        .size:           8
        .value_kind:     global_buffer
      - .address_space:  global
        .offset:         8
        .size:           8
        .value_kind:     global_buffer
      - .address_space:  global
        .offset:         16
        .size:           8
        .value_kind:     global_buffer
      - .offset:         24
        .size:           4
        .value_kind:     by_value
      - .address_space:  global
        .offset:         32
        .size:           8
        .value_kind:     global_buffer
      - .address_space:  global
        .offset:         40
        .size:           8
        .value_kind:     global_buffer
      - .offset:         48
        .size:           4
        .value_kind:     by_value
      - .offset:         52
        .size:           4
        .value_kind:     by_value
      - .offset:         56
        .size:           4
        .value_kind:     by_value
      - .offset:         60
        .size:           1
        .value_kind:     by_value
      - .address_space:  global
        .offset:         64
        .size:           8
        .value_kind:     global_buffer
    .group_segment_fixed_size: 0
    .kernarg_segment_align: 8
    .kernarg_segment_size: 72
    .language:       OpenCL C
    .language_version:
      - 2
      - 0
    .max_flat_workgroup_size: 256
    .name:           _ZN4vllm3moe10topkGatingILi8ELi256ELi4ELi16ELi64El6__halfLNS0_11ScoringFuncE1EEEvPKT5_PKbPfiPT4_PiiiibPKf
    .private_segment_fixed_size: 0
    .sgpr_count:     30
    .sgpr_spill_count: 0
    .symbol:         _ZN4vllm3moe10topkGatingILi8ELi256ELi4ELi16ELi64El6__halfLNS0_11ScoringFuncE1EEEvPKT5_PKbPfiPT4_PiiiibPKf.kd
    .uniform_work_group_size: 1
    .uses_dynamic_stack: false
    .vgpr_count:     38
    .vgpr_spill_count: 0
    .wavefront_size: 64
  - .agpr_count:     0
    .args:
      - .address_space:  global
        .offset:         0
        .size:           8
        .value_kind:     global_buffer
      - .address_space:  global
        .offset:         8
        .size:           8
        .value_kind:     global_buffer
      - .address_space:  global
        .offset:         16
        .size:           8
        .value_kind:     global_buffer
      - .offset:         24
        .size:           4
        .value_kind:     by_value
      - .address_space:  global
        .offset:         32
        .size:           8
        .value_kind:     global_buffer
      - .address_space:  global
        .offset:         40
        .size:           8
        .value_kind:     global_buffer
      - .offset:         48
        .size:           4
        .value_kind:     by_value
      - .offset:         52
        .size:           4
        .value_kind:     by_value
      - .offset:         56
        .size:           4
        .value_kind:     by_value
      - .offset:         60
        .size:           1
        .value_kind:     by_value
      - .address_space:  global
        .offset:         64
        .size:           8
        .value_kind:     global_buffer
    .group_segment_fixed_size: 0
    .kernarg_segment_align: 8
    .kernarg_segment_size: 72
    .language:       OpenCL C
    .language_version:
      - 2
      - 0
    .max_flat_workgroup_size: 128
    .name:           _ZN4vllm3moe10topkGatingILi8ELi256ELi4ELi16ELi32El6__halfLNS0_11ScoringFuncE1EEEvPKT5_PKbPfiPT4_PiiiibPKf
    .private_segment_fixed_size: 0
    .sgpr_count:     30
    .sgpr_spill_count: 0
    .symbol:         _ZN4vllm3moe10topkGatingILi8ELi256ELi4ELi16ELi32El6__halfLNS0_11ScoringFuncE1EEEvPKT5_PKbPfiPT4_PiiiibPKf.kd
    .uniform_work_group_size: 1
    .uses_dynamic_stack: false
    .vgpr_count:     38
    .vgpr_spill_count: 0
    .wavefront_size: 64
  - .agpr_count:     0
    .args:
      - .address_space:  global
        .offset:         0
        .size:           8
        .value_kind:     global_buffer
      - .address_space:  global
        .offset:         8
        .size:           8
        .value_kind:     global_buffer
      - .address_space:  global
        .offset:         16
        .size:           8
        .value_kind:     global_buffer
      - .offset:         24
        .size:           4
        .value_kind:     by_value
      - .address_space:  global
        .offset:         32
        .size:           8
        .value_kind:     global_buffer
      - .address_space:  global
        .offset:         40
        .size:           8
        .value_kind:     global_buffer
      - .offset:         48
        .size:           4
        .value_kind:     by_value
      - .offset:         52
        .size:           4
        .value_kind:     by_value
      - .offset:         56
        .size:           4
        .value_kind:     by_value
      - .offset:         60
        .size:           1
        .value_kind:     by_value
      - .address_space:  global
        .offset:         64
        .size:           8
        .value_kind:     global_buffer
    .group_segment_fixed_size: 0
    .kernarg_segment_align: 8
    .kernarg_segment_size: 72
    .language:       OpenCL C
    .language_version:
      - 2
      - 0
    .max_flat_workgroup_size: 256
    .name:           _ZN4vllm3moe10topkGatingILi8ELi512ELi4ELi16ELi64El6__halfLNS0_11ScoringFuncE1EEEvPKT5_PKbPfiPT4_PiiiibPKf
    .private_segment_fixed_size: 0
    .sgpr_count:     30
    .sgpr_spill_count: 0
    .symbol:         _ZN4vllm3moe10topkGatingILi8ELi512ELi4ELi16ELi64El6__halfLNS0_11ScoringFuncE1EEEvPKT5_PKbPfiPT4_PiiiibPKf.kd
    .uniform_work_group_size: 1
    .uses_dynamic_stack: false
    .vgpr_count:     39
    .vgpr_spill_count: 0
    .wavefront_size: 64
  - .agpr_count:     0
    .args:
      - .address_space:  global
        .offset:         0
        .size:           8
        .value_kind:     global_buffer
      - .address_space:  global
        .offset:         8
        .size:           8
        .value_kind:     global_buffer
      - .address_space:  global
        .offset:         16
        .size:           8
        .value_kind:     global_buffer
      - .offset:         24
        .size:           4
        .value_kind:     by_value
      - .address_space:  global
        .offset:         32
        .size:           8
        .value_kind:     global_buffer
      - .address_space:  global
        .offset:         40
        .size:           8
        .value_kind:     global_buffer
      - .offset:         48
        .size:           4
        .value_kind:     by_value
      - .offset:         52
        .size:           4
        .value_kind:     by_value
      - .offset:         56
        .size:           4
        .value_kind:     by_value
      - .offset:         60
        .size:           1
        .value_kind:     by_value
      - .address_space:  global
        .offset:         64
        .size:           8
        .value_kind:     global_buffer
    .group_segment_fixed_size: 0
    .kernarg_segment_align: 8
    .kernarg_segment_size: 72
    .language:       OpenCL C
    .language_version:
      - 2
      - 0
    .max_flat_workgroup_size: 128
    .name:           _ZN4vllm3moe10topkGatingILi16ELi512ELi4ELi16ELi32El6__halfLNS0_11ScoringFuncE1EEEvPKT5_PKbPfiPT4_PiiiibPKf
    .private_segment_fixed_size: 0
    .sgpr_count:     30
    .sgpr_spill_count: 0
    .symbol:         _ZN4vllm3moe10topkGatingILi16ELi512ELi4ELi16ELi32El6__halfLNS0_11ScoringFuncE1EEEvPKT5_PKbPfiPT4_PiiiibPKf.kd
    .uniform_work_group_size: 1
    .uses_dynamic_stack: false
    .vgpr_count:     62
    .vgpr_spill_count: 0
    .wavefront_size: 64
  - .agpr_count:     0
    .args:
      - .address_space:  global
        .offset:         0
        .size:           8
        .value_kind:     global_buffer
      - .address_space:  global
        .offset:         8
        .size:           8
        .value_kind:     global_buffer
      - .address_space:  global
        .offset:         16
        .size:           8
        .value_kind:     global_buffer
      - .offset:         24
        .size:           4
        .value_kind:     by_value
      - .address_space:  global
        .offset:         32
        .size:           8
        .value_kind:     global_buffer
      - .address_space:  global
        .offset:         40
        .size:           8
        .value_kind:     global_buffer
      - .offset:         48
        .size:           4
        .value_kind:     by_value
      - .offset:         52
        .size:           4
        .value_kind:     by_value
      - .offset:         56
        .size:           4
        .value_kind:     by_value
      - .offset:         60
        .size:           1
        .value_kind:     by_value
      - .address_space:  global
        .offset:         64
        .size:           8
        .value_kind:     global_buffer
    .group_segment_fixed_size: 0
    .kernarg_segment_align: 8
    .kernarg_segment_size: 72
    .language:       OpenCL C
    .language_version:
      - 2
      - 0
    .max_flat_workgroup_size: 256
    .name:           _ZN4vllm3moe10topkGatingILi1ELi1ELi4ELi2ELi64Ei14__hip_bfloat16LNS0_11ScoringFuncE1EEEvPKT5_PKbPfiPT4_PiiiibPKf
    .private_segment_fixed_size: 0
    .sgpr_count:     24
    .sgpr_spill_count: 0
    .symbol:         _ZN4vllm3moe10topkGatingILi1ELi1ELi4ELi2ELi64Ei14__hip_bfloat16LNS0_11ScoringFuncE1EEEvPKT5_PKbPfiPT4_PiiiibPKf.kd
    .uniform_work_group_size: 1
    .uses_dynamic_stack: false
    .vgpr_count:     19
    .vgpr_spill_count: 0
    .wavefront_size: 64
  - .agpr_count:     0
    .args:
      - .address_space:  global
        .offset:         0
        .size:           8
        .value_kind:     global_buffer
      - .address_space:  global
        .offset:         8
        .size:           8
        .value_kind:     global_buffer
      - .address_space:  global
        .offset:         16
        .size:           8
        .value_kind:     global_buffer
      - .offset:         24
        .size:           4
        .value_kind:     by_value
      - .address_space:  global
        .offset:         32
        .size:           8
        .value_kind:     global_buffer
      - .address_space:  global
        .offset:         40
        .size:           8
        .value_kind:     global_buffer
      - .offset:         48
        .size:           4
        .value_kind:     by_value
      - .offset:         52
        .size:           4
        .value_kind:     by_value
      - .offset:         56
        .size:           4
        .value_kind:     by_value
      - .offset:         60
        .size:           1
        .value_kind:     by_value
      - .address_space:  global
        .offset:         64
        .size:           8
        .value_kind:     global_buffer
    .group_segment_fixed_size: 0
    .kernarg_segment_align: 8
    .kernarg_segment_size: 72
    .language:       OpenCL C
    .language_version:
      - 2
      - 0
    .max_flat_workgroup_size: 128
    .name:           _ZN4vllm3moe10topkGatingILi1ELi1ELi4ELi2ELi32Ei14__hip_bfloat16LNS0_11ScoringFuncE1EEEvPKT5_PKbPfiPT4_PiiiibPKf
    .private_segment_fixed_size: 0
    .sgpr_count:     24
    .sgpr_spill_count: 0
    .symbol:         _ZN4vllm3moe10topkGatingILi1ELi1ELi4ELi2ELi32Ei14__hip_bfloat16LNS0_11ScoringFuncE1EEEvPKT5_PKbPfiPT4_PiiiibPKf.kd
    .uniform_work_group_size: 1
    .uses_dynamic_stack: false
    .vgpr_count:     19
    .vgpr_spill_count: 0
    .wavefront_size: 64
  - .agpr_count:     0
    .args:
      - .address_space:  global
        .offset:         0
        .size:           8
        .value_kind:     global_buffer
      - .address_space:  global
        .offset:         8
        .size:           8
        .value_kind:     global_buffer
      - .address_space:  global
        .offset:         16
        .size:           8
        .value_kind:     global_buffer
      - .offset:         24
        .size:           4
        .value_kind:     by_value
      - .address_space:  global
        .offset:         32
        .size:           8
        .value_kind:     global_buffer
      - .address_space:  global
        .offset:         40
        .size:           8
        .value_kind:     global_buffer
      - .offset:         48
        .size:           4
        .value_kind:     by_value
      - .offset:         52
        .size:           4
        .value_kind:     by_value
      - .offset:         56
        .size:           4
        .value_kind:     by_value
      - .offset:         60
        .size:           1
        .value_kind:     by_value
      - .address_space:  global
        .offset:         64
        .size:           8
        .value_kind:     global_buffer
    .group_segment_fixed_size: 0
    .kernarg_segment_align: 8
    .kernarg_segment_size: 72
    .language:       OpenCL C
    .language_version:
      - 2
      - 0
    .max_flat_workgroup_size: 256
    .name:           _ZN4vllm3moe10topkGatingILi2ELi2ELi4ELi4ELi64Ei14__hip_bfloat16LNS0_11ScoringFuncE1EEEvPKT5_PKbPfiPT4_PiiiibPKf
    .private_segment_fixed_size: 0
    .sgpr_count:     28
    .sgpr_spill_count: 0
    .symbol:         _ZN4vllm3moe10topkGatingILi2ELi2ELi4ELi4ELi64Ei14__hip_bfloat16LNS0_11ScoringFuncE1EEEvPKT5_PKbPfiPT4_PiiiibPKf.kd
    .uniform_work_group_size: 1
    .uses_dynamic_stack: false
    .vgpr_count:     19
    .vgpr_spill_count: 0
    .wavefront_size: 64
  - .agpr_count:     0
    .args:
      - .address_space:  global
        .offset:         0
        .size:           8
        .value_kind:     global_buffer
      - .address_space:  global
        .offset:         8
        .size:           8
        .value_kind:     global_buffer
      - .address_space:  global
        .offset:         16
        .size:           8
        .value_kind:     global_buffer
      - .offset:         24
        .size:           4
        .value_kind:     by_value
      - .address_space:  global
        .offset:         32
        .size:           8
        .value_kind:     global_buffer
      - .address_space:  global
        .offset:         40
        .size:           8
        .value_kind:     global_buffer
      - .offset:         48
        .size:           4
        .value_kind:     by_value
      - .offset:         52
        .size:           4
        .value_kind:     by_value
      - .offset:         56
        .size:           4
        .value_kind:     by_value
      - .offset:         60
        .size:           1
        .value_kind:     by_value
      - .address_space:  global
        .offset:         64
        .size:           8
        .value_kind:     global_buffer
    .group_segment_fixed_size: 0
    .kernarg_segment_align: 8
    .kernarg_segment_size: 72
    .language:       OpenCL C
    .language_version:
      - 2
      - 0
    .max_flat_workgroup_size: 128
    .name:           _ZN4vllm3moe10topkGatingILi2ELi2ELi4ELi4ELi32Ei14__hip_bfloat16LNS0_11ScoringFuncE1EEEvPKT5_PKbPfiPT4_PiiiibPKf
    .private_segment_fixed_size: 0
    .sgpr_count:     28
    .sgpr_spill_count: 0
    .symbol:         _ZN4vllm3moe10topkGatingILi2ELi2ELi4ELi4ELi32Ei14__hip_bfloat16LNS0_11ScoringFuncE1EEEvPKT5_PKbPfiPT4_PiiiibPKf.kd
    .uniform_work_group_size: 1
    .uses_dynamic_stack: false
    .vgpr_count:     19
    .vgpr_spill_count: 0
    .wavefront_size: 64
  - .agpr_count:     0
    .args:
      - .address_space:  global
        .offset:         0
        .size:           8
        .value_kind:     global_buffer
      - .address_space:  global
        .offset:         8
        .size:           8
        .value_kind:     global_buffer
      - .address_space:  global
        .offset:         16
        .size:           8
        .value_kind:     global_buffer
      - .offset:         24
        .size:           4
        .value_kind:     by_value
      - .address_space:  global
        .offset:         32
        .size:           8
        .value_kind:     global_buffer
      - .address_space:  global
        .offset:         40
        .size:           8
        .value_kind:     global_buffer
      - .offset:         48
        .size:           4
        .value_kind:     by_value
      - .offset:         52
        .size:           4
        .value_kind:     by_value
      - .offset:         56
        .size:           4
        .value_kind:     by_value
      - .offset:         60
        .size:           1
        .value_kind:     by_value
      - .address_space:  global
        .offset:         64
        .size:           8
        .value_kind:     global_buffer
    .group_segment_fixed_size: 0
    .kernarg_segment_align: 8
    .kernarg_segment_size: 72
    .language:       OpenCL C
    .language_version:
      - 2
      - 0
    .max_flat_workgroup_size: 256
    .name:           _ZN4vllm3moe10topkGatingILi4ELi4ELi4ELi8ELi64Ei14__hip_bfloat16LNS0_11ScoringFuncE1EEEvPKT5_PKbPfiPT4_PiiiibPKf
    .private_segment_fixed_size: 0
    .sgpr_count:     28
    .sgpr_spill_count: 0
    .symbol:         _ZN4vllm3moe10topkGatingILi4ELi4ELi4ELi8ELi64Ei14__hip_bfloat16LNS0_11ScoringFuncE1EEEvPKT5_PKbPfiPT4_PiiiibPKf.kd
    .uniform_work_group_size: 1
    .uses_dynamic_stack: false
    .vgpr_count:     24
    .vgpr_spill_count: 0
    .wavefront_size: 64
  - .agpr_count:     0
    .args:
      - .address_space:  global
        .offset:         0
        .size:           8
        .value_kind:     global_buffer
      - .address_space:  global
        .offset:         8
        .size:           8
        .value_kind:     global_buffer
      - .address_space:  global
        .offset:         16
        .size:           8
        .value_kind:     global_buffer
      - .offset:         24
        .size:           4
        .value_kind:     by_value
      - .address_space:  global
        .offset:         32
        .size:           8
        .value_kind:     global_buffer
      - .address_space:  global
        .offset:         40
        .size:           8
        .value_kind:     global_buffer
      - .offset:         48
        .size:           4
        .value_kind:     by_value
      - .offset:         52
        .size:           4
        .value_kind:     by_value
      - .offset:         56
        .size:           4
        .value_kind:     by_value
      - .offset:         60
        .size:           1
        .value_kind:     by_value
      - .address_space:  global
        .offset:         64
        .size:           8
        .value_kind:     global_buffer
    .group_segment_fixed_size: 0
    .kernarg_segment_align: 8
    .kernarg_segment_size: 72
    .language:       OpenCL C
    .language_version:
      - 2
      - 0
    .max_flat_workgroup_size: 128
    .name:           _ZN4vllm3moe10topkGatingILi4ELi4ELi4ELi8ELi32Ei14__hip_bfloat16LNS0_11ScoringFuncE1EEEvPKT5_PKbPfiPT4_PiiiibPKf
    .private_segment_fixed_size: 0
    .sgpr_count:     28
    .sgpr_spill_count: 0
    .symbol:         _ZN4vllm3moe10topkGatingILi4ELi4ELi4ELi8ELi32Ei14__hip_bfloat16LNS0_11ScoringFuncE1EEEvPKT5_PKbPfiPT4_PiiiibPKf.kd
    .uniform_work_group_size: 1
    .uses_dynamic_stack: false
    .vgpr_count:     24
    .vgpr_spill_count: 0
    .wavefront_size: 64
  - .agpr_count:     0
    .args:
      - .address_space:  global
        .offset:         0
        .size:           8
        .value_kind:     global_buffer
      - .address_space:  global
        .offset:         8
        .size:           8
        .value_kind:     global_buffer
      - .address_space:  global
        .offset:         16
        .size:           8
        .value_kind:     global_buffer
      - .offset:         24
        .size:           4
        .value_kind:     by_value
      - .address_space:  global
        .offset:         32
        .size:           8
        .value_kind:     global_buffer
      - .address_space:  global
        .offset:         40
        .size:           8
        .value_kind:     global_buffer
      - .offset:         48
        .size:           4
        .value_kind:     by_value
      - .offset:         52
        .size:           4
        .value_kind:     by_value
      - .offset:         56
        .size:           4
        .value_kind:     by_value
      - .offset:         60
        .size:           1
        .value_kind:     by_value
      - .address_space:  global
        .offset:         64
        .size:           8
        .value_kind:     global_buffer
    .group_segment_fixed_size: 0
    .kernarg_segment_align: 8
    .kernarg_segment_size: 72
    .language:       OpenCL C
    .language_version:
      - 2
      - 0
    .max_flat_workgroup_size: 256
    .name:           _ZN4vllm3moe10topkGatingILi8ELi8ELi4ELi16ELi64Ei14__hip_bfloat16LNS0_11ScoringFuncE1EEEvPKT5_PKbPfiPT4_PiiiibPKf
    .private_segment_fixed_size: 0
    .sgpr_count:     32
    .sgpr_spill_count: 0
    .symbol:         _ZN4vllm3moe10topkGatingILi8ELi8ELi4ELi16ELi64Ei14__hip_bfloat16LNS0_11ScoringFuncE1EEEvPKT5_PKbPfiPT4_PiiiibPKf.kd
    .uniform_work_group_size: 1
    .uses_dynamic_stack: false
    .vgpr_count:     32
    .vgpr_spill_count: 0
    .wavefront_size: 64
  - .agpr_count:     0
    .args:
      - .address_space:  global
        .offset:         0
        .size:           8
        .value_kind:     global_buffer
      - .address_space:  global
        .offset:         8
        .size:           8
        .value_kind:     global_buffer
      - .address_space:  global
        .offset:         16
        .size:           8
        .value_kind:     global_buffer
      - .offset:         24
        .size:           4
        .value_kind:     by_value
      - .address_space:  global
        .offset:         32
        .size:           8
        .value_kind:     global_buffer
      - .address_space:  global
        .offset:         40
        .size:           8
        .value_kind:     global_buffer
      - .offset:         48
        .size:           4
        .value_kind:     by_value
      - .offset:         52
        .size:           4
        .value_kind:     by_value
      - .offset:         56
        .size:           4
        .value_kind:     by_value
      - .offset:         60
        .size:           1
        .value_kind:     by_value
      - .address_space:  global
        .offset:         64
        .size:           8
        .value_kind:     global_buffer
    .group_segment_fixed_size: 0
    .kernarg_segment_align: 8
    .kernarg_segment_size: 72
    .language:       OpenCL C
    .language_version:
      - 2
      - 0
    .max_flat_workgroup_size: 128
    .name:           _ZN4vllm3moe10topkGatingILi8ELi8ELi4ELi16ELi32Ei14__hip_bfloat16LNS0_11ScoringFuncE1EEEvPKT5_PKbPfiPT4_PiiiibPKf
    .private_segment_fixed_size: 0
    .sgpr_count:     32
    .sgpr_spill_count: 0
    .symbol:         _ZN4vllm3moe10topkGatingILi8ELi8ELi4ELi16ELi32Ei14__hip_bfloat16LNS0_11ScoringFuncE1EEEvPKT5_PKbPfiPT4_PiiiibPKf.kd
    .uniform_work_group_size: 1
    .uses_dynamic_stack: false
    .vgpr_count:     32
    .vgpr_spill_count: 0
    .wavefront_size: 64
  - .agpr_count:     0
    .args:
      - .address_space:  global
        .offset:         0
        .size:           8
        .value_kind:     global_buffer
      - .address_space:  global
        .offset:         8
        .size:           8
        .value_kind:     global_buffer
      - .address_space:  global
        .offset:         16
        .size:           8
        .value_kind:     global_buffer
      - .offset:         24
        .size:           4
        .value_kind:     by_value
      - .address_space:  global
        .offset:         32
        .size:           8
        .value_kind:     global_buffer
      - .address_space:  global
        .offset:         40
        .size:           8
        .value_kind:     global_buffer
      - .offset:         48
        .size:           4
        .value_kind:     by_value
      - .offset:         52
        .size:           4
        .value_kind:     by_value
      - .offset:         56
        .size:           4
        .value_kind:     by_value
      - .offset:         60
        .size:           1
        .value_kind:     by_value
      - .address_space:  global
        .offset:         64
        .size:           8
        .value_kind:     global_buffer
    .group_segment_fixed_size: 0
    .kernarg_segment_align: 8
    .kernarg_segment_size: 72
    .language:       OpenCL C
    .language_version:
      - 2
      - 0
    .max_flat_workgroup_size: 256
    .name:           _ZN4vllm3moe10topkGatingILi8ELi16ELi4ELi16ELi64Ei14__hip_bfloat16LNS0_11ScoringFuncE1EEEvPKT5_PKbPfiPT4_PiiiibPKf
    .private_segment_fixed_size: 0
    .sgpr_count:     30
    .sgpr_spill_count: 0
    .symbol:         _ZN4vllm3moe10topkGatingILi8ELi16ELi4ELi16ELi64Ei14__hip_bfloat16LNS0_11ScoringFuncE1EEEvPKT5_PKbPfiPT4_PiiiibPKf.kd
    .uniform_work_group_size: 1
    .uses_dynamic_stack: false
    .vgpr_count:     34
    .vgpr_spill_count: 0
    .wavefront_size: 64
  - .agpr_count:     0
    .args:
      - .address_space:  global
        .offset:         0
        .size:           8
        .value_kind:     global_buffer
      - .address_space:  global
        .offset:         8
        .size:           8
        .value_kind:     global_buffer
      - .address_space:  global
        .offset:         16
        .size:           8
        .value_kind:     global_buffer
      - .offset:         24
        .size:           4
        .value_kind:     by_value
      - .address_space:  global
        .offset:         32
        .size:           8
        .value_kind:     global_buffer
      - .address_space:  global
        .offset:         40
        .size:           8
        .value_kind:     global_buffer
      - .offset:         48
        .size:           4
        .value_kind:     by_value
      - .offset:         52
        .size:           4
        .value_kind:     by_value
      - .offset:         56
        .size:           4
        .value_kind:     by_value
      - .offset:         60
        .size:           1
        .value_kind:     by_value
      - .address_space:  global
        .offset:         64
        .size:           8
        .value_kind:     global_buffer
    .group_segment_fixed_size: 0
    .kernarg_segment_align: 8
    .kernarg_segment_size: 72
    .language:       OpenCL C
    .language_version:
      - 2
      - 0
    .max_flat_workgroup_size: 128
    .name:           _ZN4vllm3moe10topkGatingILi8ELi16ELi4ELi16ELi32Ei14__hip_bfloat16LNS0_11ScoringFuncE1EEEvPKT5_PKbPfiPT4_PiiiibPKf
    .private_segment_fixed_size: 0
    .sgpr_count:     30
    .sgpr_spill_count: 0
    .symbol:         _ZN4vllm3moe10topkGatingILi8ELi16ELi4ELi16ELi32Ei14__hip_bfloat16LNS0_11ScoringFuncE1EEEvPKT5_PKbPfiPT4_PiiiibPKf.kd
    .uniform_work_group_size: 1
    .uses_dynamic_stack: false
    .vgpr_count:     34
    .vgpr_spill_count: 0
    .wavefront_size: 64
  - .agpr_count:     0
    .args:
      - .address_space:  global
        .offset:         0
        .size:           8
        .value_kind:     global_buffer
      - .address_space:  global
        .offset:         8
        .size:           8
        .value_kind:     global_buffer
      - .address_space:  global
        .offset:         16
        .size:           8
        .value_kind:     global_buffer
      - .offset:         24
        .size:           4
        .value_kind:     by_value
      - .address_space:  global
        .offset:         32
        .size:           8
        .value_kind:     global_buffer
      - .address_space:  global
        .offset:         40
        .size:           8
        .value_kind:     global_buffer
      - .offset:         48
        .size:           4
        .value_kind:     by_value
      - .offset:         52
        .size:           4
        .value_kind:     by_value
      - .offset:         56
        .size:           4
        .value_kind:     by_value
      - .offset:         60
        .size:           1
        .value_kind:     by_value
      - .address_space:  global
        .offset:         64
        .size:           8
        .value_kind:     global_buffer
    .group_segment_fixed_size: 0
    .kernarg_segment_align: 8
    .kernarg_segment_size: 72
    .language:       OpenCL C
    .language_version:
      - 2
      - 0
    .max_flat_workgroup_size: 256
    .name:           _ZN4vllm3moe10topkGatingILi8ELi32ELi4ELi16ELi64Ei14__hip_bfloat16LNS0_11ScoringFuncE1EEEvPKT5_PKbPfiPT4_PiiiibPKf
    .private_segment_fixed_size: 0
    .sgpr_count:     30
    .sgpr_spill_count: 0
    .symbol:         _ZN4vllm3moe10topkGatingILi8ELi32ELi4ELi16ELi64Ei14__hip_bfloat16LNS0_11ScoringFuncE1EEEvPKT5_PKbPfiPT4_PiiiibPKf.kd
    .uniform_work_group_size: 1
    .uses_dynamic_stack: false
    .vgpr_count:     34
    .vgpr_spill_count: 0
    .wavefront_size: 64
  - .agpr_count:     0
    .args:
      - .address_space:  global
        .offset:         0
        .size:           8
        .value_kind:     global_buffer
      - .address_space:  global
        .offset:         8
        .size:           8
        .value_kind:     global_buffer
      - .address_space:  global
        .offset:         16
        .size:           8
        .value_kind:     global_buffer
      - .offset:         24
        .size:           4
        .value_kind:     by_value
      - .address_space:  global
        .offset:         32
        .size:           8
        .value_kind:     global_buffer
      - .address_space:  global
        .offset:         40
        .size:           8
        .value_kind:     global_buffer
      - .offset:         48
        .size:           4
        .value_kind:     by_value
      - .offset:         52
        .size:           4
        .value_kind:     by_value
      - .offset:         56
        .size:           4
        .value_kind:     by_value
      - .offset:         60
        .size:           1
        .value_kind:     by_value
      - .address_space:  global
        .offset:         64
        .size:           8
        .value_kind:     global_buffer
    .group_segment_fixed_size: 0
    .kernarg_segment_align: 8
    .kernarg_segment_size: 72
    .language:       OpenCL C
    .language_version:
      - 2
      - 0
    .max_flat_workgroup_size: 128
    .name:           _ZN4vllm3moe10topkGatingILi8ELi32ELi4ELi16ELi32Ei14__hip_bfloat16LNS0_11ScoringFuncE1EEEvPKT5_PKbPfiPT4_PiiiibPKf
    .private_segment_fixed_size: 0
    .sgpr_count:     30
    .sgpr_spill_count: 0
    .symbol:         _ZN4vllm3moe10topkGatingILi8ELi32ELi4ELi16ELi32Ei14__hip_bfloat16LNS0_11ScoringFuncE1EEEvPKT5_PKbPfiPT4_PiiiibPKf.kd
    .uniform_work_group_size: 1
    .uses_dynamic_stack: false
    .vgpr_count:     34
    .vgpr_spill_count: 0
    .wavefront_size: 64
  - .agpr_count:     0
    .args:
      - .address_space:  global
        .offset:         0
        .size:           8
        .value_kind:     global_buffer
      - .address_space:  global
        .offset:         8
        .size:           8
        .value_kind:     global_buffer
      - .address_space:  global
        .offset:         16
        .size:           8
        .value_kind:     global_buffer
      - .offset:         24
        .size:           4
        .value_kind:     by_value
      - .address_space:  global
        .offset:         32
        .size:           8
        .value_kind:     global_buffer
      - .address_space:  global
        .offset:         40
        .size:           8
        .value_kind:     global_buffer
      - .offset:         48
        .size:           4
        .value_kind:     by_value
      - .offset:         52
        .size:           4
        .value_kind:     by_value
      - .offset:         56
        .size:           4
        .value_kind:     by_value
      - .offset:         60
        .size:           1
        .value_kind:     by_value
      - .address_space:  global
        .offset:         64
        .size:           8
        .value_kind:     global_buffer
    .group_segment_fixed_size: 0
    .kernarg_segment_align: 8
    .kernarg_segment_size: 72
    .language:       OpenCL C
    .language_version:
      - 2
      - 0
    .max_flat_workgroup_size: 256
    .name:           _ZN4vllm3moe10topkGatingILi8ELi64ELi4ELi16ELi64Ei14__hip_bfloat16LNS0_11ScoringFuncE1EEEvPKT5_PKbPfiPT4_PiiiibPKf
    .private_segment_fixed_size: 0
    .sgpr_count:     30
    .sgpr_spill_count: 0
    .symbol:         _ZN4vllm3moe10topkGatingILi8ELi64ELi4ELi16ELi64Ei14__hip_bfloat16LNS0_11ScoringFuncE1EEEvPKT5_PKbPfiPT4_PiiiibPKf.kd
    .uniform_work_group_size: 1
    .uses_dynamic_stack: false
    .vgpr_count:     34
    .vgpr_spill_count: 0
    .wavefront_size: 64
  - .agpr_count:     0
    .args:
      - .address_space:  global
        .offset:         0
        .size:           8
        .value_kind:     global_buffer
      - .address_space:  global
        .offset:         8
        .size:           8
        .value_kind:     global_buffer
      - .address_space:  global
        .offset:         16
        .size:           8
        .value_kind:     global_buffer
      - .offset:         24
        .size:           4
        .value_kind:     by_value
      - .address_space:  global
        .offset:         32
        .size:           8
        .value_kind:     global_buffer
      - .address_space:  global
        .offset:         40
        .size:           8
        .value_kind:     global_buffer
      - .offset:         48
        .size:           4
        .value_kind:     by_value
      - .offset:         52
        .size:           4
        .value_kind:     by_value
      - .offset:         56
        .size:           4
        .value_kind:     by_value
      - .offset:         60
        .size:           1
        .value_kind:     by_value
      - .address_space:  global
        .offset:         64
        .size:           8
        .value_kind:     global_buffer
    .group_segment_fixed_size: 0
    .kernarg_segment_align: 8
    .kernarg_segment_size: 72
    .language:       OpenCL C
    .language_version:
      - 2
      - 0
    .max_flat_workgroup_size: 128
    .name:           _ZN4vllm3moe10topkGatingILi8ELi64ELi4ELi16ELi32Ei14__hip_bfloat16LNS0_11ScoringFuncE1EEEvPKT5_PKbPfiPT4_PiiiibPKf
    .private_segment_fixed_size: 0
    .sgpr_count:     30
    .sgpr_spill_count: 0
    .symbol:         _ZN4vllm3moe10topkGatingILi8ELi64ELi4ELi16ELi32Ei14__hip_bfloat16LNS0_11ScoringFuncE1EEEvPKT5_PKbPfiPT4_PiiiibPKf.kd
    .uniform_work_group_size: 1
    .uses_dynamic_stack: false
    .vgpr_count:     34
    .vgpr_spill_count: 0
    .wavefront_size: 64
  - .agpr_count:     0
    .args:
      - .address_space:  global
        .offset:         0
        .size:           8
        .value_kind:     global_buffer
      - .address_space:  global
        .offset:         8
        .size:           8
        .value_kind:     global_buffer
      - .address_space:  global
        .offset:         16
        .size:           8
        .value_kind:     global_buffer
      - .offset:         24
        .size:           4
        .value_kind:     by_value
      - .address_space:  global
        .offset:         32
        .size:           8
        .value_kind:     global_buffer
      - .address_space:  global
        .offset:         40
        .size:           8
        .value_kind:     global_buffer
      - .offset:         48
        .size:           4
        .value_kind:     by_value
      - .offset:         52
        .size:           4
        .value_kind:     by_value
      - .offset:         56
        .size:           4
        .value_kind:     by_value
      - .offset:         60
        .size:           1
        .value_kind:     by_value
      - .address_space:  global
        .offset:         64
        .size:           8
        .value_kind:     global_buffer
    .group_segment_fixed_size: 0
    .kernarg_segment_align: 8
    .kernarg_segment_size: 72
    .language:       OpenCL C
    .language_version:
      - 2
      - 0
    .max_flat_workgroup_size: 256
    .name:           _ZN4vllm3moe10topkGatingILi8ELi128ELi4ELi16ELi64Ei14__hip_bfloat16LNS0_11ScoringFuncE1EEEvPKT5_PKbPfiPT4_PiiiibPKf
    .private_segment_fixed_size: 0
    .sgpr_count:     30
    .sgpr_spill_count: 0
    .symbol:         _ZN4vllm3moe10topkGatingILi8ELi128ELi4ELi16ELi64Ei14__hip_bfloat16LNS0_11ScoringFuncE1EEEvPKT5_PKbPfiPT4_PiiiibPKf.kd
    .uniform_work_group_size: 1
    .uses_dynamic_stack: false
    .vgpr_count:     36
    .vgpr_spill_count: 0
    .wavefront_size: 64
  - .agpr_count:     0
    .args:
      - .address_space:  global
        .offset:         0
        .size:           8
        .value_kind:     global_buffer
      - .address_space:  global
        .offset:         8
        .size:           8
        .value_kind:     global_buffer
      - .address_space:  global
        .offset:         16
        .size:           8
        .value_kind:     global_buffer
      - .offset:         24
        .size:           4
        .value_kind:     by_value
      - .address_space:  global
        .offset:         32
        .size:           8
        .value_kind:     global_buffer
      - .address_space:  global
        .offset:         40
        .size:           8
        .value_kind:     global_buffer
      - .offset:         48
        .size:           4
        .value_kind:     by_value
      - .offset:         52
        .size:           4
        .value_kind:     by_value
      - .offset:         56
        .size:           4
        .value_kind:     by_value
      - .offset:         60
        .size:           1
        .value_kind:     by_value
      - .address_space:  global
        .offset:         64
        .size:           8
        .value_kind:     global_buffer
    .group_segment_fixed_size: 0
    .kernarg_segment_align: 8
    .kernarg_segment_size: 72
    .language:       OpenCL C
    .language_version:
      - 2
      - 0
    .max_flat_workgroup_size: 128
    .name:           _ZN4vllm3moe10topkGatingILi8ELi128ELi4ELi16ELi32Ei14__hip_bfloat16LNS0_11ScoringFuncE1EEEvPKT5_PKbPfiPT4_PiiiibPKf
    .private_segment_fixed_size: 0
    .sgpr_count:     30
    .sgpr_spill_count: 0
    .symbol:         _ZN4vllm3moe10topkGatingILi8ELi128ELi4ELi16ELi32Ei14__hip_bfloat16LNS0_11ScoringFuncE1EEEvPKT5_PKbPfiPT4_PiiiibPKf.kd
    .uniform_work_group_size: 1
    .uses_dynamic_stack: false
    .vgpr_count:     36
    .vgpr_spill_count: 0
    .wavefront_size: 64
  - .agpr_count:     0
    .args:
      - .address_space:  global
        .offset:         0
        .size:           8
        .value_kind:     global_buffer
      - .address_space:  global
        .offset:         8
        .size:           8
        .value_kind:     global_buffer
      - .address_space:  global
        .offset:         16
        .size:           8
        .value_kind:     global_buffer
      - .offset:         24
        .size:           4
        .value_kind:     by_value
      - .address_space:  global
        .offset:         32
        .size:           8
        .value_kind:     global_buffer
      - .address_space:  global
        .offset:         40
        .size:           8
        .value_kind:     global_buffer
      - .offset:         48
        .size:           4
        .value_kind:     by_value
      - .offset:         52
        .size:           4
        .value_kind:     by_value
      - .offset:         56
        .size:           4
        .value_kind:     by_value
      - .offset:         60
        .size:           1
        .value_kind:     by_value
      - .address_space:  global
        .offset:         64
        .size:           8
        .value_kind:     global_buffer
    .group_segment_fixed_size: 0
    .kernarg_segment_align: 8
    .kernarg_segment_size: 72
    .language:       OpenCL C
    .language_version:
      - 2
      - 0
    .max_flat_workgroup_size: 256
    .name:           _ZN4vllm3moe10topkGatingILi8ELi256ELi4ELi16ELi64Ei14__hip_bfloat16LNS0_11ScoringFuncE1EEEvPKT5_PKbPfiPT4_PiiiibPKf
    .private_segment_fixed_size: 0
    .sgpr_count:     30
    .sgpr_spill_count: 0
    .symbol:         _ZN4vllm3moe10topkGatingILi8ELi256ELi4ELi16ELi64Ei14__hip_bfloat16LNS0_11ScoringFuncE1EEEvPKT5_PKbPfiPT4_PiiiibPKf.kd
    .uniform_work_group_size: 1
    .uses_dynamic_stack: false
    .vgpr_count:     37
    .vgpr_spill_count: 0
    .wavefront_size: 64
  - .agpr_count:     0
    .args:
      - .address_space:  global
        .offset:         0
        .size:           8
        .value_kind:     global_buffer
      - .address_space:  global
        .offset:         8
        .size:           8
        .value_kind:     global_buffer
      - .address_space:  global
        .offset:         16
        .size:           8
        .value_kind:     global_buffer
      - .offset:         24
        .size:           4
        .value_kind:     by_value
      - .address_space:  global
        .offset:         32
        .size:           8
        .value_kind:     global_buffer
      - .address_space:  global
        .offset:         40
        .size:           8
        .value_kind:     global_buffer
      - .offset:         48
        .size:           4
        .value_kind:     by_value
      - .offset:         52
        .size:           4
        .value_kind:     by_value
      - .offset:         56
        .size:           4
        .value_kind:     by_value
      - .offset:         60
        .size:           1
        .value_kind:     by_value
      - .address_space:  global
        .offset:         64
        .size:           8
        .value_kind:     global_buffer
    .group_segment_fixed_size: 0
    .kernarg_segment_align: 8
    .kernarg_segment_size: 72
    .language:       OpenCL C
    .language_version:
      - 2
      - 0
    .max_flat_workgroup_size: 128
    .name:           _ZN4vllm3moe10topkGatingILi8ELi256ELi4ELi16ELi32Ei14__hip_bfloat16LNS0_11ScoringFuncE1EEEvPKT5_PKbPfiPT4_PiiiibPKf
    .private_segment_fixed_size: 0
    .sgpr_count:     30
    .sgpr_spill_count: 0
    .symbol:         _ZN4vllm3moe10topkGatingILi8ELi256ELi4ELi16ELi32Ei14__hip_bfloat16LNS0_11ScoringFuncE1EEEvPKT5_PKbPfiPT4_PiiiibPKf.kd
    .uniform_work_group_size: 1
    .uses_dynamic_stack: false
    .vgpr_count:     37
    .vgpr_spill_count: 0
    .wavefront_size: 64
  - .agpr_count:     0
    .args:
      - .address_space:  global
        .offset:         0
        .size:           8
        .value_kind:     global_buffer
      - .address_space:  global
        .offset:         8
        .size:           8
        .value_kind:     global_buffer
      - .address_space:  global
        .offset:         16
        .size:           8
        .value_kind:     global_buffer
      - .offset:         24
        .size:           4
        .value_kind:     by_value
      - .address_space:  global
        .offset:         32
        .size:           8
        .value_kind:     global_buffer
      - .address_space:  global
        .offset:         40
        .size:           8
        .value_kind:     global_buffer
      - .offset:         48
        .size:           4
        .value_kind:     by_value
      - .offset:         52
        .size:           4
        .value_kind:     by_value
      - .offset:         56
        .size:           4
        .value_kind:     by_value
      - .offset:         60
        .size:           1
        .value_kind:     by_value
      - .address_space:  global
        .offset:         64
        .size:           8
        .value_kind:     global_buffer
    .group_segment_fixed_size: 0
    .kernarg_segment_align: 8
    .kernarg_segment_size: 72
    .language:       OpenCL C
    .language_version:
      - 2
      - 0
    .max_flat_workgroup_size: 256
    .name:           _ZN4vllm3moe10topkGatingILi8ELi512ELi4ELi16ELi64Ei14__hip_bfloat16LNS0_11ScoringFuncE1EEEvPKT5_PKbPfiPT4_PiiiibPKf
    .private_segment_fixed_size: 0
    .sgpr_count:     30
    .sgpr_spill_count: 0
    .symbol:         _ZN4vllm3moe10topkGatingILi8ELi512ELi4ELi16ELi64Ei14__hip_bfloat16LNS0_11ScoringFuncE1EEEvPKT5_PKbPfiPT4_PiiiibPKf.kd
    .uniform_work_group_size: 1
    .uses_dynamic_stack: false
    .vgpr_count:     38
    .vgpr_spill_count: 0
    .wavefront_size: 64
  - .agpr_count:     0
    .args:
      - .address_space:  global
        .offset:         0
        .size:           8
        .value_kind:     global_buffer
      - .address_space:  global
        .offset:         8
        .size:           8
        .value_kind:     global_buffer
      - .address_space:  global
        .offset:         16
        .size:           8
        .value_kind:     global_buffer
      - .offset:         24
        .size:           4
        .value_kind:     by_value
      - .address_space:  global
        .offset:         32
        .size:           8
        .value_kind:     global_buffer
      - .address_space:  global
        .offset:         40
        .size:           8
        .value_kind:     global_buffer
      - .offset:         48
        .size:           4
        .value_kind:     by_value
      - .offset:         52
        .size:           4
        .value_kind:     by_value
      - .offset:         56
        .size:           4
        .value_kind:     by_value
      - .offset:         60
        .size:           1
        .value_kind:     by_value
      - .address_space:  global
        .offset:         64
        .size:           8
        .value_kind:     global_buffer
    .group_segment_fixed_size: 0
    .kernarg_segment_align: 8
    .kernarg_segment_size: 72
    .language:       OpenCL C
    .language_version:
      - 2
      - 0
    .max_flat_workgroup_size: 128
    .name:           _ZN4vllm3moe10topkGatingILi16ELi512ELi4ELi16ELi32Ei14__hip_bfloat16LNS0_11ScoringFuncE1EEEvPKT5_PKbPfiPT4_PiiiibPKf
    .private_segment_fixed_size: 0
    .sgpr_count:     30
    .sgpr_spill_count: 0
    .symbol:         _ZN4vllm3moe10topkGatingILi16ELi512ELi4ELi16ELi32Ei14__hip_bfloat16LNS0_11ScoringFuncE1EEEvPKT5_PKbPfiPT4_PiiiibPKf.kd
    .uniform_work_group_size: 1
    .uses_dynamic_stack: false
    .vgpr_count:     61
    .vgpr_spill_count: 0
    .wavefront_size: 64
  - .agpr_count:     0
    .args:
      - .address_space:  global
        .offset:         0
        .size:           8
        .value_kind:     global_buffer
      - .address_space:  global
        .offset:         8
        .size:           8
        .value_kind:     global_buffer
      - .address_space:  global
        .offset:         16
        .size:           8
        .value_kind:     global_buffer
      - .offset:         24
        .size:           4
        .value_kind:     by_value
    .group_segment_fixed_size: 0
    .kernarg_segment_align: 8
    .kernarg_segment_size: 28
    .language:       OpenCL C
    .language_version:
      - 2
      - 0
    .max_flat_workgroup_size: 256
    .name:           _ZN4vllm3moe10moeSigmoidILi256E14__hip_bfloat16EEvPKT0_PKbPfi
    .private_segment_fixed_size: 0
    .sgpr_count:     18
    .sgpr_spill_count: 0
    .symbol:         _ZN4vllm3moe10moeSigmoidILi256E14__hip_bfloat16EEvPKT0_PKbPfi.kd
    .uniform_work_group_size: 1
    .uses_dynamic_stack: false
    .vgpr_count:     11
    .vgpr_spill_count: 0
    .wavefront_size: 64
  - .agpr_count:     0
    .args:
      - .address_space:  global
        .offset:         0
        .size:           8
        .value_kind:     global_buffer
      - .address_space:  global
        .offset:         8
        .size:           8
        .value_kind:     global_buffer
      - .address_space:  global
        .offset:         16
        .size:           8
        .value_kind:     global_buffer
      - .offset:         24
        .size:           4
        .value_kind:     by_value
      - .address_space:  global
        .offset:         32
        .size:           8
        .value_kind:     global_buffer
      - .address_space:  global
        .offset:         40
        .size:           8
        .value_kind:     global_buffer
      - .offset:         48
        .size:           4
        .value_kind:     by_value
      - .offset:         52
        .size:           4
        .value_kind:     by_value
      - .offset:         56
        .size:           4
        .value_kind:     by_value
      - .offset:         60
        .size:           1
        .value_kind:     by_value
      - .address_space:  global
        .offset:         64
        .size:           8
        .value_kind:     global_buffer
    .group_segment_fixed_size: 0
    .kernarg_segment_align: 8
    .kernarg_segment_size: 72
    .language:       OpenCL C
    .language_version:
      - 2
      - 0
    .max_flat_workgroup_size: 256
    .name:           _ZN4vllm3moe10topkGatingILi1ELi1ELi4ELi2ELi64Ej14__hip_bfloat16LNS0_11ScoringFuncE1EEEvPKT5_PKbPfiPT4_PiiiibPKf
    .private_segment_fixed_size: 0
    .sgpr_count:     24
    .sgpr_spill_count: 0
    .symbol:         _ZN4vllm3moe10topkGatingILi1ELi1ELi4ELi2ELi64Ej14__hip_bfloat16LNS0_11ScoringFuncE1EEEvPKT5_PKbPfiPT4_PiiiibPKf.kd
    .uniform_work_group_size: 1
    .uses_dynamic_stack: false
    .vgpr_count:     19
    .vgpr_spill_count: 0
    .wavefront_size: 64
  - .agpr_count:     0
    .args:
      - .address_space:  global
        .offset:         0
        .size:           8
        .value_kind:     global_buffer
      - .address_space:  global
        .offset:         8
        .size:           8
        .value_kind:     global_buffer
      - .address_space:  global
        .offset:         16
        .size:           8
        .value_kind:     global_buffer
      - .offset:         24
        .size:           4
        .value_kind:     by_value
      - .address_space:  global
        .offset:         32
        .size:           8
        .value_kind:     global_buffer
      - .address_space:  global
        .offset:         40
        .size:           8
        .value_kind:     global_buffer
      - .offset:         48
        .size:           4
        .value_kind:     by_value
      - .offset:         52
        .size:           4
        .value_kind:     by_value
      - .offset:         56
        .size:           4
        .value_kind:     by_value
      - .offset:         60
        .size:           1
        .value_kind:     by_value
      - .address_space:  global
        .offset:         64
        .size:           8
        .value_kind:     global_buffer
    .group_segment_fixed_size: 0
    .kernarg_segment_align: 8
    .kernarg_segment_size: 72
    .language:       OpenCL C
    .language_version:
      - 2
      - 0
    .max_flat_workgroup_size: 128
    .name:           _ZN4vllm3moe10topkGatingILi1ELi1ELi4ELi2ELi32Ej14__hip_bfloat16LNS0_11ScoringFuncE1EEEvPKT5_PKbPfiPT4_PiiiibPKf
    .private_segment_fixed_size: 0
    .sgpr_count:     24
    .sgpr_spill_count: 0
    .symbol:         _ZN4vllm3moe10topkGatingILi1ELi1ELi4ELi2ELi32Ej14__hip_bfloat16LNS0_11ScoringFuncE1EEEvPKT5_PKbPfiPT4_PiiiibPKf.kd
    .uniform_work_group_size: 1
    .uses_dynamic_stack: false
    .vgpr_count:     19
    .vgpr_spill_count: 0
    .wavefront_size: 64
  - .agpr_count:     0
    .args:
      - .address_space:  global
        .offset:         0
        .size:           8
        .value_kind:     global_buffer
      - .address_space:  global
        .offset:         8
        .size:           8
        .value_kind:     global_buffer
      - .address_space:  global
        .offset:         16
        .size:           8
        .value_kind:     global_buffer
      - .offset:         24
        .size:           4
        .value_kind:     by_value
      - .address_space:  global
        .offset:         32
        .size:           8
        .value_kind:     global_buffer
      - .address_space:  global
        .offset:         40
        .size:           8
        .value_kind:     global_buffer
      - .offset:         48
        .size:           4
        .value_kind:     by_value
      - .offset:         52
        .size:           4
        .value_kind:     by_value
      - .offset:         56
        .size:           4
        .value_kind:     by_value
      - .offset:         60
        .size:           1
        .value_kind:     by_value
      - .address_space:  global
        .offset:         64
        .size:           8
        .value_kind:     global_buffer
    .group_segment_fixed_size: 0
    .kernarg_segment_align: 8
    .kernarg_segment_size: 72
    .language:       OpenCL C
    .language_version:
      - 2
      - 0
    .max_flat_workgroup_size: 256
    .name:           _ZN4vllm3moe10topkGatingILi2ELi2ELi4ELi4ELi64Ej14__hip_bfloat16LNS0_11ScoringFuncE1EEEvPKT5_PKbPfiPT4_PiiiibPKf
    .private_segment_fixed_size: 0
    .sgpr_count:     28
    .sgpr_spill_count: 0
    .symbol:         _ZN4vllm3moe10topkGatingILi2ELi2ELi4ELi4ELi64Ej14__hip_bfloat16LNS0_11ScoringFuncE1EEEvPKT5_PKbPfiPT4_PiiiibPKf.kd
    .uniform_work_group_size: 1
    .uses_dynamic_stack: false
    .vgpr_count:     19
    .vgpr_spill_count: 0
    .wavefront_size: 64
  - .agpr_count:     0
    .args:
      - .address_space:  global
        .offset:         0
        .size:           8
        .value_kind:     global_buffer
      - .address_space:  global
        .offset:         8
        .size:           8
        .value_kind:     global_buffer
      - .address_space:  global
        .offset:         16
        .size:           8
        .value_kind:     global_buffer
      - .offset:         24
        .size:           4
        .value_kind:     by_value
      - .address_space:  global
        .offset:         32
        .size:           8
        .value_kind:     global_buffer
      - .address_space:  global
        .offset:         40
        .size:           8
        .value_kind:     global_buffer
      - .offset:         48
        .size:           4
        .value_kind:     by_value
      - .offset:         52
        .size:           4
        .value_kind:     by_value
      - .offset:         56
        .size:           4
        .value_kind:     by_value
      - .offset:         60
        .size:           1
        .value_kind:     by_value
      - .address_space:  global
        .offset:         64
        .size:           8
        .value_kind:     global_buffer
    .group_segment_fixed_size: 0
    .kernarg_segment_align: 8
    .kernarg_segment_size: 72
    .language:       OpenCL C
    .language_version:
      - 2
      - 0
    .max_flat_workgroup_size: 128
    .name:           _ZN4vllm3moe10topkGatingILi2ELi2ELi4ELi4ELi32Ej14__hip_bfloat16LNS0_11ScoringFuncE1EEEvPKT5_PKbPfiPT4_PiiiibPKf
    .private_segment_fixed_size: 0
    .sgpr_count:     28
    .sgpr_spill_count: 0
    .symbol:         _ZN4vllm3moe10topkGatingILi2ELi2ELi4ELi4ELi32Ej14__hip_bfloat16LNS0_11ScoringFuncE1EEEvPKT5_PKbPfiPT4_PiiiibPKf.kd
    .uniform_work_group_size: 1
    .uses_dynamic_stack: false
    .vgpr_count:     19
    .vgpr_spill_count: 0
    .wavefront_size: 64
  - .agpr_count:     0
    .args:
      - .address_space:  global
        .offset:         0
        .size:           8
        .value_kind:     global_buffer
      - .address_space:  global
        .offset:         8
        .size:           8
        .value_kind:     global_buffer
      - .address_space:  global
        .offset:         16
        .size:           8
        .value_kind:     global_buffer
      - .offset:         24
        .size:           4
        .value_kind:     by_value
      - .address_space:  global
        .offset:         32
        .size:           8
        .value_kind:     global_buffer
      - .address_space:  global
        .offset:         40
        .size:           8
        .value_kind:     global_buffer
      - .offset:         48
        .size:           4
        .value_kind:     by_value
      - .offset:         52
        .size:           4
        .value_kind:     by_value
      - .offset:         56
        .size:           4
        .value_kind:     by_value
      - .offset:         60
        .size:           1
        .value_kind:     by_value
      - .address_space:  global
        .offset:         64
        .size:           8
        .value_kind:     global_buffer
    .group_segment_fixed_size: 0
    .kernarg_segment_align: 8
    .kernarg_segment_size: 72
    .language:       OpenCL C
    .language_version:
      - 2
      - 0
    .max_flat_workgroup_size: 256
    .name:           _ZN4vllm3moe10topkGatingILi4ELi4ELi4ELi8ELi64Ej14__hip_bfloat16LNS0_11ScoringFuncE1EEEvPKT5_PKbPfiPT4_PiiiibPKf
    .private_segment_fixed_size: 0
    .sgpr_count:     28
    .sgpr_spill_count: 0
    .symbol:         _ZN4vllm3moe10topkGatingILi4ELi4ELi4ELi8ELi64Ej14__hip_bfloat16LNS0_11ScoringFuncE1EEEvPKT5_PKbPfiPT4_PiiiibPKf.kd
    .uniform_work_group_size: 1
    .uses_dynamic_stack: false
    .vgpr_count:     24
    .vgpr_spill_count: 0
    .wavefront_size: 64
  - .agpr_count:     0
    .args:
      - .address_space:  global
        .offset:         0
        .size:           8
        .value_kind:     global_buffer
      - .address_space:  global
        .offset:         8
        .size:           8
        .value_kind:     global_buffer
      - .address_space:  global
        .offset:         16
        .size:           8
        .value_kind:     global_buffer
      - .offset:         24
        .size:           4
        .value_kind:     by_value
      - .address_space:  global
        .offset:         32
        .size:           8
        .value_kind:     global_buffer
      - .address_space:  global
        .offset:         40
        .size:           8
        .value_kind:     global_buffer
      - .offset:         48
        .size:           4
        .value_kind:     by_value
      - .offset:         52
        .size:           4
        .value_kind:     by_value
      - .offset:         56
        .size:           4
        .value_kind:     by_value
      - .offset:         60
        .size:           1
        .value_kind:     by_value
      - .address_space:  global
        .offset:         64
        .size:           8
        .value_kind:     global_buffer
    .group_segment_fixed_size: 0
    .kernarg_segment_align: 8
    .kernarg_segment_size: 72
    .language:       OpenCL C
    .language_version:
      - 2
      - 0
    .max_flat_workgroup_size: 128
    .name:           _ZN4vllm3moe10topkGatingILi4ELi4ELi4ELi8ELi32Ej14__hip_bfloat16LNS0_11ScoringFuncE1EEEvPKT5_PKbPfiPT4_PiiiibPKf
    .private_segment_fixed_size: 0
    .sgpr_count:     28
    .sgpr_spill_count: 0
    .symbol:         _ZN4vllm3moe10topkGatingILi4ELi4ELi4ELi8ELi32Ej14__hip_bfloat16LNS0_11ScoringFuncE1EEEvPKT5_PKbPfiPT4_PiiiibPKf.kd
    .uniform_work_group_size: 1
    .uses_dynamic_stack: false
    .vgpr_count:     24
    .vgpr_spill_count: 0
    .wavefront_size: 64
  - .agpr_count:     0
    .args:
      - .address_space:  global
        .offset:         0
        .size:           8
        .value_kind:     global_buffer
      - .address_space:  global
        .offset:         8
        .size:           8
        .value_kind:     global_buffer
      - .address_space:  global
        .offset:         16
        .size:           8
        .value_kind:     global_buffer
      - .offset:         24
        .size:           4
        .value_kind:     by_value
      - .address_space:  global
        .offset:         32
        .size:           8
        .value_kind:     global_buffer
      - .address_space:  global
        .offset:         40
        .size:           8
        .value_kind:     global_buffer
      - .offset:         48
        .size:           4
        .value_kind:     by_value
      - .offset:         52
        .size:           4
        .value_kind:     by_value
      - .offset:         56
        .size:           4
        .value_kind:     by_value
      - .offset:         60
        .size:           1
        .value_kind:     by_value
      - .address_space:  global
        .offset:         64
        .size:           8
        .value_kind:     global_buffer
    .group_segment_fixed_size: 0
    .kernarg_segment_align: 8
    .kernarg_segment_size: 72
    .language:       OpenCL C
    .language_version:
      - 2
      - 0
    .max_flat_workgroup_size: 256
    .name:           _ZN4vllm3moe10topkGatingILi8ELi8ELi4ELi16ELi64Ej14__hip_bfloat16LNS0_11ScoringFuncE1EEEvPKT5_PKbPfiPT4_PiiiibPKf
    .private_segment_fixed_size: 0
    .sgpr_count:     32
    .sgpr_spill_count: 0
    .symbol:         _ZN4vllm3moe10topkGatingILi8ELi8ELi4ELi16ELi64Ej14__hip_bfloat16LNS0_11ScoringFuncE1EEEvPKT5_PKbPfiPT4_PiiiibPKf.kd
    .uniform_work_group_size: 1
    .uses_dynamic_stack: false
    .vgpr_count:     32
    .vgpr_spill_count: 0
    .wavefront_size: 64
  - .agpr_count:     0
    .args:
      - .address_space:  global
        .offset:         0
        .size:           8
        .value_kind:     global_buffer
      - .address_space:  global
        .offset:         8
        .size:           8
        .value_kind:     global_buffer
      - .address_space:  global
        .offset:         16
        .size:           8
        .value_kind:     global_buffer
      - .offset:         24
        .size:           4
        .value_kind:     by_value
      - .address_space:  global
        .offset:         32
        .size:           8
        .value_kind:     global_buffer
      - .address_space:  global
        .offset:         40
        .size:           8
        .value_kind:     global_buffer
      - .offset:         48
        .size:           4
        .value_kind:     by_value
      - .offset:         52
        .size:           4
        .value_kind:     by_value
      - .offset:         56
        .size:           4
        .value_kind:     by_value
      - .offset:         60
        .size:           1
        .value_kind:     by_value
      - .address_space:  global
        .offset:         64
        .size:           8
        .value_kind:     global_buffer
    .group_segment_fixed_size: 0
    .kernarg_segment_align: 8
    .kernarg_segment_size: 72
    .language:       OpenCL C
    .language_version:
      - 2
      - 0
    .max_flat_workgroup_size: 128
    .name:           _ZN4vllm3moe10topkGatingILi8ELi8ELi4ELi16ELi32Ej14__hip_bfloat16LNS0_11ScoringFuncE1EEEvPKT5_PKbPfiPT4_PiiiibPKf
    .private_segment_fixed_size: 0
    .sgpr_count:     32
    .sgpr_spill_count: 0
    .symbol:         _ZN4vllm3moe10topkGatingILi8ELi8ELi4ELi16ELi32Ej14__hip_bfloat16LNS0_11ScoringFuncE1EEEvPKT5_PKbPfiPT4_PiiiibPKf.kd
    .uniform_work_group_size: 1
    .uses_dynamic_stack: false
    .vgpr_count:     32
    .vgpr_spill_count: 0
    .wavefront_size: 64
  - .agpr_count:     0
    .args:
      - .address_space:  global
        .offset:         0
        .size:           8
        .value_kind:     global_buffer
      - .address_space:  global
        .offset:         8
        .size:           8
        .value_kind:     global_buffer
      - .address_space:  global
        .offset:         16
        .size:           8
        .value_kind:     global_buffer
      - .offset:         24
        .size:           4
        .value_kind:     by_value
      - .address_space:  global
        .offset:         32
        .size:           8
        .value_kind:     global_buffer
      - .address_space:  global
        .offset:         40
        .size:           8
        .value_kind:     global_buffer
      - .offset:         48
        .size:           4
        .value_kind:     by_value
      - .offset:         52
        .size:           4
        .value_kind:     by_value
      - .offset:         56
        .size:           4
        .value_kind:     by_value
      - .offset:         60
        .size:           1
        .value_kind:     by_value
      - .address_space:  global
        .offset:         64
        .size:           8
        .value_kind:     global_buffer
    .group_segment_fixed_size: 0
    .kernarg_segment_align: 8
    .kernarg_segment_size: 72
    .language:       OpenCL C
    .language_version:
      - 2
      - 0
    .max_flat_workgroup_size: 256
    .name:           _ZN4vllm3moe10topkGatingILi8ELi16ELi4ELi16ELi64Ej14__hip_bfloat16LNS0_11ScoringFuncE1EEEvPKT5_PKbPfiPT4_PiiiibPKf
    .private_segment_fixed_size: 0
    .sgpr_count:     30
    .sgpr_spill_count: 0
    .symbol:         _ZN4vllm3moe10topkGatingILi8ELi16ELi4ELi16ELi64Ej14__hip_bfloat16LNS0_11ScoringFuncE1EEEvPKT5_PKbPfiPT4_PiiiibPKf.kd
    .uniform_work_group_size: 1
    .uses_dynamic_stack: false
    .vgpr_count:     34
    .vgpr_spill_count: 0
    .wavefront_size: 64
  - .agpr_count:     0
    .args:
      - .address_space:  global
        .offset:         0
        .size:           8
        .value_kind:     global_buffer
      - .address_space:  global
        .offset:         8
        .size:           8
        .value_kind:     global_buffer
      - .address_space:  global
        .offset:         16
        .size:           8
        .value_kind:     global_buffer
      - .offset:         24
        .size:           4
        .value_kind:     by_value
      - .address_space:  global
        .offset:         32
        .size:           8
        .value_kind:     global_buffer
      - .address_space:  global
        .offset:         40
        .size:           8
        .value_kind:     global_buffer
      - .offset:         48
        .size:           4
        .value_kind:     by_value
      - .offset:         52
        .size:           4
        .value_kind:     by_value
      - .offset:         56
        .size:           4
        .value_kind:     by_value
      - .offset:         60
        .size:           1
        .value_kind:     by_value
      - .address_space:  global
        .offset:         64
        .size:           8
        .value_kind:     global_buffer
    .group_segment_fixed_size: 0
    .kernarg_segment_align: 8
    .kernarg_segment_size: 72
    .language:       OpenCL C
    .language_version:
      - 2
      - 0
    .max_flat_workgroup_size: 128
    .name:           _ZN4vllm3moe10topkGatingILi8ELi16ELi4ELi16ELi32Ej14__hip_bfloat16LNS0_11ScoringFuncE1EEEvPKT5_PKbPfiPT4_PiiiibPKf
    .private_segment_fixed_size: 0
    .sgpr_count:     30
    .sgpr_spill_count: 0
    .symbol:         _ZN4vllm3moe10topkGatingILi8ELi16ELi4ELi16ELi32Ej14__hip_bfloat16LNS0_11ScoringFuncE1EEEvPKT5_PKbPfiPT4_PiiiibPKf.kd
    .uniform_work_group_size: 1
    .uses_dynamic_stack: false
    .vgpr_count:     34
    .vgpr_spill_count: 0
    .wavefront_size: 64
  - .agpr_count:     0
    .args:
      - .address_space:  global
        .offset:         0
        .size:           8
        .value_kind:     global_buffer
      - .address_space:  global
        .offset:         8
        .size:           8
        .value_kind:     global_buffer
      - .address_space:  global
        .offset:         16
        .size:           8
        .value_kind:     global_buffer
      - .offset:         24
        .size:           4
        .value_kind:     by_value
      - .address_space:  global
        .offset:         32
        .size:           8
        .value_kind:     global_buffer
      - .address_space:  global
        .offset:         40
        .size:           8
        .value_kind:     global_buffer
      - .offset:         48
        .size:           4
        .value_kind:     by_value
      - .offset:         52
        .size:           4
        .value_kind:     by_value
      - .offset:         56
        .size:           4
        .value_kind:     by_value
      - .offset:         60
        .size:           1
        .value_kind:     by_value
      - .address_space:  global
        .offset:         64
        .size:           8
        .value_kind:     global_buffer
    .group_segment_fixed_size: 0
    .kernarg_segment_align: 8
    .kernarg_segment_size: 72
    .language:       OpenCL C
    .language_version:
      - 2
      - 0
    .max_flat_workgroup_size: 256
    .name:           _ZN4vllm3moe10topkGatingILi8ELi32ELi4ELi16ELi64Ej14__hip_bfloat16LNS0_11ScoringFuncE1EEEvPKT5_PKbPfiPT4_PiiiibPKf
    .private_segment_fixed_size: 0
    .sgpr_count:     30
    .sgpr_spill_count: 0
    .symbol:         _ZN4vllm3moe10topkGatingILi8ELi32ELi4ELi16ELi64Ej14__hip_bfloat16LNS0_11ScoringFuncE1EEEvPKT5_PKbPfiPT4_PiiiibPKf.kd
    .uniform_work_group_size: 1
    .uses_dynamic_stack: false
    .vgpr_count:     34
    .vgpr_spill_count: 0
    .wavefront_size: 64
  - .agpr_count:     0
    .args:
      - .address_space:  global
        .offset:         0
        .size:           8
        .value_kind:     global_buffer
      - .address_space:  global
        .offset:         8
        .size:           8
        .value_kind:     global_buffer
      - .address_space:  global
        .offset:         16
        .size:           8
        .value_kind:     global_buffer
      - .offset:         24
        .size:           4
        .value_kind:     by_value
      - .address_space:  global
        .offset:         32
        .size:           8
        .value_kind:     global_buffer
      - .address_space:  global
        .offset:         40
        .size:           8
        .value_kind:     global_buffer
      - .offset:         48
        .size:           4
        .value_kind:     by_value
      - .offset:         52
        .size:           4
        .value_kind:     by_value
      - .offset:         56
        .size:           4
        .value_kind:     by_value
      - .offset:         60
        .size:           1
        .value_kind:     by_value
      - .address_space:  global
        .offset:         64
        .size:           8
        .value_kind:     global_buffer
    .group_segment_fixed_size: 0
    .kernarg_segment_align: 8
    .kernarg_segment_size: 72
    .language:       OpenCL C
    .language_version:
      - 2
      - 0
    .max_flat_workgroup_size: 128
    .name:           _ZN4vllm3moe10topkGatingILi8ELi32ELi4ELi16ELi32Ej14__hip_bfloat16LNS0_11ScoringFuncE1EEEvPKT5_PKbPfiPT4_PiiiibPKf
    .private_segment_fixed_size: 0
    .sgpr_count:     30
    .sgpr_spill_count: 0
    .symbol:         _ZN4vllm3moe10topkGatingILi8ELi32ELi4ELi16ELi32Ej14__hip_bfloat16LNS0_11ScoringFuncE1EEEvPKT5_PKbPfiPT4_PiiiibPKf.kd
    .uniform_work_group_size: 1
    .uses_dynamic_stack: false
    .vgpr_count:     34
    .vgpr_spill_count: 0
    .wavefront_size: 64
  - .agpr_count:     0
    .args:
      - .address_space:  global
        .offset:         0
        .size:           8
        .value_kind:     global_buffer
      - .address_space:  global
        .offset:         8
        .size:           8
        .value_kind:     global_buffer
      - .address_space:  global
        .offset:         16
        .size:           8
        .value_kind:     global_buffer
      - .offset:         24
        .size:           4
        .value_kind:     by_value
      - .address_space:  global
        .offset:         32
        .size:           8
        .value_kind:     global_buffer
      - .address_space:  global
        .offset:         40
        .size:           8
        .value_kind:     global_buffer
      - .offset:         48
        .size:           4
        .value_kind:     by_value
      - .offset:         52
        .size:           4
        .value_kind:     by_value
      - .offset:         56
        .size:           4
        .value_kind:     by_value
      - .offset:         60
        .size:           1
        .value_kind:     by_value
      - .address_space:  global
        .offset:         64
        .size:           8
        .value_kind:     global_buffer
    .group_segment_fixed_size: 0
    .kernarg_segment_align: 8
    .kernarg_segment_size: 72
    .language:       OpenCL C
    .language_version:
      - 2
      - 0
    .max_flat_workgroup_size: 256
    .name:           _ZN4vllm3moe10topkGatingILi8ELi64ELi4ELi16ELi64Ej14__hip_bfloat16LNS0_11ScoringFuncE1EEEvPKT5_PKbPfiPT4_PiiiibPKf
    .private_segment_fixed_size: 0
    .sgpr_count:     30
    .sgpr_spill_count: 0
    .symbol:         _ZN4vllm3moe10topkGatingILi8ELi64ELi4ELi16ELi64Ej14__hip_bfloat16LNS0_11ScoringFuncE1EEEvPKT5_PKbPfiPT4_PiiiibPKf.kd
    .uniform_work_group_size: 1
    .uses_dynamic_stack: false
    .vgpr_count:     34
    .vgpr_spill_count: 0
    .wavefront_size: 64
  - .agpr_count:     0
    .args:
      - .address_space:  global
        .offset:         0
        .size:           8
        .value_kind:     global_buffer
      - .address_space:  global
        .offset:         8
        .size:           8
        .value_kind:     global_buffer
      - .address_space:  global
        .offset:         16
        .size:           8
        .value_kind:     global_buffer
      - .offset:         24
        .size:           4
        .value_kind:     by_value
      - .address_space:  global
        .offset:         32
        .size:           8
        .value_kind:     global_buffer
      - .address_space:  global
        .offset:         40
        .size:           8
        .value_kind:     global_buffer
      - .offset:         48
        .size:           4
        .value_kind:     by_value
      - .offset:         52
        .size:           4
        .value_kind:     by_value
      - .offset:         56
        .size:           4
        .value_kind:     by_value
      - .offset:         60
        .size:           1
        .value_kind:     by_value
      - .address_space:  global
        .offset:         64
        .size:           8
        .value_kind:     global_buffer
    .group_segment_fixed_size: 0
    .kernarg_segment_align: 8
    .kernarg_segment_size: 72
    .language:       OpenCL C
    .language_version:
      - 2
      - 0
    .max_flat_workgroup_size: 128
    .name:           _ZN4vllm3moe10topkGatingILi8ELi64ELi4ELi16ELi32Ej14__hip_bfloat16LNS0_11ScoringFuncE1EEEvPKT5_PKbPfiPT4_PiiiibPKf
    .private_segment_fixed_size: 0
    .sgpr_count:     30
    .sgpr_spill_count: 0
    .symbol:         _ZN4vllm3moe10topkGatingILi8ELi64ELi4ELi16ELi32Ej14__hip_bfloat16LNS0_11ScoringFuncE1EEEvPKT5_PKbPfiPT4_PiiiibPKf.kd
    .uniform_work_group_size: 1
    .uses_dynamic_stack: false
    .vgpr_count:     34
    .vgpr_spill_count: 0
    .wavefront_size: 64
  - .agpr_count:     0
    .args:
      - .address_space:  global
        .offset:         0
        .size:           8
        .value_kind:     global_buffer
      - .address_space:  global
        .offset:         8
        .size:           8
        .value_kind:     global_buffer
      - .address_space:  global
        .offset:         16
        .size:           8
        .value_kind:     global_buffer
      - .offset:         24
        .size:           4
        .value_kind:     by_value
      - .address_space:  global
        .offset:         32
        .size:           8
        .value_kind:     global_buffer
      - .address_space:  global
        .offset:         40
        .size:           8
        .value_kind:     global_buffer
      - .offset:         48
        .size:           4
        .value_kind:     by_value
      - .offset:         52
        .size:           4
        .value_kind:     by_value
      - .offset:         56
        .size:           4
        .value_kind:     by_value
      - .offset:         60
        .size:           1
        .value_kind:     by_value
      - .address_space:  global
        .offset:         64
        .size:           8
        .value_kind:     global_buffer
    .group_segment_fixed_size: 0
    .kernarg_segment_align: 8
    .kernarg_segment_size: 72
    .language:       OpenCL C
    .language_version:
      - 2
      - 0
    .max_flat_workgroup_size: 256
    .name:           _ZN4vllm3moe10topkGatingILi8ELi128ELi4ELi16ELi64Ej14__hip_bfloat16LNS0_11ScoringFuncE1EEEvPKT5_PKbPfiPT4_PiiiibPKf
    .private_segment_fixed_size: 0
    .sgpr_count:     30
    .sgpr_spill_count: 0
    .symbol:         _ZN4vllm3moe10topkGatingILi8ELi128ELi4ELi16ELi64Ej14__hip_bfloat16LNS0_11ScoringFuncE1EEEvPKT5_PKbPfiPT4_PiiiibPKf.kd
    .uniform_work_group_size: 1
    .uses_dynamic_stack: false
    .vgpr_count:     36
    .vgpr_spill_count: 0
    .wavefront_size: 64
  - .agpr_count:     0
    .args:
      - .address_space:  global
        .offset:         0
        .size:           8
        .value_kind:     global_buffer
      - .address_space:  global
        .offset:         8
        .size:           8
        .value_kind:     global_buffer
      - .address_space:  global
        .offset:         16
        .size:           8
        .value_kind:     global_buffer
      - .offset:         24
        .size:           4
        .value_kind:     by_value
      - .address_space:  global
        .offset:         32
        .size:           8
        .value_kind:     global_buffer
      - .address_space:  global
        .offset:         40
        .size:           8
        .value_kind:     global_buffer
      - .offset:         48
        .size:           4
        .value_kind:     by_value
      - .offset:         52
        .size:           4
        .value_kind:     by_value
      - .offset:         56
        .size:           4
        .value_kind:     by_value
      - .offset:         60
        .size:           1
        .value_kind:     by_value
      - .address_space:  global
        .offset:         64
        .size:           8
        .value_kind:     global_buffer
    .group_segment_fixed_size: 0
    .kernarg_segment_align: 8
    .kernarg_segment_size: 72
    .language:       OpenCL C
    .language_version:
      - 2
      - 0
    .max_flat_workgroup_size: 128
    .name:           _ZN4vllm3moe10topkGatingILi8ELi128ELi4ELi16ELi32Ej14__hip_bfloat16LNS0_11ScoringFuncE1EEEvPKT5_PKbPfiPT4_PiiiibPKf
    .private_segment_fixed_size: 0
    .sgpr_count:     30
    .sgpr_spill_count: 0
    .symbol:         _ZN4vllm3moe10topkGatingILi8ELi128ELi4ELi16ELi32Ej14__hip_bfloat16LNS0_11ScoringFuncE1EEEvPKT5_PKbPfiPT4_PiiiibPKf.kd
    .uniform_work_group_size: 1
    .uses_dynamic_stack: false
    .vgpr_count:     36
    .vgpr_spill_count: 0
    .wavefront_size: 64
  - .agpr_count:     0
    .args:
      - .address_space:  global
        .offset:         0
        .size:           8
        .value_kind:     global_buffer
      - .address_space:  global
        .offset:         8
        .size:           8
        .value_kind:     global_buffer
      - .address_space:  global
        .offset:         16
        .size:           8
        .value_kind:     global_buffer
      - .offset:         24
        .size:           4
        .value_kind:     by_value
      - .address_space:  global
        .offset:         32
        .size:           8
        .value_kind:     global_buffer
      - .address_space:  global
        .offset:         40
        .size:           8
        .value_kind:     global_buffer
      - .offset:         48
        .size:           4
        .value_kind:     by_value
      - .offset:         52
        .size:           4
        .value_kind:     by_value
      - .offset:         56
        .size:           4
        .value_kind:     by_value
      - .offset:         60
        .size:           1
        .value_kind:     by_value
      - .address_space:  global
        .offset:         64
        .size:           8
        .value_kind:     global_buffer
    .group_segment_fixed_size: 0
    .kernarg_segment_align: 8
    .kernarg_segment_size: 72
    .language:       OpenCL C
    .language_version:
      - 2
      - 0
    .max_flat_workgroup_size: 256
    .name:           _ZN4vllm3moe10topkGatingILi8ELi256ELi4ELi16ELi64Ej14__hip_bfloat16LNS0_11ScoringFuncE1EEEvPKT5_PKbPfiPT4_PiiiibPKf
    .private_segment_fixed_size: 0
    .sgpr_count:     30
    .sgpr_spill_count: 0
    .symbol:         _ZN4vllm3moe10topkGatingILi8ELi256ELi4ELi16ELi64Ej14__hip_bfloat16LNS0_11ScoringFuncE1EEEvPKT5_PKbPfiPT4_PiiiibPKf.kd
    .uniform_work_group_size: 1
    .uses_dynamic_stack: false
    .vgpr_count:     37
    .vgpr_spill_count: 0
    .wavefront_size: 64
  - .agpr_count:     0
    .args:
      - .address_space:  global
        .offset:         0
        .size:           8
        .value_kind:     global_buffer
      - .address_space:  global
        .offset:         8
        .size:           8
        .value_kind:     global_buffer
      - .address_space:  global
        .offset:         16
        .size:           8
        .value_kind:     global_buffer
      - .offset:         24
        .size:           4
        .value_kind:     by_value
      - .address_space:  global
        .offset:         32
        .size:           8
        .value_kind:     global_buffer
      - .address_space:  global
        .offset:         40
        .size:           8
        .value_kind:     global_buffer
      - .offset:         48
        .size:           4
        .value_kind:     by_value
      - .offset:         52
        .size:           4
        .value_kind:     by_value
      - .offset:         56
        .size:           4
        .value_kind:     by_value
      - .offset:         60
        .size:           1
        .value_kind:     by_value
      - .address_space:  global
        .offset:         64
        .size:           8
        .value_kind:     global_buffer
    .group_segment_fixed_size: 0
    .kernarg_segment_align: 8
    .kernarg_segment_size: 72
    .language:       OpenCL C
    .language_version:
      - 2
      - 0
    .max_flat_workgroup_size: 128
    .name:           _ZN4vllm3moe10topkGatingILi8ELi256ELi4ELi16ELi32Ej14__hip_bfloat16LNS0_11ScoringFuncE1EEEvPKT5_PKbPfiPT4_PiiiibPKf
    .private_segment_fixed_size: 0
    .sgpr_count:     30
    .sgpr_spill_count: 0
    .symbol:         _ZN4vllm3moe10topkGatingILi8ELi256ELi4ELi16ELi32Ej14__hip_bfloat16LNS0_11ScoringFuncE1EEEvPKT5_PKbPfiPT4_PiiiibPKf.kd
    .uniform_work_group_size: 1
    .uses_dynamic_stack: false
    .vgpr_count:     37
    .vgpr_spill_count: 0
    .wavefront_size: 64
  - .agpr_count:     0
    .args:
      - .address_space:  global
        .offset:         0
        .size:           8
        .value_kind:     global_buffer
      - .address_space:  global
        .offset:         8
        .size:           8
        .value_kind:     global_buffer
      - .address_space:  global
        .offset:         16
        .size:           8
        .value_kind:     global_buffer
      - .offset:         24
        .size:           4
        .value_kind:     by_value
      - .address_space:  global
        .offset:         32
        .size:           8
        .value_kind:     global_buffer
      - .address_space:  global
        .offset:         40
        .size:           8
        .value_kind:     global_buffer
      - .offset:         48
        .size:           4
        .value_kind:     by_value
      - .offset:         52
        .size:           4
        .value_kind:     by_value
      - .offset:         56
        .size:           4
        .value_kind:     by_value
      - .offset:         60
        .size:           1
        .value_kind:     by_value
      - .address_space:  global
        .offset:         64
        .size:           8
        .value_kind:     global_buffer
    .group_segment_fixed_size: 0
    .kernarg_segment_align: 8
    .kernarg_segment_size: 72
    .language:       OpenCL C
    .language_version:
      - 2
      - 0
    .max_flat_workgroup_size: 256
    .name:           _ZN4vllm3moe10topkGatingILi8ELi512ELi4ELi16ELi64Ej14__hip_bfloat16LNS0_11ScoringFuncE1EEEvPKT5_PKbPfiPT4_PiiiibPKf
    .private_segment_fixed_size: 0
    .sgpr_count:     30
    .sgpr_spill_count: 0
    .symbol:         _ZN4vllm3moe10topkGatingILi8ELi512ELi4ELi16ELi64Ej14__hip_bfloat16LNS0_11ScoringFuncE1EEEvPKT5_PKbPfiPT4_PiiiibPKf.kd
    .uniform_work_group_size: 1
    .uses_dynamic_stack: false
    .vgpr_count:     38
    .vgpr_spill_count: 0
    .wavefront_size: 64
  - .agpr_count:     0
    .args:
      - .address_space:  global
        .offset:         0
        .size:           8
        .value_kind:     global_buffer
      - .address_space:  global
        .offset:         8
        .size:           8
        .value_kind:     global_buffer
      - .address_space:  global
        .offset:         16
        .size:           8
        .value_kind:     global_buffer
      - .offset:         24
        .size:           4
        .value_kind:     by_value
      - .address_space:  global
        .offset:         32
        .size:           8
        .value_kind:     global_buffer
      - .address_space:  global
        .offset:         40
        .size:           8
        .value_kind:     global_buffer
      - .offset:         48
        .size:           4
        .value_kind:     by_value
      - .offset:         52
        .size:           4
        .value_kind:     by_value
      - .offset:         56
        .size:           4
        .value_kind:     by_value
      - .offset:         60
        .size:           1
        .value_kind:     by_value
      - .address_space:  global
        .offset:         64
        .size:           8
        .value_kind:     global_buffer
    .group_segment_fixed_size: 0
    .kernarg_segment_align: 8
    .kernarg_segment_size: 72
    .language:       OpenCL C
    .language_version:
      - 2
      - 0
    .max_flat_workgroup_size: 128
    .name:           _ZN4vllm3moe10topkGatingILi16ELi512ELi4ELi16ELi32Ej14__hip_bfloat16LNS0_11ScoringFuncE1EEEvPKT5_PKbPfiPT4_PiiiibPKf
    .private_segment_fixed_size: 0
    .sgpr_count:     30
    .sgpr_spill_count: 0
    .symbol:         _ZN4vllm3moe10topkGatingILi16ELi512ELi4ELi16ELi32Ej14__hip_bfloat16LNS0_11ScoringFuncE1EEEvPKT5_PKbPfiPT4_PiiiibPKf.kd
    .uniform_work_group_size: 1
    .uses_dynamic_stack: false
    .vgpr_count:     61
    .vgpr_spill_count: 0
    .wavefront_size: 64
  - .agpr_count:     0
    .args:
      - .address_space:  global
        .offset:         0
        .size:           8
        .value_kind:     global_buffer
      - .address_space:  global
        .offset:         8
        .size:           8
        .value_kind:     global_buffer
      - .address_space:  global
        .offset:         16
        .size:           8
        .value_kind:     global_buffer
      - .offset:         24
        .size:           4
        .value_kind:     by_value
      - .address_space:  global
        .offset:         32
        .size:           8
        .value_kind:     global_buffer
      - .address_space:  global
        .offset:         40
        .size:           8
        .value_kind:     global_buffer
      - .offset:         48
        .size:           4
        .value_kind:     by_value
      - .offset:         52
        .size:           4
        .value_kind:     by_value
      - .offset:         56
        .size:           4
        .value_kind:     by_value
      - .offset:         60
        .size:           1
        .value_kind:     by_value
      - .address_space:  global
        .offset:         64
        .size:           8
        .value_kind:     global_buffer
    .group_segment_fixed_size: 0
    .kernarg_segment_align: 8
    .kernarg_segment_size: 72
    .language:       OpenCL C
    .language_version:
      - 2
      - 0
    .max_flat_workgroup_size: 256
    .name:           _ZN4vllm3moe10topkGatingILi1ELi1ELi4ELi2ELi64El14__hip_bfloat16LNS0_11ScoringFuncE1EEEvPKT5_PKbPfiPT4_PiiiibPKf
    .private_segment_fixed_size: 0
    .sgpr_count:     24
    .sgpr_spill_count: 0
    .symbol:         _ZN4vllm3moe10topkGatingILi1ELi1ELi4ELi2ELi64El14__hip_bfloat16LNS0_11ScoringFuncE1EEEvPKT5_PKbPfiPT4_PiiiibPKf.kd
    .uniform_work_group_size: 1
    .uses_dynamic_stack: false
    .vgpr_count:     19
    .vgpr_spill_count: 0
    .wavefront_size: 64
  - .agpr_count:     0
    .args:
      - .address_space:  global
        .offset:         0
        .size:           8
        .value_kind:     global_buffer
      - .address_space:  global
        .offset:         8
        .size:           8
        .value_kind:     global_buffer
      - .address_space:  global
        .offset:         16
        .size:           8
        .value_kind:     global_buffer
      - .offset:         24
        .size:           4
        .value_kind:     by_value
      - .address_space:  global
        .offset:         32
        .size:           8
        .value_kind:     global_buffer
      - .address_space:  global
        .offset:         40
        .size:           8
        .value_kind:     global_buffer
      - .offset:         48
        .size:           4
        .value_kind:     by_value
      - .offset:         52
        .size:           4
        .value_kind:     by_value
      - .offset:         56
        .size:           4
        .value_kind:     by_value
      - .offset:         60
        .size:           1
        .value_kind:     by_value
      - .address_space:  global
        .offset:         64
        .size:           8
        .value_kind:     global_buffer
    .group_segment_fixed_size: 0
    .kernarg_segment_align: 8
    .kernarg_segment_size: 72
    .language:       OpenCL C
    .language_version:
      - 2
      - 0
    .max_flat_workgroup_size: 128
    .name:           _ZN4vllm3moe10topkGatingILi1ELi1ELi4ELi2ELi32El14__hip_bfloat16LNS0_11ScoringFuncE1EEEvPKT5_PKbPfiPT4_PiiiibPKf
    .private_segment_fixed_size: 0
    .sgpr_count:     24
    .sgpr_spill_count: 0
    .symbol:         _ZN4vllm3moe10topkGatingILi1ELi1ELi4ELi2ELi32El14__hip_bfloat16LNS0_11ScoringFuncE1EEEvPKT5_PKbPfiPT4_PiiiibPKf.kd
    .uniform_work_group_size: 1
    .uses_dynamic_stack: false
    .vgpr_count:     19
    .vgpr_spill_count: 0
    .wavefront_size: 64
  - .agpr_count:     0
    .args:
      - .address_space:  global
        .offset:         0
        .size:           8
        .value_kind:     global_buffer
      - .address_space:  global
        .offset:         8
        .size:           8
        .value_kind:     global_buffer
      - .address_space:  global
        .offset:         16
        .size:           8
        .value_kind:     global_buffer
      - .offset:         24
        .size:           4
        .value_kind:     by_value
      - .address_space:  global
        .offset:         32
        .size:           8
        .value_kind:     global_buffer
      - .address_space:  global
        .offset:         40
        .size:           8
        .value_kind:     global_buffer
      - .offset:         48
        .size:           4
        .value_kind:     by_value
      - .offset:         52
        .size:           4
        .value_kind:     by_value
      - .offset:         56
        .size:           4
        .value_kind:     by_value
      - .offset:         60
        .size:           1
        .value_kind:     by_value
      - .address_space:  global
        .offset:         64
        .size:           8
        .value_kind:     global_buffer
    .group_segment_fixed_size: 0
    .kernarg_segment_align: 8
    .kernarg_segment_size: 72
    .language:       OpenCL C
    .language_version:
      - 2
      - 0
    .max_flat_workgroup_size: 256
    .name:           _ZN4vllm3moe10topkGatingILi2ELi2ELi4ELi4ELi64El14__hip_bfloat16LNS0_11ScoringFuncE1EEEvPKT5_PKbPfiPT4_PiiiibPKf
    .private_segment_fixed_size: 0
    .sgpr_count:     28
    .sgpr_spill_count: 0
    .symbol:         _ZN4vllm3moe10topkGatingILi2ELi2ELi4ELi4ELi64El14__hip_bfloat16LNS0_11ScoringFuncE1EEEvPKT5_PKbPfiPT4_PiiiibPKf.kd
    .uniform_work_group_size: 1
    .uses_dynamic_stack: false
    .vgpr_count:     19
    .vgpr_spill_count: 0
    .wavefront_size: 64
  - .agpr_count:     0
    .args:
      - .address_space:  global
        .offset:         0
        .size:           8
        .value_kind:     global_buffer
      - .address_space:  global
        .offset:         8
        .size:           8
        .value_kind:     global_buffer
      - .address_space:  global
        .offset:         16
        .size:           8
        .value_kind:     global_buffer
      - .offset:         24
        .size:           4
        .value_kind:     by_value
      - .address_space:  global
        .offset:         32
        .size:           8
        .value_kind:     global_buffer
      - .address_space:  global
        .offset:         40
        .size:           8
        .value_kind:     global_buffer
      - .offset:         48
        .size:           4
        .value_kind:     by_value
      - .offset:         52
        .size:           4
        .value_kind:     by_value
      - .offset:         56
        .size:           4
        .value_kind:     by_value
      - .offset:         60
        .size:           1
        .value_kind:     by_value
      - .address_space:  global
        .offset:         64
        .size:           8
        .value_kind:     global_buffer
    .group_segment_fixed_size: 0
    .kernarg_segment_align: 8
    .kernarg_segment_size: 72
    .language:       OpenCL C
    .language_version:
      - 2
      - 0
    .max_flat_workgroup_size: 128
    .name:           _ZN4vllm3moe10topkGatingILi2ELi2ELi4ELi4ELi32El14__hip_bfloat16LNS0_11ScoringFuncE1EEEvPKT5_PKbPfiPT4_PiiiibPKf
    .private_segment_fixed_size: 0
    .sgpr_count:     28
    .sgpr_spill_count: 0
    .symbol:         _ZN4vllm3moe10topkGatingILi2ELi2ELi4ELi4ELi32El14__hip_bfloat16LNS0_11ScoringFuncE1EEEvPKT5_PKbPfiPT4_PiiiibPKf.kd
    .uniform_work_group_size: 1
    .uses_dynamic_stack: false
    .vgpr_count:     19
    .vgpr_spill_count: 0
    .wavefront_size: 64
  - .agpr_count:     0
    .args:
      - .address_space:  global
        .offset:         0
        .size:           8
        .value_kind:     global_buffer
      - .address_space:  global
        .offset:         8
        .size:           8
        .value_kind:     global_buffer
      - .address_space:  global
        .offset:         16
        .size:           8
        .value_kind:     global_buffer
      - .offset:         24
        .size:           4
        .value_kind:     by_value
      - .address_space:  global
        .offset:         32
        .size:           8
        .value_kind:     global_buffer
      - .address_space:  global
        .offset:         40
        .size:           8
        .value_kind:     global_buffer
      - .offset:         48
        .size:           4
        .value_kind:     by_value
      - .offset:         52
        .size:           4
        .value_kind:     by_value
      - .offset:         56
        .size:           4
        .value_kind:     by_value
      - .offset:         60
        .size:           1
        .value_kind:     by_value
      - .address_space:  global
        .offset:         64
        .size:           8
        .value_kind:     global_buffer
    .group_segment_fixed_size: 0
    .kernarg_segment_align: 8
    .kernarg_segment_size: 72
    .language:       OpenCL C
    .language_version:
      - 2
      - 0
    .max_flat_workgroup_size: 256
    .name:           _ZN4vllm3moe10topkGatingILi4ELi4ELi4ELi8ELi64El14__hip_bfloat16LNS0_11ScoringFuncE1EEEvPKT5_PKbPfiPT4_PiiiibPKf
    .private_segment_fixed_size: 0
    .sgpr_count:     28
    .sgpr_spill_count: 0
    .symbol:         _ZN4vllm3moe10topkGatingILi4ELi4ELi4ELi8ELi64El14__hip_bfloat16LNS0_11ScoringFuncE1EEEvPKT5_PKbPfiPT4_PiiiibPKf.kd
    .uniform_work_group_size: 1
    .uses_dynamic_stack: false
    .vgpr_count:     24
    .vgpr_spill_count: 0
    .wavefront_size: 64
  - .agpr_count:     0
    .args:
      - .address_space:  global
        .offset:         0
        .size:           8
        .value_kind:     global_buffer
      - .address_space:  global
        .offset:         8
        .size:           8
        .value_kind:     global_buffer
      - .address_space:  global
        .offset:         16
        .size:           8
        .value_kind:     global_buffer
      - .offset:         24
        .size:           4
        .value_kind:     by_value
      - .address_space:  global
        .offset:         32
        .size:           8
        .value_kind:     global_buffer
      - .address_space:  global
        .offset:         40
        .size:           8
        .value_kind:     global_buffer
      - .offset:         48
        .size:           4
        .value_kind:     by_value
      - .offset:         52
        .size:           4
        .value_kind:     by_value
      - .offset:         56
        .size:           4
        .value_kind:     by_value
      - .offset:         60
        .size:           1
        .value_kind:     by_value
      - .address_space:  global
        .offset:         64
        .size:           8
        .value_kind:     global_buffer
    .group_segment_fixed_size: 0
    .kernarg_segment_align: 8
    .kernarg_segment_size: 72
    .language:       OpenCL C
    .language_version:
      - 2
      - 0
    .max_flat_workgroup_size: 128
    .name:           _ZN4vllm3moe10topkGatingILi4ELi4ELi4ELi8ELi32El14__hip_bfloat16LNS0_11ScoringFuncE1EEEvPKT5_PKbPfiPT4_PiiiibPKf
    .private_segment_fixed_size: 0
    .sgpr_count:     28
    .sgpr_spill_count: 0
    .symbol:         _ZN4vllm3moe10topkGatingILi4ELi4ELi4ELi8ELi32El14__hip_bfloat16LNS0_11ScoringFuncE1EEEvPKT5_PKbPfiPT4_PiiiibPKf.kd
    .uniform_work_group_size: 1
    .uses_dynamic_stack: false
    .vgpr_count:     24
    .vgpr_spill_count: 0
    .wavefront_size: 64
  - .agpr_count:     0
    .args:
      - .address_space:  global
        .offset:         0
        .size:           8
        .value_kind:     global_buffer
      - .address_space:  global
        .offset:         8
        .size:           8
        .value_kind:     global_buffer
      - .address_space:  global
        .offset:         16
        .size:           8
        .value_kind:     global_buffer
      - .offset:         24
        .size:           4
        .value_kind:     by_value
      - .address_space:  global
        .offset:         32
        .size:           8
        .value_kind:     global_buffer
      - .address_space:  global
        .offset:         40
        .size:           8
        .value_kind:     global_buffer
      - .offset:         48
        .size:           4
        .value_kind:     by_value
      - .offset:         52
        .size:           4
        .value_kind:     by_value
      - .offset:         56
        .size:           4
        .value_kind:     by_value
      - .offset:         60
        .size:           1
        .value_kind:     by_value
      - .address_space:  global
        .offset:         64
        .size:           8
        .value_kind:     global_buffer
    .group_segment_fixed_size: 0
    .kernarg_segment_align: 8
    .kernarg_segment_size: 72
    .language:       OpenCL C
    .language_version:
      - 2
      - 0
    .max_flat_workgroup_size: 256
    .name:           _ZN4vllm3moe10topkGatingILi8ELi8ELi4ELi16ELi64El14__hip_bfloat16LNS0_11ScoringFuncE1EEEvPKT5_PKbPfiPT4_PiiiibPKf
    .private_segment_fixed_size: 0
    .sgpr_count:     32
    .sgpr_spill_count: 0
    .symbol:         _ZN4vllm3moe10topkGatingILi8ELi8ELi4ELi16ELi64El14__hip_bfloat16LNS0_11ScoringFuncE1EEEvPKT5_PKbPfiPT4_PiiiibPKf.kd
    .uniform_work_group_size: 1
    .uses_dynamic_stack: false
    .vgpr_count:     32
    .vgpr_spill_count: 0
    .wavefront_size: 64
  - .agpr_count:     0
    .args:
      - .address_space:  global
        .offset:         0
        .size:           8
        .value_kind:     global_buffer
      - .address_space:  global
        .offset:         8
        .size:           8
        .value_kind:     global_buffer
      - .address_space:  global
        .offset:         16
        .size:           8
        .value_kind:     global_buffer
      - .offset:         24
        .size:           4
        .value_kind:     by_value
      - .address_space:  global
        .offset:         32
        .size:           8
        .value_kind:     global_buffer
      - .address_space:  global
        .offset:         40
        .size:           8
        .value_kind:     global_buffer
      - .offset:         48
        .size:           4
        .value_kind:     by_value
      - .offset:         52
        .size:           4
        .value_kind:     by_value
      - .offset:         56
        .size:           4
        .value_kind:     by_value
      - .offset:         60
        .size:           1
        .value_kind:     by_value
      - .address_space:  global
        .offset:         64
        .size:           8
        .value_kind:     global_buffer
    .group_segment_fixed_size: 0
    .kernarg_segment_align: 8
    .kernarg_segment_size: 72
    .language:       OpenCL C
    .language_version:
      - 2
      - 0
    .max_flat_workgroup_size: 128
    .name:           _ZN4vllm3moe10topkGatingILi8ELi8ELi4ELi16ELi32El14__hip_bfloat16LNS0_11ScoringFuncE1EEEvPKT5_PKbPfiPT4_PiiiibPKf
    .private_segment_fixed_size: 0
    .sgpr_count:     32
    .sgpr_spill_count: 0
    .symbol:         _ZN4vllm3moe10topkGatingILi8ELi8ELi4ELi16ELi32El14__hip_bfloat16LNS0_11ScoringFuncE1EEEvPKT5_PKbPfiPT4_PiiiibPKf.kd
    .uniform_work_group_size: 1
    .uses_dynamic_stack: false
    .vgpr_count:     32
    .vgpr_spill_count: 0
    .wavefront_size: 64
  - .agpr_count:     0
    .args:
      - .address_space:  global
        .offset:         0
        .size:           8
        .value_kind:     global_buffer
      - .address_space:  global
        .offset:         8
        .size:           8
        .value_kind:     global_buffer
      - .address_space:  global
        .offset:         16
        .size:           8
        .value_kind:     global_buffer
      - .offset:         24
        .size:           4
        .value_kind:     by_value
      - .address_space:  global
        .offset:         32
        .size:           8
        .value_kind:     global_buffer
      - .address_space:  global
        .offset:         40
        .size:           8
        .value_kind:     global_buffer
      - .offset:         48
        .size:           4
        .value_kind:     by_value
      - .offset:         52
        .size:           4
        .value_kind:     by_value
      - .offset:         56
        .size:           4
        .value_kind:     by_value
      - .offset:         60
        .size:           1
        .value_kind:     by_value
      - .address_space:  global
        .offset:         64
        .size:           8
        .value_kind:     global_buffer
    .group_segment_fixed_size: 0
    .kernarg_segment_align: 8
    .kernarg_segment_size: 72
    .language:       OpenCL C
    .language_version:
      - 2
      - 0
    .max_flat_workgroup_size: 256
    .name:           _ZN4vllm3moe10topkGatingILi8ELi16ELi4ELi16ELi64El14__hip_bfloat16LNS0_11ScoringFuncE1EEEvPKT5_PKbPfiPT4_PiiiibPKf
    .private_segment_fixed_size: 0
    .sgpr_count:     30
    .sgpr_spill_count: 0
    .symbol:         _ZN4vllm3moe10topkGatingILi8ELi16ELi4ELi16ELi64El14__hip_bfloat16LNS0_11ScoringFuncE1EEEvPKT5_PKbPfiPT4_PiiiibPKf.kd
    .uniform_work_group_size: 1
    .uses_dynamic_stack: false
    .vgpr_count:     34
    .vgpr_spill_count: 0
    .wavefront_size: 64
  - .agpr_count:     0
    .args:
      - .address_space:  global
        .offset:         0
        .size:           8
        .value_kind:     global_buffer
      - .address_space:  global
        .offset:         8
        .size:           8
        .value_kind:     global_buffer
      - .address_space:  global
        .offset:         16
        .size:           8
        .value_kind:     global_buffer
      - .offset:         24
        .size:           4
        .value_kind:     by_value
      - .address_space:  global
        .offset:         32
        .size:           8
        .value_kind:     global_buffer
      - .address_space:  global
        .offset:         40
        .size:           8
        .value_kind:     global_buffer
      - .offset:         48
        .size:           4
        .value_kind:     by_value
      - .offset:         52
        .size:           4
        .value_kind:     by_value
      - .offset:         56
        .size:           4
        .value_kind:     by_value
      - .offset:         60
        .size:           1
        .value_kind:     by_value
      - .address_space:  global
        .offset:         64
        .size:           8
        .value_kind:     global_buffer
    .group_segment_fixed_size: 0
    .kernarg_segment_align: 8
    .kernarg_segment_size: 72
    .language:       OpenCL C
    .language_version:
      - 2
      - 0
    .max_flat_workgroup_size: 128
    .name:           _ZN4vllm3moe10topkGatingILi8ELi16ELi4ELi16ELi32El14__hip_bfloat16LNS0_11ScoringFuncE1EEEvPKT5_PKbPfiPT4_PiiiibPKf
    .private_segment_fixed_size: 0
    .sgpr_count:     30
    .sgpr_spill_count: 0
    .symbol:         _ZN4vllm3moe10topkGatingILi8ELi16ELi4ELi16ELi32El14__hip_bfloat16LNS0_11ScoringFuncE1EEEvPKT5_PKbPfiPT4_PiiiibPKf.kd
    .uniform_work_group_size: 1
    .uses_dynamic_stack: false
    .vgpr_count:     34
    .vgpr_spill_count: 0
    .wavefront_size: 64
  - .agpr_count:     0
    .args:
      - .address_space:  global
        .offset:         0
        .size:           8
        .value_kind:     global_buffer
      - .address_space:  global
        .offset:         8
        .size:           8
        .value_kind:     global_buffer
      - .address_space:  global
        .offset:         16
        .size:           8
        .value_kind:     global_buffer
      - .offset:         24
        .size:           4
        .value_kind:     by_value
      - .address_space:  global
        .offset:         32
        .size:           8
        .value_kind:     global_buffer
      - .address_space:  global
        .offset:         40
        .size:           8
        .value_kind:     global_buffer
      - .offset:         48
        .size:           4
        .value_kind:     by_value
      - .offset:         52
        .size:           4
        .value_kind:     by_value
      - .offset:         56
        .size:           4
        .value_kind:     by_value
      - .offset:         60
        .size:           1
        .value_kind:     by_value
      - .address_space:  global
        .offset:         64
        .size:           8
        .value_kind:     global_buffer
    .group_segment_fixed_size: 0
    .kernarg_segment_align: 8
    .kernarg_segment_size: 72
    .language:       OpenCL C
    .language_version:
      - 2
      - 0
    .max_flat_workgroup_size: 256
    .name:           _ZN4vllm3moe10topkGatingILi8ELi32ELi4ELi16ELi64El14__hip_bfloat16LNS0_11ScoringFuncE1EEEvPKT5_PKbPfiPT4_PiiiibPKf
    .private_segment_fixed_size: 0
    .sgpr_count:     30
    .sgpr_spill_count: 0
    .symbol:         _ZN4vllm3moe10topkGatingILi8ELi32ELi4ELi16ELi64El14__hip_bfloat16LNS0_11ScoringFuncE1EEEvPKT5_PKbPfiPT4_PiiiibPKf.kd
    .uniform_work_group_size: 1
    .uses_dynamic_stack: false
    .vgpr_count:     34
    .vgpr_spill_count: 0
    .wavefront_size: 64
  - .agpr_count:     0
    .args:
      - .address_space:  global
        .offset:         0
        .size:           8
        .value_kind:     global_buffer
      - .address_space:  global
        .offset:         8
        .size:           8
        .value_kind:     global_buffer
      - .address_space:  global
        .offset:         16
        .size:           8
        .value_kind:     global_buffer
      - .offset:         24
        .size:           4
        .value_kind:     by_value
      - .address_space:  global
        .offset:         32
        .size:           8
        .value_kind:     global_buffer
      - .address_space:  global
        .offset:         40
        .size:           8
        .value_kind:     global_buffer
      - .offset:         48
        .size:           4
        .value_kind:     by_value
      - .offset:         52
        .size:           4
        .value_kind:     by_value
      - .offset:         56
        .size:           4
        .value_kind:     by_value
      - .offset:         60
        .size:           1
        .value_kind:     by_value
      - .address_space:  global
        .offset:         64
        .size:           8
        .value_kind:     global_buffer
    .group_segment_fixed_size: 0
    .kernarg_segment_align: 8
    .kernarg_segment_size: 72
    .language:       OpenCL C
    .language_version:
      - 2
      - 0
    .max_flat_workgroup_size: 128
    .name:           _ZN4vllm3moe10topkGatingILi8ELi32ELi4ELi16ELi32El14__hip_bfloat16LNS0_11ScoringFuncE1EEEvPKT5_PKbPfiPT4_PiiiibPKf
    .private_segment_fixed_size: 0
    .sgpr_count:     30
    .sgpr_spill_count: 0
    .symbol:         _ZN4vllm3moe10topkGatingILi8ELi32ELi4ELi16ELi32El14__hip_bfloat16LNS0_11ScoringFuncE1EEEvPKT5_PKbPfiPT4_PiiiibPKf.kd
    .uniform_work_group_size: 1
    .uses_dynamic_stack: false
    .vgpr_count:     34
    .vgpr_spill_count: 0
    .wavefront_size: 64
  - .agpr_count:     0
    .args:
      - .address_space:  global
        .offset:         0
        .size:           8
        .value_kind:     global_buffer
      - .address_space:  global
        .offset:         8
        .size:           8
        .value_kind:     global_buffer
      - .address_space:  global
        .offset:         16
        .size:           8
        .value_kind:     global_buffer
      - .offset:         24
        .size:           4
        .value_kind:     by_value
      - .address_space:  global
        .offset:         32
        .size:           8
        .value_kind:     global_buffer
      - .address_space:  global
        .offset:         40
        .size:           8
        .value_kind:     global_buffer
      - .offset:         48
        .size:           4
        .value_kind:     by_value
      - .offset:         52
        .size:           4
        .value_kind:     by_value
      - .offset:         56
        .size:           4
        .value_kind:     by_value
      - .offset:         60
        .size:           1
        .value_kind:     by_value
      - .address_space:  global
        .offset:         64
        .size:           8
        .value_kind:     global_buffer
    .group_segment_fixed_size: 0
    .kernarg_segment_align: 8
    .kernarg_segment_size: 72
    .language:       OpenCL C
    .language_version:
      - 2
      - 0
    .max_flat_workgroup_size: 256
    .name:           _ZN4vllm3moe10topkGatingILi8ELi64ELi4ELi16ELi64El14__hip_bfloat16LNS0_11ScoringFuncE1EEEvPKT5_PKbPfiPT4_PiiiibPKf
    .private_segment_fixed_size: 0
    .sgpr_count:     30
    .sgpr_spill_count: 0
    .symbol:         _ZN4vllm3moe10topkGatingILi8ELi64ELi4ELi16ELi64El14__hip_bfloat16LNS0_11ScoringFuncE1EEEvPKT5_PKbPfiPT4_PiiiibPKf.kd
    .uniform_work_group_size: 1
    .uses_dynamic_stack: false
    .vgpr_count:     35
    .vgpr_spill_count: 0
    .wavefront_size: 64
  - .agpr_count:     0
    .args:
      - .address_space:  global
        .offset:         0
        .size:           8
        .value_kind:     global_buffer
      - .address_space:  global
        .offset:         8
        .size:           8
        .value_kind:     global_buffer
      - .address_space:  global
        .offset:         16
        .size:           8
        .value_kind:     global_buffer
      - .offset:         24
        .size:           4
        .value_kind:     by_value
      - .address_space:  global
        .offset:         32
        .size:           8
        .value_kind:     global_buffer
      - .address_space:  global
        .offset:         40
        .size:           8
        .value_kind:     global_buffer
      - .offset:         48
        .size:           4
        .value_kind:     by_value
      - .offset:         52
        .size:           4
        .value_kind:     by_value
      - .offset:         56
        .size:           4
        .value_kind:     by_value
      - .offset:         60
        .size:           1
        .value_kind:     by_value
      - .address_space:  global
        .offset:         64
        .size:           8
        .value_kind:     global_buffer
    .group_segment_fixed_size: 0
    .kernarg_segment_align: 8
    .kernarg_segment_size: 72
    .language:       OpenCL C
    .language_version:
      - 2
      - 0
    .max_flat_workgroup_size: 128
    .name:           _ZN4vllm3moe10topkGatingILi8ELi64ELi4ELi16ELi32El14__hip_bfloat16LNS0_11ScoringFuncE1EEEvPKT5_PKbPfiPT4_PiiiibPKf
    .private_segment_fixed_size: 0
    .sgpr_count:     30
    .sgpr_spill_count: 0
    .symbol:         _ZN4vllm3moe10topkGatingILi8ELi64ELi4ELi16ELi32El14__hip_bfloat16LNS0_11ScoringFuncE1EEEvPKT5_PKbPfiPT4_PiiiibPKf.kd
    .uniform_work_group_size: 1
    .uses_dynamic_stack: false
    .vgpr_count:     35
    .vgpr_spill_count: 0
    .wavefront_size: 64
  - .agpr_count:     0
    .args:
      - .address_space:  global
        .offset:         0
        .size:           8
        .value_kind:     global_buffer
      - .address_space:  global
        .offset:         8
        .size:           8
        .value_kind:     global_buffer
      - .address_space:  global
        .offset:         16
        .size:           8
        .value_kind:     global_buffer
      - .offset:         24
        .size:           4
        .value_kind:     by_value
      - .address_space:  global
        .offset:         32
        .size:           8
        .value_kind:     global_buffer
      - .address_space:  global
        .offset:         40
        .size:           8
        .value_kind:     global_buffer
      - .offset:         48
        .size:           4
        .value_kind:     by_value
      - .offset:         52
        .size:           4
        .value_kind:     by_value
      - .offset:         56
        .size:           4
        .value_kind:     by_value
      - .offset:         60
        .size:           1
        .value_kind:     by_value
      - .address_space:  global
        .offset:         64
        .size:           8
        .value_kind:     global_buffer
    .group_segment_fixed_size: 0
    .kernarg_segment_align: 8
    .kernarg_segment_size: 72
    .language:       OpenCL C
    .language_version:
      - 2
      - 0
    .max_flat_workgroup_size: 256
    .name:           _ZN4vllm3moe10topkGatingILi8ELi128ELi4ELi16ELi64El14__hip_bfloat16LNS0_11ScoringFuncE1EEEvPKT5_PKbPfiPT4_PiiiibPKf
    .private_segment_fixed_size: 0
    .sgpr_count:     30
    .sgpr_spill_count: 0
    .symbol:         _ZN4vllm3moe10topkGatingILi8ELi128ELi4ELi16ELi64El14__hip_bfloat16LNS0_11ScoringFuncE1EEEvPKT5_PKbPfiPT4_PiiiibPKf.kd
    .uniform_work_group_size: 1
    .uses_dynamic_stack: false
    .vgpr_count:     37
    .vgpr_spill_count: 0
    .wavefront_size: 64
  - .agpr_count:     0
    .args:
      - .address_space:  global
        .offset:         0
        .size:           8
        .value_kind:     global_buffer
      - .address_space:  global
        .offset:         8
        .size:           8
        .value_kind:     global_buffer
      - .address_space:  global
        .offset:         16
        .size:           8
        .value_kind:     global_buffer
      - .offset:         24
        .size:           4
        .value_kind:     by_value
      - .address_space:  global
        .offset:         32
        .size:           8
        .value_kind:     global_buffer
      - .address_space:  global
        .offset:         40
        .size:           8
        .value_kind:     global_buffer
      - .offset:         48
        .size:           4
        .value_kind:     by_value
      - .offset:         52
        .size:           4
        .value_kind:     by_value
      - .offset:         56
        .size:           4
        .value_kind:     by_value
      - .offset:         60
        .size:           1
        .value_kind:     by_value
      - .address_space:  global
        .offset:         64
        .size:           8
        .value_kind:     global_buffer
    .group_segment_fixed_size: 0
    .kernarg_segment_align: 8
    .kernarg_segment_size: 72
    .language:       OpenCL C
    .language_version:
      - 2
      - 0
    .max_flat_workgroup_size: 128
    .name:           _ZN4vllm3moe10topkGatingILi8ELi128ELi4ELi16ELi32El14__hip_bfloat16LNS0_11ScoringFuncE1EEEvPKT5_PKbPfiPT4_PiiiibPKf
    .private_segment_fixed_size: 0
    .sgpr_count:     30
    .sgpr_spill_count: 0
    .symbol:         _ZN4vllm3moe10topkGatingILi8ELi128ELi4ELi16ELi32El14__hip_bfloat16LNS0_11ScoringFuncE1EEEvPKT5_PKbPfiPT4_PiiiibPKf.kd
    .uniform_work_group_size: 1
    .uses_dynamic_stack: false
    .vgpr_count:     37
    .vgpr_spill_count: 0
    .wavefront_size: 64
  - .agpr_count:     0
    .args:
      - .address_space:  global
        .offset:         0
        .size:           8
        .value_kind:     global_buffer
      - .address_space:  global
        .offset:         8
        .size:           8
        .value_kind:     global_buffer
      - .address_space:  global
        .offset:         16
        .size:           8
        .value_kind:     global_buffer
      - .offset:         24
        .size:           4
        .value_kind:     by_value
      - .address_space:  global
        .offset:         32
        .size:           8
        .value_kind:     global_buffer
      - .address_space:  global
        .offset:         40
        .size:           8
        .value_kind:     global_buffer
      - .offset:         48
        .size:           4
        .value_kind:     by_value
      - .offset:         52
        .size:           4
        .value_kind:     by_value
      - .offset:         56
        .size:           4
        .value_kind:     by_value
      - .offset:         60
        .size:           1
        .value_kind:     by_value
      - .address_space:  global
        .offset:         64
        .size:           8
        .value_kind:     global_buffer
    .group_segment_fixed_size: 0
    .kernarg_segment_align: 8
    .kernarg_segment_size: 72
    .language:       OpenCL C
    .language_version:
      - 2
      - 0
    .max_flat_workgroup_size: 256
    .name:           _ZN4vllm3moe10topkGatingILi8ELi256ELi4ELi16ELi64El14__hip_bfloat16LNS0_11ScoringFuncE1EEEvPKT5_PKbPfiPT4_PiiiibPKf
    .private_segment_fixed_size: 0
    .sgpr_count:     30
    .sgpr_spill_count: 0
    .symbol:         _ZN4vllm3moe10topkGatingILi8ELi256ELi4ELi16ELi64El14__hip_bfloat16LNS0_11ScoringFuncE1EEEvPKT5_PKbPfiPT4_PiiiibPKf.kd
    .uniform_work_group_size: 1
    .uses_dynamic_stack: false
    .vgpr_count:     38
    .vgpr_spill_count: 0
    .wavefront_size: 64
  - .agpr_count:     0
    .args:
      - .address_space:  global
        .offset:         0
        .size:           8
        .value_kind:     global_buffer
      - .address_space:  global
        .offset:         8
        .size:           8
        .value_kind:     global_buffer
      - .address_space:  global
        .offset:         16
        .size:           8
        .value_kind:     global_buffer
      - .offset:         24
        .size:           4
        .value_kind:     by_value
      - .address_space:  global
        .offset:         32
        .size:           8
        .value_kind:     global_buffer
      - .address_space:  global
        .offset:         40
        .size:           8
        .value_kind:     global_buffer
      - .offset:         48
        .size:           4
        .value_kind:     by_value
      - .offset:         52
        .size:           4
        .value_kind:     by_value
      - .offset:         56
        .size:           4
        .value_kind:     by_value
      - .offset:         60
        .size:           1
        .value_kind:     by_value
      - .address_space:  global
        .offset:         64
        .size:           8
        .value_kind:     global_buffer
    .group_segment_fixed_size: 0
    .kernarg_segment_align: 8
    .kernarg_segment_size: 72
    .language:       OpenCL C
    .language_version:
      - 2
      - 0
    .max_flat_workgroup_size: 128
    .name:           _ZN4vllm3moe10topkGatingILi8ELi256ELi4ELi16ELi32El14__hip_bfloat16LNS0_11ScoringFuncE1EEEvPKT5_PKbPfiPT4_PiiiibPKf
    .private_segment_fixed_size: 0
    .sgpr_count:     30
    .sgpr_spill_count: 0
    .symbol:         _ZN4vllm3moe10topkGatingILi8ELi256ELi4ELi16ELi32El14__hip_bfloat16LNS0_11ScoringFuncE1EEEvPKT5_PKbPfiPT4_PiiiibPKf.kd
    .uniform_work_group_size: 1
    .uses_dynamic_stack: false
    .vgpr_count:     38
    .vgpr_spill_count: 0
    .wavefront_size: 64
  - .agpr_count:     0
    .args:
      - .address_space:  global
        .offset:         0
        .size:           8
        .value_kind:     global_buffer
      - .address_space:  global
        .offset:         8
        .size:           8
        .value_kind:     global_buffer
      - .address_space:  global
        .offset:         16
        .size:           8
        .value_kind:     global_buffer
      - .offset:         24
        .size:           4
        .value_kind:     by_value
      - .address_space:  global
        .offset:         32
        .size:           8
        .value_kind:     global_buffer
      - .address_space:  global
        .offset:         40
        .size:           8
        .value_kind:     global_buffer
      - .offset:         48
        .size:           4
        .value_kind:     by_value
      - .offset:         52
        .size:           4
        .value_kind:     by_value
      - .offset:         56
        .size:           4
        .value_kind:     by_value
      - .offset:         60
        .size:           1
        .value_kind:     by_value
      - .address_space:  global
        .offset:         64
        .size:           8
        .value_kind:     global_buffer
    .group_segment_fixed_size: 0
    .kernarg_segment_align: 8
    .kernarg_segment_size: 72
    .language:       OpenCL C
    .language_version:
      - 2
      - 0
    .max_flat_workgroup_size: 256
    .name:           _ZN4vllm3moe10topkGatingILi8ELi512ELi4ELi16ELi64El14__hip_bfloat16LNS0_11ScoringFuncE1EEEvPKT5_PKbPfiPT4_PiiiibPKf
    .private_segment_fixed_size: 0
    .sgpr_count:     30
    .sgpr_spill_count: 0
    .symbol:         _ZN4vllm3moe10topkGatingILi8ELi512ELi4ELi16ELi64El14__hip_bfloat16LNS0_11ScoringFuncE1EEEvPKT5_PKbPfiPT4_PiiiibPKf.kd
    .uniform_work_group_size: 1
    .uses_dynamic_stack: false
    .vgpr_count:     39
    .vgpr_spill_count: 0
    .wavefront_size: 64
  - .agpr_count:     0
    .args:
      - .address_space:  global
        .offset:         0
        .size:           8
        .value_kind:     global_buffer
      - .address_space:  global
        .offset:         8
        .size:           8
        .value_kind:     global_buffer
      - .address_space:  global
        .offset:         16
        .size:           8
        .value_kind:     global_buffer
      - .offset:         24
        .size:           4
        .value_kind:     by_value
      - .address_space:  global
        .offset:         32
        .size:           8
        .value_kind:     global_buffer
      - .address_space:  global
        .offset:         40
        .size:           8
        .value_kind:     global_buffer
      - .offset:         48
        .size:           4
        .value_kind:     by_value
      - .offset:         52
        .size:           4
        .value_kind:     by_value
      - .offset:         56
        .size:           4
        .value_kind:     by_value
      - .offset:         60
        .size:           1
        .value_kind:     by_value
      - .address_space:  global
        .offset:         64
        .size:           8
        .value_kind:     global_buffer
    .group_segment_fixed_size: 0
    .kernarg_segment_align: 8
    .kernarg_segment_size: 72
    .language:       OpenCL C
    .language_version:
      - 2
      - 0
    .max_flat_workgroup_size: 128
    .name:           _ZN4vllm3moe10topkGatingILi16ELi512ELi4ELi16ELi32El14__hip_bfloat16LNS0_11ScoringFuncE1EEEvPKT5_PKbPfiPT4_PiiiibPKf
    .private_segment_fixed_size: 0
    .sgpr_count:     30
    .sgpr_spill_count: 0
    .symbol:         _ZN4vllm3moe10topkGatingILi16ELi512ELi4ELi16ELi32El14__hip_bfloat16LNS0_11ScoringFuncE1EEEvPKT5_PKbPfiPT4_PiiiibPKf.kd
    .uniform_work_group_size: 1
    .uses_dynamic_stack: false
    .vgpr_count:     62
    .vgpr_spill_count: 0
    .wavefront_size: 64
amdhsa.target:   amdgcn-amd-amdhsa--gfx90a
amdhsa.version:
  - 1
  - 2
...

	.end_amdgpu_metadata
